;; amdgpu-corpus repo=ROCm/rocSPARSE kind=compiled arch=gfx1100 opt=O3
	.text
	.amdgcn_target "amdgcn-amd-amdhsa--gfx1100"
	.amdhsa_code_object_version 6
	.section	.text._ZN9rocsparseL46csrmvn_preprocess_device_32_bins_3phase_phase1ILj256EiiEEvT1_PKT0_PS1_S5_,"axG",@progbits,_ZN9rocsparseL46csrmvn_preprocess_device_32_bins_3phase_phase1ILj256EiiEEvT1_PKT0_PS1_S5_,comdat
	.globl	_ZN9rocsparseL46csrmvn_preprocess_device_32_bins_3phase_phase1ILj256EiiEEvT1_PKT0_PS1_S5_ ; -- Begin function _ZN9rocsparseL46csrmvn_preprocess_device_32_bins_3phase_phase1ILj256EiiEEvT1_PKT0_PS1_S5_
	.p2align	8
	.type	_ZN9rocsparseL46csrmvn_preprocess_device_32_bins_3phase_phase1ILj256EiiEEvT1_PKT0_PS1_S5_,@function
_ZN9rocsparseL46csrmvn_preprocess_device_32_bins_3phase_phase1ILj256EiiEEvT1_PKT0_PS1_S5_: ; @_ZN9rocsparseL46csrmvn_preprocess_device_32_bins_3phase_phase1ILj256EiiEEvT1_PKT0_PS1_S5_
; %bb.0:
	s_load_b32 s8, s[0:1], 0x0
	v_lshl_or_b32 v0, s15, 8, v0
	s_mov_b32 s2, exec_lo
	s_waitcnt lgkmcnt(0)
	s_delay_alu instid0(VALU_DEP_1)
	v_cmpx_gt_i32_e64 s8, v0
	s_cbranch_execz .LBB0_3
; %bb.1:
	s_clause 0x2
	s_load_b32 s9, s[0:1], 0x20
	s_load_b128 s[4:7], s[0:1], 0x8
	s_load_b64 s[2:3], s[0:1], 0x18
	v_dual_mov_b32 v2, 0 :: v_dual_mov_b32 v3, 1
	s_waitcnt lgkmcnt(0)
	s_lshl_b32 s1, s9, 8
	s_mov_b32 s9, 0
	s_set_inst_prefetch_distance 0x1
	.p2align	6
.LBB0_2:                                ; =>This Inner Loop Header: Depth=1
	v_ashrrev_i32_e32 v1, 31, v0
	s_delay_alu instid0(VALU_DEP_1) | instskip(SKIP_1) | instid1(VALU_DEP_2)
	v_lshlrev_b64 v[4:5], 2, v[0:1]
	v_add_nc_u32_e32 v0, s1, v0
	v_add_co_u32 v6, vcc_lo, s4, v4
	s_delay_alu instid0(VALU_DEP_3) | instskip(SKIP_1) | instid1(VALU_DEP_1)
	v_add_co_ci_u32_e32 v7, vcc_lo, s5, v5, vcc_lo
	v_add_co_u32 v4, s0, s6, v4
	v_add_co_ci_u32_e64 v5, s0, s7, v5, s0
	global_load_b64 v[6:7], v[6:7], off
	s_waitcnt vmcnt(0)
	v_sub_nc_u32_e32 v1, v7, v6
	s_delay_alu instid0(VALU_DEP_1) | instskip(NEXT) | instid1(VALU_DEP_1)
	v_cvt_f32_i32_e32 v1, v1
	v_cmp_gt_f32_e32 vcc_lo, 0x800000, v1
	v_cndmask_b32_e64 v8, 1.0, 0x4f800000, vcc_lo
	s_delay_alu instid0(VALU_DEP_1) | instskip(SKIP_2) | instid1(VALU_DEP_3)
	v_mul_f32_e32 v1, v1, v8
	v_cndmask_b32_e64 v8, 0, 0x42000000, vcc_lo
	v_cmp_ne_u32_e32 vcc_lo, v7, v6
	v_log_f32_e32 v1, v1
	s_waitcnt_depctr 0xfff
	v_sub_f32_e32 v1, v1, v8
	s_delay_alu instid0(VALU_DEP_1) | instskip(NEXT) | instid1(VALU_DEP_1)
	v_ceil_f32_e32 v1, v1
	v_cvt_u32_f32_e32 v1, v1
	s_delay_alu instid0(VALU_DEP_1) | instskip(NEXT) | instid1(VALU_DEP_1)
	v_cndmask_b32_e32 v1, 0, v1, vcc_lo
	v_lshlrev_b64 v[6:7], 2, v[1:2]
	s_delay_alu instid0(VALU_DEP_1) | instskip(NEXT) | instid1(VALU_DEP_2)
	v_add_co_u32 v6, vcc_lo, s2, v6
	v_add_co_ci_u32_e32 v7, vcc_lo, s3, v7, vcc_lo
	v_cmp_le_i32_e32 vcc_lo, s8, v0
	global_atomic_add_u32 v1, v[6:7], v3, off glc
	s_or_b32 s9, vcc_lo, s9
	s_waitcnt vmcnt(0)
	global_store_b32 v[4:5], v1, off
	s_and_not1_b32 exec_lo, exec_lo, s9
	s_cbranch_execnz .LBB0_2
.LBB0_3:
	s_set_inst_prefetch_distance 0x2
	s_nop 0
	s_sendmsg sendmsg(MSG_DEALLOC_VGPRS)
	s_endpgm
	.section	.rodata,"a",@progbits
	.p2align	6, 0x0
	.amdhsa_kernel _ZN9rocsparseL46csrmvn_preprocess_device_32_bins_3phase_phase1ILj256EiiEEvT1_PKT0_PS1_S5_
		.amdhsa_group_segment_fixed_size 0
		.amdhsa_private_segment_fixed_size 0
		.amdhsa_kernarg_size 288
		.amdhsa_user_sgpr_count 15
		.amdhsa_user_sgpr_dispatch_ptr 0
		.amdhsa_user_sgpr_queue_ptr 0
		.amdhsa_user_sgpr_kernarg_segment_ptr 1
		.amdhsa_user_sgpr_dispatch_id 0
		.amdhsa_user_sgpr_private_segment_size 0
		.amdhsa_wavefront_size32 1
		.amdhsa_uses_dynamic_stack 0
		.amdhsa_enable_private_segment 0
		.amdhsa_system_sgpr_workgroup_id_x 1
		.amdhsa_system_sgpr_workgroup_id_y 0
		.amdhsa_system_sgpr_workgroup_id_z 0
		.amdhsa_system_sgpr_workgroup_info 0
		.amdhsa_system_vgpr_workitem_id 0
		.amdhsa_next_free_vgpr 9
		.amdhsa_next_free_sgpr 16
		.amdhsa_reserve_vcc 1
		.amdhsa_float_round_mode_32 0
		.amdhsa_float_round_mode_16_64 0
		.amdhsa_float_denorm_mode_32 3
		.amdhsa_float_denorm_mode_16_64 3
		.amdhsa_dx10_clamp 1
		.amdhsa_ieee_mode 1
		.amdhsa_fp16_overflow 0
		.amdhsa_workgroup_processor_mode 1
		.amdhsa_memory_ordered 1
		.amdhsa_forward_progress 0
		.amdhsa_shared_vgpr_count 0
		.amdhsa_exception_fp_ieee_invalid_op 0
		.amdhsa_exception_fp_denorm_src 0
		.amdhsa_exception_fp_ieee_div_zero 0
		.amdhsa_exception_fp_ieee_overflow 0
		.amdhsa_exception_fp_ieee_underflow 0
		.amdhsa_exception_fp_ieee_inexact 0
		.amdhsa_exception_int_div_zero 0
	.end_amdhsa_kernel
	.section	.text._ZN9rocsparseL46csrmvn_preprocess_device_32_bins_3phase_phase1ILj256EiiEEvT1_PKT0_PS1_S5_,"axG",@progbits,_ZN9rocsparseL46csrmvn_preprocess_device_32_bins_3phase_phase1ILj256EiiEEvT1_PKT0_PS1_S5_,comdat
.Lfunc_end0:
	.size	_ZN9rocsparseL46csrmvn_preprocess_device_32_bins_3phase_phase1ILj256EiiEEvT1_PKT0_PS1_S5_, .Lfunc_end0-_ZN9rocsparseL46csrmvn_preprocess_device_32_bins_3phase_phase1ILj256EiiEEvT1_PKT0_PS1_S5_
                                        ; -- End function
	.section	.AMDGPU.csdata,"",@progbits
; Kernel info:
; codeLenInByte = 320
; NumSgprs: 18
; NumVgprs: 9
; ScratchSize: 0
; MemoryBound: 0
; FloatMode: 240
; IeeeMode: 1
; LDSByteSize: 0 bytes/workgroup (compile time only)
; SGPRBlocks: 2
; VGPRBlocks: 1
; NumSGPRsForWavesPerEU: 18
; NumVGPRsForWavesPerEU: 9
; Occupancy: 16
; WaveLimiterHint : 0
; COMPUTE_PGM_RSRC2:SCRATCH_EN: 0
; COMPUTE_PGM_RSRC2:USER_SGPR: 15
; COMPUTE_PGM_RSRC2:TRAP_HANDLER: 0
; COMPUTE_PGM_RSRC2:TGID_X_EN: 1
; COMPUTE_PGM_RSRC2:TGID_Y_EN: 0
; COMPUTE_PGM_RSRC2:TGID_Z_EN: 0
; COMPUTE_PGM_RSRC2:TIDIG_COMP_CNT: 0
	.section	.text._ZN9rocsparseL46csrmvn_preprocess_device_32_bins_3phase_phase2IiEEvPT_,"axG",@progbits,_ZN9rocsparseL46csrmvn_preprocess_device_32_bins_3phase_phase2IiEEvPT_,comdat
	.globl	_ZN9rocsparseL46csrmvn_preprocess_device_32_bins_3phase_phase2IiEEvPT_ ; -- Begin function _ZN9rocsparseL46csrmvn_preprocess_device_32_bins_3phase_phase2IiEEvPT_
	.p2align	8
	.type	_ZN9rocsparseL46csrmvn_preprocess_device_32_bins_3phase_phase2IiEEvPT_,@function
_ZN9rocsparseL46csrmvn_preprocess_device_32_bins_3phase_phase2IiEEvPT_: ; @_ZN9rocsparseL46csrmvn_preprocess_device_32_bins_3phase_phase2IiEEvPT_
; %bb.0:
	s_load_b64 s[28:29], s[0:1], 0x0
	s_waitcnt lgkmcnt(0)
	s_load_b512 s[0:15], s[28:29], 0x0
	v_mov_b32_e32 v0, 0
	s_clause 0x3
	s_load_b32 s33, s[28:29], 0x78
	s_load_b64 s[30:31], s[28:29], 0x70
	s_load_b128 s[24:27], s[28:29], 0x60
	s_load_b256 s[16:23], s[28:29], 0x40
	s_waitcnt lgkmcnt(0)
	v_mov_b32_e32 v1, s0
	s_add_i32 s1, s1, s0
	s_delay_alu instid0(SALU_CYCLE_1) | instskip(NEXT) | instid1(SALU_CYCLE_1)
	s_add_i32 s0, s2, s1
	v_dual_mov_b32 v2, s1 :: v_dual_mov_b32 v3, s0
	s_add_i32 s1, s3, s0
	s_delay_alu instid0(SALU_CYCLE_1) | instskip(NEXT) | instid1(SALU_CYCLE_1)
	s_add_i32 s0, s4, s1
	v_dual_mov_b32 v4, s1 :: v_dual_mov_b32 v5, s0
	;; [unrolled: 4-line block ×3, first 2 shown]
	s_add_i32 s1, s7, s0
	s_clause 0x1
	global_store_b128 v0, v[0:3], s[28:29]
	global_store_b128 v0, v[4:7], s[28:29] offset:16
	s_add_i32 s0, s8, s1
	s_delay_alu instid0(SALU_CYCLE_1) | instskip(SKIP_1) | instid1(SALU_CYCLE_1)
	v_dual_mov_b32 v8, s1 :: v_dual_mov_b32 v9, s0
	s_add_i32 s1, s9, s0
	s_add_i32 s0, s10, s1
	s_delay_alu instid0(SALU_CYCLE_1) | instskip(SKIP_1) | instid1(SALU_CYCLE_1)
	v_dual_mov_b32 v10, s1 :: v_dual_mov_b32 v11, s0
	s_add_i32 s1, s11, s0
	;; [unrolled: 4-line block ×11, first 2 shown]
	s_add_i32 s33, s33, s1
	s_delay_alu instid0(SALU_CYCLE_1)
	v_dual_mov_b32 v26, s1 :: v_dual_mov_b32 v27, s33
	s_clause 0x5
	global_store_b128 v0, v[8:11], s[28:29] offset:32
	global_store_b128 v0, v[1:4], s[28:29] offset:48
	;; [unrolled: 1-line block ×6, first 2 shown]
	s_nop 0
	s_sendmsg sendmsg(MSG_DEALLOC_VGPRS)
	s_endpgm
	.section	.rodata,"a",@progbits
	.p2align	6, 0x0
	.amdhsa_kernel _ZN9rocsparseL46csrmvn_preprocess_device_32_bins_3phase_phase2IiEEvPT_
		.amdhsa_group_segment_fixed_size 0
		.amdhsa_private_segment_fixed_size 0
		.amdhsa_kernarg_size 8
		.amdhsa_user_sgpr_count 15
		.amdhsa_user_sgpr_dispatch_ptr 0
		.amdhsa_user_sgpr_queue_ptr 0
		.amdhsa_user_sgpr_kernarg_segment_ptr 1
		.amdhsa_user_sgpr_dispatch_id 0
		.amdhsa_user_sgpr_private_segment_size 0
		.amdhsa_wavefront_size32 1
		.amdhsa_uses_dynamic_stack 0
		.amdhsa_enable_private_segment 0
		.amdhsa_system_sgpr_workgroup_id_x 1
		.amdhsa_system_sgpr_workgroup_id_y 0
		.amdhsa_system_sgpr_workgroup_id_z 0
		.amdhsa_system_sgpr_workgroup_info 0
		.amdhsa_system_vgpr_workitem_id 0
		.amdhsa_next_free_vgpr 28
		.amdhsa_next_free_sgpr 34
		.amdhsa_reserve_vcc 0
		.amdhsa_float_round_mode_32 0
		.amdhsa_float_round_mode_16_64 0
		.amdhsa_float_denorm_mode_32 3
		.amdhsa_float_denorm_mode_16_64 3
		.amdhsa_dx10_clamp 1
		.amdhsa_ieee_mode 1
		.amdhsa_fp16_overflow 0
		.amdhsa_workgroup_processor_mode 1
		.amdhsa_memory_ordered 1
		.amdhsa_forward_progress 0
		.amdhsa_shared_vgpr_count 0
		.amdhsa_exception_fp_ieee_invalid_op 0
		.amdhsa_exception_fp_denorm_src 0
		.amdhsa_exception_fp_ieee_div_zero 0
		.amdhsa_exception_fp_ieee_overflow 0
		.amdhsa_exception_fp_ieee_underflow 0
		.amdhsa_exception_fp_ieee_inexact 0
		.amdhsa_exception_int_div_zero 0
	.end_amdhsa_kernel
	.section	.text._ZN9rocsparseL46csrmvn_preprocess_device_32_bins_3phase_phase2IiEEvPT_,"axG",@progbits,_ZN9rocsparseL46csrmvn_preprocess_device_32_bins_3phase_phase2IiEEvPT_,comdat
.Lfunc_end1:
	.size	_ZN9rocsparseL46csrmvn_preprocess_device_32_bins_3phase_phase2IiEEvPT_, .Lfunc_end1-_ZN9rocsparseL46csrmvn_preprocess_device_32_bins_3phase_phase2IiEEvPT_
                                        ; -- End function
	.section	.AMDGPU.csdata,"",@progbits
; Kernel info:
; codeLenInByte = 452
; NumSgprs: 34
; NumVgprs: 28
; ScratchSize: 0
; MemoryBound: 0
; FloatMode: 240
; IeeeMode: 1
; LDSByteSize: 0 bytes/workgroup (compile time only)
; SGPRBlocks: 4
; VGPRBlocks: 3
; NumSGPRsForWavesPerEU: 34
; NumVGPRsForWavesPerEU: 28
; Occupancy: 16
; WaveLimiterHint : 0
; COMPUTE_PGM_RSRC2:SCRATCH_EN: 0
; COMPUTE_PGM_RSRC2:USER_SGPR: 15
; COMPUTE_PGM_RSRC2:TRAP_HANDLER: 0
; COMPUTE_PGM_RSRC2:TGID_X_EN: 1
; COMPUTE_PGM_RSRC2:TGID_Y_EN: 0
; COMPUTE_PGM_RSRC2:TGID_Z_EN: 0
; COMPUTE_PGM_RSRC2:TIDIG_COMP_CNT: 0
	.section	.text._ZN9rocsparseL46csrmvn_preprocess_device_32_bins_3phase_phase3ILj256EiiEEvT1_PKT0_PKS1_S6_PS1_,"axG",@progbits,_ZN9rocsparseL46csrmvn_preprocess_device_32_bins_3phase_phase3ILj256EiiEEvT1_PKT0_PKS1_S6_PS1_,comdat
	.globl	_ZN9rocsparseL46csrmvn_preprocess_device_32_bins_3phase_phase3ILj256EiiEEvT1_PKT0_PKS1_S6_PS1_ ; -- Begin function _ZN9rocsparseL46csrmvn_preprocess_device_32_bins_3phase_phase3ILj256EiiEEvT1_PKT0_PKS1_S6_PS1_
	.p2align	8
	.type	_ZN9rocsparseL46csrmvn_preprocess_device_32_bins_3phase_phase3ILj256EiiEEvT1_PKT0_PKS1_S6_PS1_,@function
_ZN9rocsparseL46csrmvn_preprocess_device_32_bins_3phase_phase3ILj256EiiEEvT1_PKT0_PKS1_S6_PS1_: ; @_ZN9rocsparseL46csrmvn_preprocess_device_32_bins_3phase_phase3ILj256EiiEEvT1_PKT0_PKS1_S6_PS1_
; %bb.0:
	s_load_b32 s8, s[0:1], 0x0
	v_lshl_or_b32 v0, s15, 8, v0
	s_mov_b32 s2, exec_lo
	s_waitcnt lgkmcnt(0)
	s_delay_alu instid0(VALU_DEP_1)
	v_cmpx_gt_i32_e64 s8, v0
	s_cbranch_execz .LBB2_3
; %bb.1:
	s_clause 0x1
	s_load_b32 s9, s[0:1], 0x28
	s_load_b256 s[0:7], s[0:1], 0x8
	v_mov_b32_e32 v2, 0
	s_mov_b32 s10, 0
	s_waitcnt lgkmcnt(0)
	s_lshl_b32 s9, s9, 8
.LBB2_2:                                ; =>This Inner Loop Header: Depth=1
	v_ashrrev_i32_e32 v1, 31, v0
	s_delay_alu instid0(VALU_DEP_1) | instskip(NEXT) | instid1(VALU_DEP_1)
	v_lshlrev_b64 v[3:4], 2, v[0:1]
	v_add_co_u32 v5, vcc_lo, s0, v3
	s_delay_alu instid0(VALU_DEP_2) | instskip(SKIP_3) | instid1(VALU_DEP_1)
	v_add_co_ci_u32_e32 v6, vcc_lo, s1, v4, vcc_lo
	global_load_b64 v[5:6], v[5:6], off
	s_waitcnt vmcnt(0)
	v_sub_nc_u32_e32 v1, v6, v5
	v_cvt_f32_i32_e32 v1, v1
	s_delay_alu instid0(VALU_DEP_1) | instskip(SKIP_1) | instid1(VALU_DEP_1)
	v_cmp_gt_f32_e32 vcc_lo, 0x800000, v1
	v_cndmask_b32_e64 v7, 1.0, 0x4f800000, vcc_lo
	v_mul_f32_e32 v1, v1, v7
	v_cndmask_b32_e64 v7, 0, 0x42000000, vcc_lo
	v_cmp_ne_u32_e32 vcc_lo, v6, v5
	s_delay_alu instid0(VALU_DEP_3) | instskip(SKIP_2) | instid1(VALU_DEP_1)
	v_log_f32_e32 v1, v1
	s_waitcnt_depctr 0xfff
	v_sub_f32_e32 v1, v1, v7
	v_ceil_f32_e32 v1, v1
	s_delay_alu instid0(VALU_DEP_1) | instskip(NEXT) | instid1(VALU_DEP_1)
	v_cvt_u32_f32_e32 v1, v1
	v_cndmask_b32_e32 v1, 0, v1, vcc_lo
	v_add_co_u32 v3, vcc_lo, s2, v3
	v_add_co_ci_u32_e32 v4, vcc_lo, s3, v4, vcc_lo
	s_delay_alu instid0(VALU_DEP_3) | instskip(NEXT) | instid1(VALU_DEP_1)
	v_lshlrev_b64 v[5:6], 2, v[1:2]
	v_add_co_u32 v5, vcc_lo, s4, v5
	s_delay_alu instid0(VALU_DEP_2) | instskip(SKIP_4) | instid1(VALU_DEP_1)
	v_add_co_ci_u32_e32 v6, vcc_lo, s5, v6, vcc_lo
	global_load_b32 v1, v[3:4], off
	global_load_b32 v3, v[5:6], off
	s_waitcnt vmcnt(0)
	v_add_nc_u32_e32 v3, v1, v3
	v_ashrrev_i32_e32 v4, 31, v3
	s_delay_alu instid0(VALU_DEP_1) | instskip(NEXT) | instid1(VALU_DEP_1)
	v_lshlrev_b64 v[3:4], 2, v[3:4]
	v_add_co_u32 v3, vcc_lo, s6, v3
	s_delay_alu instid0(VALU_DEP_2) | instskip(SKIP_2) | instid1(VALU_DEP_1)
	v_add_co_ci_u32_e32 v4, vcc_lo, s7, v4, vcc_lo
	global_store_b32 v[3:4], v0, off
	v_add_nc_u32_e32 v0, s9, v0
	v_cmp_le_i32_e32 vcc_lo, s8, v0
	s_or_b32 s10, vcc_lo, s10
	s_delay_alu instid0(SALU_CYCLE_1)
	s_and_not1_b32 exec_lo, exec_lo, s10
	s_cbranch_execnz .LBB2_2
.LBB2_3:
	s_nop 0
	s_sendmsg sendmsg(MSG_DEALLOC_VGPRS)
	s_endpgm
	.section	.rodata,"a",@progbits
	.p2align	6, 0x0
	.amdhsa_kernel _ZN9rocsparseL46csrmvn_preprocess_device_32_bins_3phase_phase3ILj256EiiEEvT1_PKT0_PKS1_S6_PS1_
		.amdhsa_group_segment_fixed_size 0
		.amdhsa_private_segment_fixed_size 0
		.amdhsa_kernarg_size 296
		.amdhsa_user_sgpr_count 15
		.amdhsa_user_sgpr_dispatch_ptr 0
		.amdhsa_user_sgpr_queue_ptr 0
		.amdhsa_user_sgpr_kernarg_segment_ptr 1
		.amdhsa_user_sgpr_dispatch_id 0
		.amdhsa_user_sgpr_private_segment_size 0
		.amdhsa_wavefront_size32 1
		.amdhsa_uses_dynamic_stack 0
		.amdhsa_enable_private_segment 0
		.amdhsa_system_sgpr_workgroup_id_x 1
		.amdhsa_system_sgpr_workgroup_id_y 0
		.amdhsa_system_sgpr_workgroup_id_z 0
		.amdhsa_system_sgpr_workgroup_info 0
		.amdhsa_system_vgpr_workitem_id 0
		.amdhsa_next_free_vgpr 8
		.amdhsa_next_free_sgpr 16
		.amdhsa_reserve_vcc 1
		.amdhsa_float_round_mode_32 0
		.amdhsa_float_round_mode_16_64 0
		.amdhsa_float_denorm_mode_32 3
		.amdhsa_float_denorm_mode_16_64 3
		.amdhsa_dx10_clamp 1
		.amdhsa_ieee_mode 1
		.amdhsa_fp16_overflow 0
		.amdhsa_workgroup_processor_mode 1
		.amdhsa_memory_ordered 1
		.amdhsa_forward_progress 0
		.amdhsa_shared_vgpr_count 0
		.amdhsa_exception_fp_ieee_invalid_op 0
		.amdhsa_exception_fp_denorm_src 0
		.amdhsa_exception_fp_ieee_div_zero 0
		.amdhsa_exception_fp_ieee_overflow 0
		.amdhsa_exception_fp_ieee_underflow 0
		.amdhsa_exception_fp_ieee_inexact 0
		.amdhsa_exception_int_div_zero 0
	.end_amdhsa_kernel
	.section	.text._ZN9rocsparseL46csrmvn_preprocess_device_32_bins_3phase_phase3ILj256EiiEEvT1_PKT0_PKS1_S6_PS1_,"axG",@progbits,_ZN9rocsparseL46csrmvn_preprocess_device_32_bins_3phase_phase3ILj256EiiEEvT1_PKT0_PKS1_S6_PS1_,comdat
.Lfunc_end2:
	.size	_ZN9rocsparseL46csrmvn_preprocess_device_32_bins_3phase_phase3ILj256EiiEEvT1_PKT0_PKS1_S6_PS1_, .Lfunc_end2-_ZN9rocsparseL46csrmvn_preprocess_device_32_bins_3phase_phase3ILj256EiiEEvT1_PKT0_PKS1_S6_PS1_
                                        ; -- End function
	.section	.AMDGPU.csdata,"",@progbits
; Kernel info:
; codeLenInByte = 344
; NumSgprs: 18
; NumVgprs: 8
; ScratchSize: 0
; MemoryBound: 0
; FloatMode: 240
; IeeeMode: 1
; LDSByteSize: 0 bytes/workgroup (compile time only)
; SGPRBlocks: 2
; VGPRBlocks: 0
; NumSGPRsForWavesPerEU: 18
; NumVGPRsForWavesPerEU: 8
; Occupancy: 16
; WaveLimiterHint : 1
; COMPUTE_PGM_RSRC2:SCRATCH_EN: 0
; COMPUTE_PGM_RSRC2:USER_SGPR: 15
; COMPUTE_PGM_RSRC2:TRAP_HANDLER: 0
; COMPUTE_PGM_RSRC2:TGID_X_EN: 1
; COMPUTE_PGM_RSRC2:TGID_Y_EN: 0
; COMPUTE_PGM_RSRC2:TGID_Z_EN: 0
; COMPUTE_PGM_RSRC2:TIDIG_COMP_CNT: 0
	.section	.text._ZN9rocsparseL46csrmvn_preprocess_device_32_bins_3phase_phase1ILj256EliEEvT1_PKT0_PS1_S5_,"axG",@progbits,_ZN9rocsparseL46csrmvn_preprocess_device_32_bins_3phase_phase1ILj256EliEEvT1_PKT0_PS1_S5_,comdat
	.globl	_ZN9rocsparseL46csrmvn_preprocess_device_32_bins_3phase_phase1ILj256EliEEvT1_PKT0_PS1_S5_ ; -- Begin function _ZN9rocsparseL46csrmvn_preprocess_device_32_bins_3phase_phase1ILj256EliEEvT1_PKT0_PS1_S5_
	.p2align	8
	.type	_ZN9rocsparseL46csrmvn_preprocess_device_32_bins_3phase_phase1ILj256EliEEvT1_PKT0_PS1_S5_,@function
_ZN9rocsparseL46csrmvn_preprocess_device_32_bins_3phase_phase1ILj256EliEEvT1_PKT0_PS1_S5_: ; @_ZN9rocsparseL46csrmvn_preprocess_device_32_bins_3phase_phase1ILj256EliEEvT1_PKT0_PS1_S5_
; %bb.0:
	s_load_b32 s28, s[0:1], 0x0
	v_lshl_or_b32 v4, s15, 8, v0
	s_mov_b32 s2, exec_lo
	s_waitcnt lgkmcnt(0)
	s_delay_alu instid0(VALU_DEP_1)
	v_cmpx_gt_i32_e64 s28, v4
	s_cbranch_execz .LBB3_5
; %bb.1:
	s_clause 0x2
	s_load_b128 s[4:7], s[0:1], 0x8
	s_load_b64 s[2:3], s[0:1], 0x18
	s_load_b32 s0, s[0:1], 0x20
	v_dual_mov_b32 v7, 0 :: v_dual_mov_b32 v8, 1
	s_mov_b32 s8, 0x55555555
	s_mov_b32 s10, 0x6b47b09a
	;; [unrolled: 1-line block ×18, first 2 shown]
	s_waitcnt lgkmcnt(0)
	s_lshl_b32 s1, s0, 8
	s_mov_b32 s29, 0
	s_mov_b32 s26, 0x55555780
	s_branch .LBB3_3
.LBB3_2:                                ;   in Loop: Header=BB3_3 Depth=1
	s_or_b32 exec_lo, exec_lo, s0
	s_delay_alu instid0(VALU_DEP_1) | instskip(NEXT) | instid1(VALU_DEP_1)
	v_lshlrev_b64 v[0:1], 2, v[6:7]
	v_add_co_u32 v0, vcc_lo, s2, v0
	s_delay_alu instid0(VALU_DEP_2) | instskip(SKIP_3) | instid1(VALU_DEP_1)
	v_add_co_ci_u32_e32 v1, vcc_lo, s3, v1, vcc_lo
	global_atomic_add_u32 v2, v[0:1], v8, off glc
	v_lshlrev_b64 v[0:1], 2, v[4:5]
	v_add_nc_u32_e32 v4, s1, v4
	v_cmp_le_i32_e32 vcc_lo, s28, v4
	s_delay_alu instid0(VALU_DEP_3) | instskip(NEXT) | instid1(VALU_DEP_1)
	v_add_co_u32 v0, s0, s6, v0
	v_add_co_ci_u32_e64 v1, s0, s7, v1, s0
	s_or_b32 s29, vcc_lo, s29
	s_waitcnt vmcnt(0)
	global_store_b32 v[0:1], v2, off
	s_and_not1_b32 exec_lo, exec_lo, s29
	s_cbranch_execz .LBB3_5
.LBB3_3:                                ; =>This Inner Loop Header: Depth=1
	v_ashrrev_i32_e32 v5, 31, v4
	v_mov_b32_e32 v6, 0
	s_mov_b32 s0, exec_lo
	s_delay_alu instid0(VALU_DEP_2) | instskip(NEXT) | instid1(VALU_DEP_1)
	v_lshlrev_b64 v[0:1], 3, v[4:5]
	v_add_co_u32 v0, vcc_lo, s4, v0
	s_delay_alu instid0(VALU_DEP_2)
	v_add_co_ci_u32_e32 v1, vcc_lo, s5, v1, vcc_lo
	global_load_b128 v[0:3], v[0:1], off
	s_waitcnt vmcnt(0)
	v_cmpx_ne_u64_e64 v[2:3], v[0:1]
	s_cbranch_execz .LBB3_2
; %bb.4:                                ;   in Loop: Header=BB3_3 Depth=1
	v_sub_co_u32 v0, vcc_lo, v2, v0
	v_sub_co_ci_u32_e32 v1, vcc_lo, v3, v1, vcc_lo
	s_mov_b32 s27, s9
	s_delay_alu instid0(VALU_DEP_2) | instskip(NEXT) | instid1(VALU_DEP_2)
	v_cvt_f64_u32_e32 v[9:10], v0
	v_cvt_f64_i32_e32 v[2:3], v1
	s_delay_alu instid0(VALU_DEP_1) | instskip(NEXT) | instid1(VALU_DEP_1)
	v_ldexp_f64 v[2:3], v[2:3], 32
	v_add_f64 v[2:3], v[2:3], v[9:10]
	s_delay_alu instid0(VALU_DEP_1) | instskip(SKIP_1) | instid1(VALU_DEP_2)
	v_frexp_mant_f64_e32 v[9:10], v[2:3]
	v_frexp_exp_i32_f64_e32 v6, v[2:3]
	v_cmp_gt_f64_e32 vcc_lo, s[8:9], v[9:10]
	v_cndmask_b32_e64 v12, 0x3ff00000, 2.0, vcc_lo
	s_delay_alu instid0(VALU_DEP_3) | instskip(SKIP_2) | instid1(VALU_DEP_1)
	v_subrev_co_ci_u32_e32 v6, vcc_lo, 0, v6, vcc_lo
	v_cmp_lt_i64_e32 vcc_lo, -1, v[0:1]
	v_mov_b32_e32 v11, v7
	v_mul_f64 v[9:10], v[9:10], v[11:12]
	s_delay_alu instid0(VALU_DEP_1) | instskip(SKIP_1) | instid1(VALU_DEP_2)
	v_add_f64 v[11:12], v[9:10], 1.0
	v_add_f64 v[17:18], v[9:10], -1.0
	v_rcp_f64_e32 v[13:14], v[11:12]
	v_add_f64 v[19:20], v[11:12], -1.0
	s_delay_alu instid0(VALU_DEP_1) | instskip(SKIP_2) | instid1(VALU_DEP_1)
	v_add_f64 v[9:10], v[9:10], -v[19:20]
	s_waitcnt_depctr 0xfff
	v_fma_f64 v[15:16], -v[11:12], v[13:14], 1.0
	v_fma_f64 v[13:14], v[15:16], v[13:14], v[13:14]
	s_delay_alu instid0(VALU_DEP_1) | instskip(NEXT) | instid1(VALU_DEP_1)
	v_fma_f64 v[15:16], -v[11:12], v[13:14], 1.0
	v_fma_f64 v[13:14], v[15:16], v[13:14], v[13:14]
	s_delay_alu instid0(VALU_DEP_1) | instskip(NEXT) | instid1(VALU_DEP_1)
	v_mul_f64 v[15:16], v[17:18], v[13:14]
	v_mul_f64 v[21:22], v[11:12], v[15:16]
	s_delay_alu instid0(VALU_DEP_1) | instskip(NEXT) | instid1(VALU_DEP_1)
	v_fma_f64 v[11:12], v[15:16], v[11:12], -v[21:22]
	v_fma_f64 v[9:10], v[15:16], v[9:10], v[11:12]
	s_delay_alu instid0(VALU_DEP_1) | instskip(NEXT) | instid1(VALU_DEP_1)
	v_add_f64 v[11:12], v[21:22], v[9:10]
	v_add_f64 v[19:20], v[17:18], -v[11:12]
	v_add_f64 v[21:22], v[11:12], -v[21:22]
	s_delay_alu instid0(VALU_DEP_2) | instskip(NEXT) | instid1(VALU_DEP_2)
	v_add_f64 v[17:18], v[17:18], -v[19:20]
	v_add_f64 v[9:10], v[21:22], -v[9:10]
	s_delay_alu instid0(VALU_DEP_2) | instskip(NEXT) | instid1(VALU_DEP_1)
	v_add_f64 v[11:12], v[17:18], -v[11:12]
	v_add_f64 v[9:10], v[9:10], v[11:12]
	s_delay_alu instid0(VALU_DEP_1) | instskip(NEXT) | instid1(VALU_DEP_1)
	v_add_f64 v[9:10], v[19:20], v[9:10]
	v_mul_f64 v[9:10], v[13:14], v[9:10]
	s_delay_alu instid0(VALU_DEP_1) | instskip(NEXT) | instid1(VALU_DEP_1)
	v_add_f64 v[11:12], v[15:16], v[9:10]
	v_mul_f64 v[13:14], v[11:12], v[11:12]
	s_delay_alu instid0(VALU_DEP_1) | instskip(SKIP_1) | instid1(VALU_DEP_2)
	v_fma_f64 v[17:18], v[13:14], s[12:13], s[10:11]
	v_mul_f64 v[19:20], v[11:12], v[13:14]
	v_fma_f64 v[17:18], v[13:14], v[17:18], s[14:15]
	s_delay_alu instid0(VALU_DEP_1) | instskip(NEXT) | instid1(VALU_DEP_1)
	v_fma_f64 v[17:18], v[13:14], v[17:18], s[16:17]
	v_fma_f64 v[17:18], v[13:14], v[17:18], s[18:19]
	s_delay_alu instid0(VALU_DEP_1) | instskip(NEXT) | instid1(VALU_DEP_1)
	v_fma_f64 v[17:18], v[13:14], v[17:18], s[20:21]
	v_fma_f64 v[13:14], v[13:14], v[17:18], s[26:27]
	v_ldexp_f64 v[17:18], v[11:12], 1
	v_add_f64 v[11:12], v[11:12], -v[15:16]
	s_delay_alu instid0(VALU_DEP_3) | instskip(NEXT) | instid1(VALU_DEP_2)
	v_mul_f64 v[13:14], v[19:20], v[13:14]
	v_add_f64 v[9:10], v[9:10], -v[11:12]
	s_delay_alu instid0(VALU_DEP_2) | instskip(NEXT) | instid1(VALU_DEP_2)
	v_add_f64 v[15:16], v[17:18], v[13:14]
	v_ldexp_f64 v[9:10], v[9:10], 1
	s_delay_alu instid0(VALU_DEP_2) | instskip(NEXT) | instid1(VALU_DEP_1)
	v_add_f64 v[11:12], v[15:16], -v[17:18]
	v_add_f64 v[11:12], v[13:14], -v[11:12]
	s_delay_alu instid0(VALU_DEP_1) | instskip(NEXT) | instid1(VALU_DEP_1)
	v_add_f64 v[9:10], v[9:10], v[11:12]
	v_add_f64 v[11:12], v[15:16], v[9:10]
	s_delay_alu instid0(VALU_DEP_1) | instskip(SKIP_1) | instid1(VALU_DEP_2)
	v_add_f64 v[13:14], v[11:12], -v[15:16]
	v_mul_f64 v[15:16], v[11:12], s[22:23]
	v_add_f64 v[9:10], v[9:10], -v[13:14]
	s_delay_alu instid0(VALU_DEP_2) | instskip(NEXT) | instid1(VALU_DEP_1)
	v_fma_f64 v[13:14], v[11:12], s[22:23], -v[15:16]
	v_fma_f64 v[9:10], v[9:10], s[22:23], v[13:14]
	s_delay_alu instid0(VALU_DEP_1) | instskip(SKIP_1) | instid1(VALU_DEP_2)
	v_fma_f64 v[2:3], v[11:12], s[24:25], v[9:10]
	v_cvt_f64_i32_e32 v[9:10], v6
	v_add_f64 v[11:12], v[15:16], v[2:3]
	s_delay_alu instid0(VALU_DEP_1) | instskip(SKIP_1) | instid1(VALU_DEP_2)
	v_add_f64 v[13:14], v[11:12], v[9:10]
	v_add_f64 v[15:16], v[11:12], -v[15:16]
	v_add_f64 v[17:18], v[13:14], -v[9:10]
	s_delay_alu instid0(VALU_DEP_2) | instskip(NEXT) | instid1(VALU_DEP_2)
	v_add_f64 v[2:3], v[2:3], -v[15:16]
	v_add_f64 v[19:20], v[17:18], -v[13:14]
	;; [unrolled: 1-line block ×3, first 2 shown]
	s_delay_alu instid0(VALU_DEP_2) | instskip(NEXT) | instid1(VALU_DEP_1)
	v_add_f64 v[9:10], v[19:20], v[9:10]
	v_add_f64 v[9:10], v[11:12], v[9:10]
	s_delay_alu instid0(VALU_DEP_1) | instskip(NEXT) | instid1(VALU_DEP_1)
	v_add_f64 v[2:3], v[2:3], v[9:10]
	v_add_f64 v[2:3], v[13:14], v[2:3]
	s_delay_alu instid0(VALU_DEP_1) | instskip(NEXT) | instid1(VALU_DEP_2)
	v_cndmask_b32_e32 v0, 0, v2, vcc_lo
	v_cndmask_b32_e32 v1, 0x7ff80000, v3, vcc_lo
	s_delay_alu instid0(VALU_DEP_1) | instskip(NEXT) | instid1(VALU_DEP_1)
	v_ceil_f64_e32 v[0:1], v[0:1]
	v_cvt_u32_f64_e32 v6, v[0:1]
	s_branch .LBB3_2
.LBB3_5:
	s_nop 0
	s_sendmsg sendmsg(MSG_DEALLOC_VGPRS)
	s_endpgm
	.section	.rodata,"a",@progbits
	.p2align	6, 0x0
	.amdhsa_kernel _ZN9rocsparseL46csrmvn_preprocess_device_32_bins_3phase_phase1ILj256EliEEvT1_PKT0_PS1_S5_
		.amdhsa_group_segment_fixed_size 0
		.amdhsa_private_segment_fixed_size 0
		.amdhsa_kernarg_size 288
		.amdhsa_user_sgpr_count 15
		.amdhsa_user_sgpr_dispatch_ptr 0
		.amdhsa_user_sgpr_queue_ptr 0
		.amdhsa_user_sgpr_kernarg_segment_ptr 1
		.amdhsa_user_sgpr_dispatch_id 0
		.amdhsa_user_sgpr_private_segment_size 0
		.amdhsa_wavefront_size32 1
		.amdhsa_uses_dynamic_stack 0
		.amdhsa_enable_private_segment 0
		.amdhsa_system_sgpr_workgroup_id_x 1
		.amdhsa_system_sgpr_workgroup_id_y 0
		.amdhsa_system_sgpr_workgroup_id_z 0
		.amdhsa_system_sgpr_workgroup_info 0
		.amdhsa_system_vgpr_workitem_id 0
		.amdhsa_next_free_vgpr 23
		.amdhsa_next_free_sgpr 30
		.amdhsa_reserve_vcc 1
		.amdhsa_float_round_mode_32 0
		.amdhsa_float_round_mode_16_64 0
		.amdhsa_float_denorm_mode_32 3
		.amdhsa_float_denorm_mode_16_64 3
		.amdhsa_dx10_clamp 1
		.amdhsa_ieee_mode 1
		.amdhsa_fp16_overflow 0
		.amdhsa_workgroup_processor_mode 1
		.amdhsa_memory_ordered 1
		.amdhsa_forward_progress 0
		.amdhsa_shared_vgpr_count 0
		.amdhsa_exception_fp_ieee_invalid_op 0
		.amdhsa_exception_fp_denorm_src 0
		.amdhsa_exception_fp_ieee_div_zero 0
		.amdhsa_exception_fp_ieee_overflow 0
		.amdhsa_exception_fp_ieee_underflow 0
		.amdhsa_exception_fp_ieee_inexact 0
		.amdhsa_exception_int_div_zero 0
	.end_amdhsa_kernel
	.section	.text._ZN9rocsparseL46csrmvn_preprocess_device_32_bins_3phase_phase1ILj256EliEEvT1_PKT0_PS1_S5_,"axG",@progbits,_ZN9rocsparseL46csrmvn_preprocess_device_32_bins_3phase_phase1ILj256EliEEvT1_PKT0_PS1_S5_,comdat
.Lfunc_end3:
	.size	_ZN9rocsparseL46csrmvn_preprocess_device_32_bins_3phase_phase1ILj256EliEEvT1_PKT0_PS1_S5_, .Lfunc_end3-_ZN9rocsparseL46csrmvn_preprocess_device_32_bins_3phase_phase1ILj256EliEEvT1_PKT0_PS1_S5_
                                        ; -- End function
	.section	.AMDGPU.csdata,"",@progbits
; Kernel info:
; codeLenInByte = 1116
; NumSgprs: 32
; NumVgprs: 23
; ScratchSize: 0
; MemoryBound: 0
; FloatMode: 240
; IeeeMode: 1
; LDSByteSize: 0 bytes/workgroup (compile time only)
; SGPRBlocks: 3
; VGPRBlocks: 2
; NumSGPRsForWavesPerEU: 32
; NumVGPRsForWavesPerEU: 23
; Occupancy: 16
; WaveLimiterHint : 0
; COMPUTE_PGM_RSRC2:SCRATCH_EN: 0
; COMPUTE_PGM_RSRC2:USER_SGPR: 15
; COMPUTE_PGM_RSRC2:TRAP_HANDLER: 0
; COMPUTE_PGM_RSRC2:TGID_X_EN: 1
; COMPUTE_PGM_RSRC2:TGID_Y_EN: 0
; COMPUTE_PGM_RSRC2:TGID_Z_EN: 0
; COMPUTE_PGM_RSRC2:TIDIG_COMP_CNT: 0
	.section	.text._ZN9rocsparseL46csrmvn_preprocess_device_32_bins_3phase_phase3ILj256EliEEvT1_PKT0_PKS1_S6_PS1_,"axG",@progbits,_ZN9rocsparseL46csrmvn_preprocess_device_32_bins_3phase_phase3ILj256EliEEvT1_PKT0_PKS1_S6_PS1_,comdat
	.globl	_ZN9rocsparseL46csrmvn_preprocess_device_32_bins_3phase_phase3ILj256EliEEvT1_PKT0_PKS1_S6_PS1_ ; -- Begin function _ZN9rocsparseL46csrmvn_preprocess_device_32_bins_3phase_phase3ILj256EliEEvT1_PKT0_PKS1_S6_PS1_
	.p2align	8
	.type	_ZN9rocsparseL46csrmvn_preprocess_device_32_bins_3phase_phase3ILj256EliEEvT1_PKT0_PKS1_S6_PS1_,@function
_ZN9rocsparseL46csrmvn_preprocess_device_32_bins_3phase_phase3ILj256EliEEvT1_PKT0_PKS1_S6_PS1_: ; @_ZN9rocsparseL46csrmvn_preprocess_device_32_bins_3phase_phase3ILj256EliEEvT1_PKT0_PKS1_S6_PS1_
; %bb.0:
	s_load_b32 s28, s[0:1], 0x0
	v_lshl_or_b32 v4, s15, 8, v0
	s_mov_b32 s2, exec_lo
	s_waitcnt lgkmcnt(0)
	s_delay_alu instid0(VALU_DEP_1)
	v_cmpx_gt_i32_e64 s28, v4
	s_cbranch_execz .LBB4_5
; %bb.1:
	s_clause 0x1
	s_load_b256 s[4:11], s[0:1], 0x8
	s_load_b32 s26, s[0:1], 0x28
	v_mov_b32_e32 v7, 0
	s_mov_b32 s0, 0x55555555
	s_mov_b32 s2, 0x6b47b09a
	;; [unrolled: 1-line block ×18, first 2 shown]
	s_waitcnt lgkmcnt(0)
	s_lshl_b32 s29, s26, 8
	s_mov_b32 s30, 0
	s_mov_b32 s26, 0x55555780
	s_branch .LBB4_3
.LBB4_2:                                ;   in Loop: Header=BB4_3 Depth=1
	s_or_b32 exec_lo, exec_lo, s31
	s_delay_alu instid0(VALU_DEP_1) | instskip(SKIP_1) | instid1(VALU_DEP_2)
	v_lshlrev_b64 v[0:1], 2, v[6:7]
	v_lshlrev_b64 v[2:3], 2, v[4:5]
	v_add_co_u32 v0, vcc_lo, s8, v0
	s_delay_alu instid0(VALU_DEP_3) | instskip(NEXT) | instid1(VALU_DEP_3)
	v_add_co_ci_u32_e32 v1, vcc_lo, s9, v1, vcc_lo
	v_add_co_u32 v2, vcc_lo, s6, v2
	s_delay_alu instid0(VALU_DEP_4) | instskip(SKIP_4) | instid1(VALU_DEP_1)
	v_add_co_ci_u32_e32 v3, vcc_lo, s7, v3, vcc_lo
	global_load_b32 v0, v[0:1], off
	global_load_b32 v1, v[2:3], off
	s_waitcnt vmcnt(0)
	v_add_nc_u32_e32 v0, v1, v0
	v_ashrrev_i32_e32 v1, 31, v0
	s_delay_alu instid0(VALU_DEP_1) | instskip(NEXT) | instid1(VALU_DEP_1)
	v_lshlrev_b64 v[0:1], 2, v[0:1]
	v_add_co_u32 v0, vcc_lo, s10, v0
	s_delay_alu instid0(VALU_DEP_2) | instskip(SKIP_2) | instid1(VALU_DEP_1)
	v_add_co_ci_u32_e32 v1, vcc_lo, s11, v1, vcc_lo
	global_store_b32 v[0:1], v4, off
	v_add_nc_u32_e32 v4, s29, v4
	v_cmp_le_i32_e32 vcc_lo, s28, v4
	s_or_b32 s30, vcc_lo, s30
	s_delay_alu instid0(SALU_CYCLE_1)
	s_and_not1_b32 exec_lo, exec_lo, s30
	s_cbranch_execz .LBB4_5
.LBB4_3:                                ; =>This Inner Loop Header: Depth=1
	v_ashrrev_i32_e32 v5, 31, v4
	v_mov_b32_e32 v6, 0
	s_mov_b32 s31, exec_lo
	s_delay_alu instid0(VALU_DEP_2) | instskip(NEXT) | instid1(VALU_DEP_1)
	v_lshlrev_b64 v[0:1], 3, v[4:5]
	v_add_co_u32 v0, vcc_lo, s4, v0
	s_delay_alu instid0(VALU_DEP_2)
	v_add_co_ci_u32_e32 v1, vcc_lo, s5, v1, vcc_lo
	global_load_b128 v[0:3], v[0:1], off
	s_waitcnt vmcnt(0)
	v_cmpx_ne_u64_e64 v[2:3], v[0:1]
	s_cbranch_execz .LBB4_2
; %bb.4:                                ;   in Loop: Header=BB4_3 Depth=1
	v_sub_co_u32 v0, vcc_lo, v2, v0
	v_sub_co_ci_u32_e32 v1, vcc_lo, v3, v1, vcc_lo
	s_mov_b32 s27, s1
	s_delay_alu instid0(VALU_DEP_2) | instskip(NEXT) | instid1(VALU_DEP_2)
	v_cvt_f64_u32_e32 v[8:9], v0
	v_cvt_f64_i32_e32 v[2:3], v1
	s_delay_alu instid0(VALU_DEP_1) | instskip(NEXT) | instid1(VALU_DEP_1)
	v_ldexp_f64 v[2:3], v[2:3], 32
	v_add_f64 v[2:3], v[2:3], v[8:9]
	s_delay_alu instid0(VALU_DEP_1) | instskip(SKIP_1) | instid1(VALU_DEP_2)
	v_frexp_mant_f64_e32 v[8:9], v[2:3]
	v_frexp_exp_i32_f64_e32 v6, v[2:3]
	v_cmp_gt_f64_e32 vcc_lo, s[0:1], v[8:9]
	v_cndmask_b32_e64 v11, 0x3ff00000, 2.0, vcc_lo
	s_delay_alu instid0(VALU_DEP_3) | instskip(SKIP_2) | instid1(VALU_DEP_1)
	v_subrev_co_ci_u32_e32 v6, vcc_lo, 0, v6, vcc_lo
	v_cmp_lt_i64_e32 vcc_lo, -1, v[0:1]
	v_mov_b32_e32 v10, v7
	v_mul_f64 v[8:9], v[8:9], v[10:11]
	s_delay_alu instid0(VALU_DEP_1) | instskip(SKIP_1) | instid1(VALU_DEP_2)
	v_add_f64 v[10:11], v[8:9], 1.0
	v_add_f64 v[16:17], v[8:9], -1.0
	v_rcp_f64_e32 v[12:13], v[10:11]
	v_add_f64 v[18:19], v[10:11], -1.0
	s_delay_alu instid0(VALU_DEP_1) | instskip(SKIP_2) | instid1(VALU_DEP_1)
	v_add_f64 v[8:9], v[8:9], -v[18:19]
	s_waitcnt_depctr 0xfff
	v_fma_f64 v[14:15], -v[10:11], v[12:13], 1.0
	v_fma_f64 v[12:13], v[14:15], v[12:13], v[12:13]
	s_delay_alu instid0(VALU_DEP_1) | instskip(NEXT) | instid1(VALU_DEP_1)
	v_fma_f64 v[14:15], -v[10:11], v[12:13], 1.0
	v_fma_f64 v[12:13], v[14:15], v[12:13], v[12:13]
	s_delay_alu instid0(VALU_DEP_1) | instskip(NEXT) | instid1(VALU_DEP_1)
	v_mul_f64 v[14:15], v[16:17], v[12:13]
	v_mul_f64 v[20:21], v[10:11], v[14:15]
	s_delay_alu instid0(VALU_DEP_1) | instskip(NEXT) | instid1(VALU_DEP_1)
	v_fma_f64 v[10:11], v[14:15], v[10:11], -v[20:21]
	v_fma_f64 v[8:9], v[14:15], v[8:9], v[10:11]
	s_delay_alu instid0(VALU_DEP_1) | instskip(NEXT) | instid1(VALU_DEP_1)
	v_add_f64 v[10:11], v[20:21], v[8:9]
	v_add_f64 v[18:19], v[16:17], -v[10:11]
	v_add_f64 v[20:21], v[10:11], -v[20:21]
	s_delay_alu instid0(VALU_DEP_2) | instskip(NEXT) | instid1(VALU_DEP_2)
	v_add_f64 v[16:17], v[16:17], -v[18:19]
	v_add_f64 v[8:9], v[20:21], -v[8:9]
	s_delay_alu instid0(VALU_DEP_2) | instskip(NEXT) | instid1(VALU_DEP_1)
	v_add_f64 v[10:11], v[16:17], -v[10:11]
	v_add_f64 v[8:9], v[8:9], v[10:11]
	s_delay_alu instid0(VALU_DEP_1) | instskip(NEXT) | instid1(VALU_DEP_1)
	v_add_f64 v[8:9], v[18:19], v[8:9]
	v_mul_f64 v[8:9], v[12:13], v[8:9]
	s_delay_alu instid0(VALU_DEP_1) | instskip(NEXT) | instid1(VALU_DEP_1)
	v_add_f64 v[10:11], v[14:15], v[8:9]
	v_mul_f64 v[12:13], v[10:11], v[10:11]
	s_delay_alu instid0(VALU_DEP_1) | instskip(SKIP_1) | instid1(VALU_DEP_2)
	v_fma_f64 v[16:17], v[12:13], s[12:13], s[2:3]
	v_mul_f64 v[18:19], v[10:11], v[12:13]
	v_fma_f64 v[16:17], v[12:13], v[16:17], s[14:15]
	s_delay_alu instid0(VALU_DEP_1) | instskip(NEXT) | instid1(VALU_DEP_1)
	v_fma_f64 v[16:17], v[12:13], v[16:17], s[16:17]
	v_fma_f64 v[16:17], v[12:13], v[16:17], s[18:19]
	s_delay_alu instid0(VALU_DEP_1) | instskip(NEXT) | instid1(VALU_DEP_1)
	v_fma_f64 v[16:17], v[12:13], v[16:17], s[20:21]
	v_fma_f64 v[12:13], v[12:13], v[16:17], s[26:27]
	v_ldexp_f64 v[16:17], v[10:11], 1
	v_add_f64 v[10:11], v[10:11], -v[14:15]
	s_delay_alu instid0(VALU_DEP_3) | instskip(NEXT) | instid1(VALU_DEP_2)
	v_mul_f64 v[12:13], v[18:19], v[12:13]
	v_add_f64 v[8:9], v[8:9], -v[10:11]
	s_delay_alu instid0(VALU_DEP_2) | instskip(NEXT) | instid1(VALU_DEP_2)
	v_add_f64 v[14:15], v[16:17], v[12:13]
	v_ldexp_f64 v[8:9], v[8:9], 1
	s_delay_alu instid0(VALU_DEP_2) | instskip(NEXT) | instid1(VALU_DEP_1)
	v_add_f64 v[10:11], v[14:15], -v[16:17]
	v_add_f64 v[10:11], v[12:13], -v[10:11]
	s_delay_alu instid0(VALU_DEP_1) | instskip(NEXT) | instid1(VALU_DEP_1)
	v_add_f64 v[8:9], v[8:9], v[10:11]
	v_add_f64 v[10:11], v[14:15], v[8:9]
	s_delay_alu instid0(VALU_DEP_1) | instskip(SKIP_1) | instid1(VALU_DEP_2)
	v_add_f64 v[12:13], v[10:11], -v[14:15]
	v_mul_f64 v[14:15], v[10:11], s[22:23]
	v_add_f64 v[8:9], v[8:9], -v[12:13]
	s_delay_alu instid0(VALU_DEP_2) | instskip(NEXT) | instid1(VALU_DEP_1)
	v_fma_f64 v[12:13], v[10:11], s[22:23], -v[14:15]
	v_fma_f64 v[8:9], v[8:9], s[22:23], v[12:13]
	s_delay_alu instid0(VALU_DEP_1) | instskip(SKIP_1) | instid1(VALU_DEP_2)
	v_fma_f64 v[2:3], v[10:11], s[24:25], v[8:9]
	v_cvt_f64_i32_e32 v[8:9], v6
	v_add_f64 v[10:11], v[14:15], v[2:3]
	s_delay_alu instid0(VALU_DEP_1) | instskip(SKIP_1) | instid1(VALU_DEP_2)
	v_add_f64 v[12:13], v[10:11], v[8:9]
	v_add_f64 v[14:15], v[10:11], -v[14:15]
	v_add_f64 v[16:17], v[12:13], -v[8:9]
	s_delay_alu instid0(VALU_DEP_2) | instskip(NEXT) | instid1(VALU_DEP_2)
	v_add_f64 v[2:3], v[2:3], -v[14:15]
	v_add_f64 v[18:19], v[16:17], -v[12:13]
	;; [unrolled: 1-line block ×3, first 2 shown]
	s_delay_alu instid0(VALU_DEP_2) | instskip(NEXT) | instid1(VALU_DEP_1)
	v_add_f64 v[8:9], v[18:19], v[8:9]
	v_add_f64 v[8:9], v[10:11], v[8:9]
	s_delay_alu instid0(VALU_DEP_1) | instskip(NEXT) | instid1(VALU_DEP_1)
	v_add_f64 v[2:3], v[2:3], v[8:9]
	v_add_f64 v[2:3], v[12:13], v[2:3]
	s_delay_alu instid0(VALU_DEP_1) | instskip(NEXT) | instid1(VALU_DEP_2)
	v_cndmask_b32_e32 v1, 0x7ff80000, v3, vcc_lo
	v_cndmask_b32_e32 v0, 0, v2, vcc_lo
	s_delay_alu instid0(VALU_DEP_1) | instskip(NEXT) | instid1(VALU_DEP_1)
	v_ceil_f64_e32 v[0:1], v[0:1]
	v_cvt_u32_f64_e32 v6, v[0:1]
	s_branch .LBB4_2
.LBB4_5:
	s_nop 0
	s_sendmsg sendmsg(MSG_DEALLOC_VGPRS)
	s_endpgm
	.section	.rodata,"a",@progbits
	.p2align	6, 0x0
	.amdhsa_kernel _ZN9rocsparseL46csrmvn_preprocess_device_32_bins_3phase_phase3ILj256EliEEvT1_PKT0_PKS1_S6_PS1_
		.amdhsa_group_segment_fixed_size 0
		.amdhsa_private_segment_fixed_size 0
		.amdhsa_kernarg_size 296
		.amdhsa_user_sgpr_count 15
		.amdhsa_user_sgpr_dispatch_ptr 0
		.amdhsa_user_sgpr_queue_ptr 0
		.amdhsa_user_sgpr_kernarg_segment_ptr 1
		.amdhsa_user_sgpr_dispatch_id 0
		.amdhsa_user_sgpr_private_segment_size 0
		.amdhsa_wavefront_size32 1
		.amdhsa_uses_dynamic_stack 0
		.amdhsa_enable_private_segment 0
		.amdhsa_system_sgpr_workgroup_id_x 1
		.amdhsa_system_sgpr_workgroup_id_y 0
		.amdhsa_system_sgpr_workgroup_id_z 0
		.amdhsa_system_sgpr_workgroup_info 0
		.amdhsa_system_vgpr_workitem_id 0
		.amdhsa_next_free_vgpr 22
		.amdhsa_next_free_sgpr 32
		.amdhsa_reserve_vcc 1
		.amdhsa_float_round_mode_32 0
		.amdhsa_float_round_mode_16_64 0
		.amdhsa_float_denorm_mode_32 3
		.amdhsa_float_denorm_mode_16_64 3
		.amdhsa_dx10_clamp 1
		.amdhsa_ieee_mode 1
		.amdhsa_fp16_overflow 0
		.amdhsa_workgroup_processor_mode 1
		.amdhsa_memory_ordered 1
		.amdhsa_forward_progress 0
		.amdhsa_shared_vgpr_count 0
		.amdhsa_exception_fp_ieee_invalid_op 0
		.amdhsa_exception_fp_denorm_src 0
		.amdhsa_exception_fp_ieee_div_zero 0
		.amdhsa_exception_fp_ieee_overflow 0
		.amdhsa_exception_fp_ieee_underflow 0
		.amdhsa_exception_fp_ieee_inexact 0
		.amdhsa_exception_int_div_zero 0
	.end_amdhsa_kernel
	.section	.text._ZN9rocsparseL46csrmvn_preprocess_device_32_bins_3phase_phase3ILj256EliEEvT1_PKT0_PKS1_S6_PS1_,"axG",@progbits,_ZN9rocsparseL46csrmvn_preprocess_device_32_bins_3phase_phase3ILj256EliEEvT1_PKT0_PKS1_S6_PS1_,comdat
.Lfunc_end4:
	.size	_ZN9rocsparseL46csrmvn_preprocess_device_32_bins_3phase_phase3ILj256EliEEvT1_PKT0_PKS1_S6_PS1_, .Lfunc_end4-_ZN9rocsparseL46csrmvn_preprocess_device_32_bins_3phase_phase3ILj256EliEEvT1_PKT0_PKS1_S6_PS1_
                                        ; -- End function
	.section	.AMDGPU.csdata,"",@progbits
; Kernel info:
; codeLenInByte = 1148
; NumSgprs: 34
; NumVgprs: 22
; ScratchSize: 0
; MemoryBound: 0
; FloatMode: 240
; IeeeMode: 1
; LDSByteSize: 0 bytes/workgroup (compile time only)
; SGPRBlocks: 4
; VGPRBlocks: 2
; NumSGPRsForWavesPerEU: 34
; NumVGPRsForWavesPerEU: 22
; Occupancy: 16
; WaveLimiterHint : 1
; COMPUTE_PGM_RSRC2:SCRATCH_EN: 0
; COMPUTE_PGM_RSRC2:USER_SGPR: 15
; COMPUTE_PGM_RSRC2:TRAP_HANDLER: 0
; COMPUTE_PGM_RSRC2:TGID_X_EN: 1
; COMPUTE_PGM_RSRC2:TGID_Y_EN: 0
; COMPUTE_PGM_RSRC2:TGID_Z_EN: 0
; COMPUTE_PGM_RSRC2:TIDIG_COMP_CNT: 0
	.section	.text._ZN9rocsparseL46csrmvn_preprocess_device_32_bins_3phase_phase1ILj256EllEEvT1_PKT0_PS1_S5_,"axG",@progbits,_ZN9rocsparseL46csrmvn_preprocess_device_32_bins_3phase_phase1ILj256EllEEvT1_PKT0_PS1_S5_,comdat
	.globl	_ZN9rocsparseL46csrmvn_preprocess_device_32_bins_3phase_phase1ILj256EllEEvT1_PKT0_PS1_S5_ ; -- Begin function _ZN9rocsparseL46csrmvn_preprocess_device_32_bins_3phase_phase1ILj256EllEEvT1_PKT0_PS1_S5_
	.p2align	8
	.type	_ZN9rocsparseL46csrmvn_preprocess_device_32_bins_3phase_phase1ILj256EllEEvT1_PKT0_PS1_S5_,@function
_ZN9rocsparseL46csrmvn_preprocess_device_32_bins_3phase_phase1ILj256EllEEvT1_PKT0_PS1_S5_: ; @_ZN9rocsparseL46csrmvn_preprocess_device_32_bins_3phase_phase1ILj256EllEEvT1_PKT0_PS1_S5_
; %bb.0:
	s_load_b256 s[4:11], s[0:1], 0x0
	v_lshl_or_b32 v4, s15, 8, v0
	v_mov_b32_e32 v5, 0
	s_mov_b32 s2, exec_lo
	s_waitcnt lgkmcnt(0)
	s_delay_alu instid0(VALU_DEP_1)
	v_cmpx_gt_i64_e64 s[4:5], v[4:5]
	s_cbranch_execz .LBB5_5
; %bb.1:
	s_load_b32 s0, s[0:1], 0x20
	v_lshlrev_b64 v[6:7], 3, v[4:5]
	v_dual_mov_b32 v9, v5 :: v_dual_mov_b32 v8, v4
	s_mov_b32 s3, 0
	s_mov_b32 s12, 0x55555555
	;; [unrolled: 1-line block ×16, first 2 shown]
	s_waitcnt lgkmcnt(0)
	s_lshl_b32 s2, s0, 8
	s_mov_b32 s25, 0x3fd99999
	s_mov_b32 s27, 0x3ff71547
	;; [unrolled: 1-line block ×3, first 2 shown]
	s_lshl_b64 s[30:31], s[2:3], 3
	s_mov_b32 s34, 0x55555780
	s_branch .LBB5_3
.LBB5_2:                                ;   in Loop: Header=BB5_3 Depth=1
	s_or_b32 exec_lo, exec_lo, s0
	s_delay_alu instid0(VALU_DEP_1) | instskip(SKIP_2) | instid1(VALU_DEP_3)
	v_lshlrev_b64 v[0:1], 3, v[4:5]
	v_mov_b32_e32 v2, 1
	v_mov_b32_e32 v3, 0
	v_add_co_u32 v0, vcc_lo, s10, v0
	s_delay_alu instid0(VALU_DEP_4)
	v_add_co_ci_u32_e32 v1, vcc_lo, s11, v1, vcc_lo
	v_add_co_u32 v8, vcc_lo, v8, s2
	v_add_co_ci_u32_e32 v9, vcc_lo, 0, v9, vcc_lo
	global_atomic_add_u64 v[0:1], v[0:1], v[2:3], off glc
	v_add_co_u32 v2, vcc_lo, s8, v6
	v_add_co_ci_u32_e32 v3, vcc_lo, s9, v7, vcc_lo
	v_cmp_le_i64_e32 vcc_lo, s[4:5], v[8:9]
	v_add_co_u32 v6, s0, v6, s30
	s_delay_alu instid0(VALU_DEP_1)
	v_add_co_ci_u32_e64 v7, s0, s31, v7, s0
	s_or_b32 s3, vcc_lo, s3
	s_waitcnt vmcnt(0)
	global_store_b64 v[2:3], v[0:1], off
	s_and_not1_b32 exec_lo, exec_lo, s3
	s_cbranch_execz .LBB5_5
.LBB5_3:                                ; =>This Inner Loop Header: Depth=1
	v_add_co_u32 v0, vcc_lo, s6, v6
	v_add_co_ci_u32_e32 v1, vcc_lo, s7, v7, vcc_lo
	v_mov_b32_e32 v4, 0
	s_mov_b32 s0, exec_lo
	global_load_b128 v[0:3], v[0:1], off
	s_waitcnt vmcnt(0)
	v_cmpx_ne_u64_e64 v[2:3], v[0:1]
	s_cbranch_execz .LBB5_2
; %bb.4:                                ;   in Loop: Header=BB5_3 Depth=1
	v_sub_co_u32 v0, vcc_lo, v2, v0
	v_sub_co_ci_u32_e32 v1, vcc_lo, v3, v1, vcc_lo
	s_mov_b32 s35, s13
	s_delay_alu instid0(VALU_DEP_2) | instskip(NEXT) | instid1(VALU_DEP_2)
	v_cvt_f64_u32_e32 v[10:11], v0
	v_cvt_f64_i32_e32 v[2:3], v1
	s_delay_alu instid0(VALU_DEP_1) | instskip(NEXT) | instid1(VALU_DEP_1)
	v_ldexp_f64 v[2:3], v[2:3], 32
	v_add_f64 v[2:3], v[2:3], v[10:11]
	s_delay_alu instid0(VALU_DEP_1) | instskip(SKIP_1) | instid1(VALU_DEP_2)
	v_frexp_mant_f64_e32 v[10:11], v[2:3]
	v_frexp_exp_i32_f64_e32 v4, v[2:3]
	v_cmp_gt_f64_e32 vcc_lo, s[12:13], v[10:11]
	v_cndmask_b32_e64 v13, 0x3ff00000, 2.0, vcc_lo
	s_delay_alu instid0(VALU_DEP_3) | instskip(SKIP_2) | instid1(VALU_DEP_1)
	v_subrev_co_ci_u32_e32 v4, vcc_lo, 0, v4, vcc_lo
	v_cmp_lt_i64_e32 vcc_lo, -1, v[0:1]
	v_mov_b32_e32 v12, v5
	v_mul_f64 v[10:11], v[10:11], v[12:13]
	s_delay_alu instid0(VALU_DEP_1) | instskip(SKIP_1) | instid1(VALU_DEP_2)
	v_add_f64 v[12:13], v[10:11], 1.0
	v_add_f64 v[18:19], v[10:11], -1.0
	v_rcp_f64_e32 v[14:15], v[12:13]
	v_add_f64 v[20:21], v[12:13], -1.0
	s_delay_alu instid0(VALU_DEP_1) | instskip(SKIP_2) | instid1(VALU_DEP_1)
	v_add_f64 v[10:11], v[10:11], -v[20:21]
	s_waitcnt_depctr 0xfff
	v_fma_f64 v[16:17], -v[12:13], v[14:15], 1.0
	v_fma_f64 v[14:15], v[16:17], v[14:15], v[14:15]
	s_delay_alu instid0(VALU_DEP_1) | instskip(NEXT) | instid1(VALU_DEP_1)
	v_fma_f64 v[16:17], -v[12:13], v[14:15], 1.0
	v_fma_f64 v[14:15], v[16:17], v[14:15], v[14:15]
	s_delay_alu instid0(VALU_DEP_1) | instskip(NEXT) | instid1(VALU_DEP_1)
	v_mul_f64 v[16:17], v[18:19], v[14:15]
	v_mul_f64 v[22:23], v[12:13], v[16:17]
	s_delay_alu instid0(VALU_DEP_1) | instskip(NEXT) | instid1(VALU_DEP_1)
	v_fma_f64 v[12:13], v[16:17], v[12:13], -v[22:23]
	v_fma_f64 v[10:11], v[16:17], v[10:11], v[12:13]
	s_delay_alu instid0(VALU_DEP_1) | instskip(NEXT) | instid1(VALU_DEP_1)
	v_add_f64 v[12:13], v[22:23], v[10:11]
	v_add_f64 v[20:21], v[18:19], -v[12:13]
	v_add_f64 v[22:23], v[12:13], -v[22:23]
	s_delay_alu instid0(VALU_DEP_2) | instskip(NEXT) | instid1(VALU_DEP_2)
	v_add_f64 v[18:19], v[18:19], -v[20:21]
	v_add_f64 v[10:11], v[22:23], -v[10:11]
	s_delay_alu instid0(VALU_DEP_2) | instskip(NEXT) | instid1(VALU_DEP_1)
	v_add_f64 v[12:13], v[18:19], -v[12:13]
	v_add_f64 v[10:11], v[10:11], v[12:13]
	s_delay_alu instid0(VALU_DEP_1) | instskip(NEXT) | instid1(VALU_DEP_1)
	v_add_f64 v[10:11], v[20:21], v[10:11]
	v_mul_f64 v[10:11], v[14:15], v[10:11]
	s_delay_alu instid0(VALU_DEP_1) | instskip(NEXT) | instid1(VALU_DEP_1)
	v_add_f64 v[12:13], v[16:17], v[10:11]
	v_mul_f64 v[14:15], v[12:13], v[12:13]
	s_delay_alu instid0(VALU_DEP_1) | instskip(SKIP_1) | instid1(VALU_DEP_2)
	v_fma_f64 v[18:19], v[14:15], s[16:17], s[14:15]
	v_mul_f64 v[20:21], v[12:13], v[14:15]
	v_fma_f64 v[18:19], v[14:15], v[18:19], s[18:19]
	s_delay_alu instid0(VALU_DEP_1) | instskip(NEXT) | instid1(VALU_DEP_1)
	v_fma_f64 v[18:19], v[14:15], v[18:19], s[20:21]
	v_fma_f64 v[18:19], v[14:15], v[18:19], s[22:23]
	s_delay_alu instid0(VALU_DEP_1) | instskip(NEXT) | instid1(VALU_DEP_1)
	v_fma_f64 v[18:19], v[14:15], v[18:19], s[24:25]
	v_fma_f64 v[14:15], v[14:15], v[18:19], s[34:35]
	v_ldexp_f64 v[18:19], v[12:13], 1
	v_add_f64 v[12:13], v[12:13], -v[16:17]
	s_delay_alu instid0(VALU_DEP_3) | instskip(NEXT) | instid1(VALU_DEP_2)
	v_mul_f64 v[14:15], v[20:21], v[14:15]
	v_add_f64 v[10:11], v[10:11], -v[12:13]
	s_delay_alu instid0(VALU_DEP_2) | instskip(NEXT) | instid1(VALU_DEP_2)
	v_add_f64 v[16:17], v[18:19], v[14:15]
	v_ldexp_f64 v[10:11], v[10:11], 1
	s_delay_alu instid0(VALU_DEP_2) | instskip(NEXT) | instid1(VALU_DEP_1)
	v_add_f64 v[12:13], v[16:17], -v[18:19]
	v_add_f64 v[12:13], v[14:15], -v[12:13]
	s_delay_alu instid0(VALU_DEP_1) | instskip(NEXT) | instid1(VALU_DEP_1)
	v_add_f64 v[10:11], v[10:11], v[12:13]
	v_add_f64 v[12:13], v[16:17], v[10:11]
	s_delay_alu instid0(VALU_DEP_1) | instskip(SKIP_1) | instid1(VALU_DEP_2)
	v_add_f64 v[14:15], v[12:13], -v[16:17]
	v_mul_f64 v[16:17], v[12:13], s[26:27]
	v_add_f64 v[10:11], v[10:11], -v[14:15]
	s_delay_alu instid0(VALU_DEP_2) | instskip(NEXT) | instid1(VALU_DEP_1)
	v_fma_f64 v[14:15], v[12:13], s[26:27], -v[16:17]
	v_fma_f64 v[10:11], v[10:11], s[26:27], v[14:15]
	s_delay_alu instid0(VALU_DEP_1) | instskip(SKIP_1) | instid1(VALU_DEP_2)
	v_fma_f64 v[2:3], v[12:13], s[28:29], v[10:11]
	v_cvt_f64_i32_e32 v[10:11], v4
	v_add_f64 v[12:13], v[16:17], v[2:3]
	s_delay_alu instid0(VALU_DEP_1) | instskip(SKIP_1) | instid1(VALU_DEP_2)
	v_add_f64 v[14:15], v[12:13], v[10:11]
	v_add_f64 v[16:17], v[12:13], -v[16:17]
	v_add_f64 v[18:19], v[14:15], -v[10:11]
	s_delay_alu instid0(VALU_DEP_2) | instskip(NEXT) | instid1(VALU_DEP_2)
	v_add_f64 v[2:3], v[2:3], -v[16:17]
	v_add_f64 v[20:21], v[18:19], -v[14:15]
	;; [unrolled: 1-line block ×3, first 2 shown]
	s_delay_alu instid0(VALU_DEP_2) | instskip(NEXT) | instid1(VALU_DEP_1)
	v_add_f64 v[10:11], v[20:21], v[10:11]
	v_add_f64 v[10:11], v[12:13], v[10:11]
	s_delay_alu instid0(VALU_DEP_1) | instskip(NEXT) | instid1(VALU_DEP_1)
	v_add_f64 v[2:3], v[2:3], v[10:11]
	v_add_f64 v[2:3], v[14:15], v[2:3]
	s_delay_alu instid0(VALU_DEP_1) | instskip(NEXT) | instid1(VALU_DEP_2)
	v_cndmask_b32_e32 v1, 0x7ff80000, v3, vcc_lo
	v_cndmask_b32_e32 v0, 0, v2, vcc_lo
	s_delay_alu instid0(VALU_DEP_1) | instskip(NEXT) | instid1(VALU_DEP_1)
	v_ceil_f64_e32 v[0:1], v[0:1]
	v_cvt_u32_f64_e32 v4, v[0:1]
	s_branch .LBB5_2
.LBB5_5:
	s_nop 0
	s_sendmsg sendmsg(MSG_DEALLOC_VGPRS)
	s_endpgm
	.section	.rodata,"a",@progbits
	.p2align	6, 0x0
	.amdhsa_kernel _ZN9rocsparseL46csrmvn_preprocess_device_32_bins_3phase_phase1ILj256EllEEvT1_PKT0_PS1_S5_
		.amdhsa_group_segment_fixed_size 0
		.amdhsa_private_segment_fixed_size 0
		.amdhsa_kernarg_size 288
		.amdhsa_user_sgpr_count 15
		.amdhsa_user_sgpr_dispatch_ptr 0
		.amdhsa_user_sgpr_queue_ptr 0
		.amdhsa_user_sgpr_kernarg_segment_ptr 1
		.amdhsa_user_sgpr_dispatch_id 0
		.amdhsa_user_sgpr_private_segment_size 0
		.amdhsa_wavefront_size32 1
		.amdhsa_uses_dynamic_stack 0
		.amdhsa_enable_private_segment 0
		.amdhsa_system_sgpr_workgroup_id_x 1
		.amdhsa_system_sgpr_workgroup_id_y 0
		.amdhsa_system_sgpr_workgroup_id_z 0
		.amdhsa_system_sgpr_workgroup_info 0
		.amdhsa_system_vgpr_workitem_id 0
		.amdhsa_next_free_vgpr 24
		.amdhsa_next_free_sgpr 36
		.amdhsa_reserve_vcc 1
		.amdhsa_float_round_mode_32 0
		.amdhsa_float_round_mode_16_64 0
		.amdhsa_float_denorm_mode_32 3
		.amdhsa_float_denorm_mode_16_64 3
		.amdhsa_dx10_clamp 1
		.amdhsa_ieee_mode 1
		.amdhsa_fp16_overflow 0
		.amdhsa_workgroup_processor_mode 1
		.amdhsa_memory_ordered 1
		.amdhsa_forward_progress 0
		.amdhsa_shared_vgpr_count 0
		.amdhsa_exception_fp_ieee_invalid_op 0
		.amdhsa_exception_fp_denorm_src 0
		.amdhsa_exception_fp_ieee_div_zero 0
		.amdhsa_exception_fp_ieee_overflow 0
		.amdhsa_exception_fp_ieee_underflow 0
		.amdhsa_exception_fp_ieee_inexact 0
		.amdhsa_exception_int_div_zero 0
	.end_amdhsa_kernel
	.section	.text._ZN9rocsparseL46csrmvn_preprocess_device_32_bins_3phase_phase1ILj256EllEEvT1_PKT0_PS1_S5_,"axG",@progbits,_ZN9rocsparseL46csrmvn_preprocess_device_32_bins_3phase_phase1ILj256EllEEvT1_PKT0_PS1_S5_,comdat
.Lfunc_end5:
	.size	_ZN9rocsparseL46csrmvn_preprocess_device_32_bins_3phase_phase1ILj256EllEEvT1_PKT0_PS1_S5_, .Lfunc_end5-_ZN9rocsparseL46csrmvn_preprocess_device_32_bins_3phase_phase1ILj256EllEEvT1_PKT0_PS1_S5_
                                        ; -- End function
	.section	.AMDGPU.csdata,"",@progbits
; Kernel info:
; codeLenInByte = 1112
; NumSgprs: 38
; NumVgprs: 24
; ScratchSize: 0
; MemoryBound: 0
; FloatMode: 240
; IeeeMode: 1
; LDSByteSize: 0 bytes/workgroup (compile time only)
; SGPRBlocks: 4
; VGPRBlocks: 2
; NumSGPRsForWavesPerEU: 38
; NumVGPRsForWavesPerEU: 24
; Occupancy: 16
; WaveLimiterHint : 0
; COMPUTE_PGM_RSRC2:SCRATCH_EN: 0
; COMPUTE_PGM_RSRC2:USER_SGPR: 15
; COMPUTE_PGM_RSRC2:TRAP_HANDLER: 0
; COMPUTE_PGM_RSRC2:TGID_X_EN: 1
; COMPUTE_PGM_RSRC2:TGID_Y_EN: 0
; COMPUTE_PGM_RSRC2:TGID_Z_EN: 0
; COMPUTE_PGM_RSRC2:TIDIG_COMP_CNT: 0
	.section	.text._ZN9rocsparseL46csrmvn_preprocess_device_32_bins_3phase_phase2IlEEvPT_,"axG",@progbits,_ZN9rocsparseL46csrmvn_preprocess_device_32_bins_3phase_phase2IlEEvPT_,comdat
	.globl	_ZN9rocsparseL46csrmvn_preprocess_device_32_bins_3phase_phase2IlEEvPT_ ; -- Begin function _ZN9rocsparseL46csrmvn_preprocess_device_32_bins_3phase_phase2IlEEvPT_
	.p2align	8
	.type	_ZN9rocsparseL46csrmvn_preprocess_device_32_bins_3phase_phase2IlEEvPT_,@function
_ZN9rocsparseL46csrmvn_preprocess_device_32_bins_3phase_phase2IlEEvPT_: ; @_ZN9rocsparseL46csrmvn_preprocess_device_32_bins_3phase_phase2IlEEvPT_
; %bb.0:
	s_load_b64 s[34:35], s[0:1], 0x0
	s_waitcnt lgkmcnt(0)
	s_load_b512 s[16:31], s[34:35], 0x0
	v_mov_b32_e32 v0, 0
	s_clause 0x1
	s_load_b512 s[36:51], s[34:35], 0x40
	s_load_b512 s[0:15], s[34:35], 0x80
	s_waitcnt lgkmcnt(0)
	v_mov_b32_e32 v3, s17
	v_dual_mov_b32 v1, v0 :: v_dual_mov_b32 v2, s16
	s_add_u32 s16, s18, s16
	s_addc_u32 s17, s19, s17
	s_add_u32 s18, s20, s16
	v_dual_mov_b32 v4, s16 :: v_dual_mov_b32 v5, s17
	s_addc_u32 s16, s21, s17
	s_add_u32 s17, s22, s18
	v_dual_mov_b32 v6, s18 :: v_dual_mov_b32 v7, s16
	;; [unrolled: 3-line block ×4, first 2 shown]
	s_addc_u32 s17, s27, s17
	s_add_u32 s18, s28, s16
	s_clause 0x1
	global_store_b128 v0, v[0:3], s[34:35]
	global_store_b128 v0, v[4:7], s[34:35] offset:16
	v_dual_mov_b32 v1, s16 :: v_dual_mov_b32 v2, s17
	s_addc_u32 s16, s29, s17
	s_add_u32 s17, s30, s18
	v_dual_mov_b32 v3, s18 :: v_dual_mov_b32 v4, s16
	s_addc_u32 s16, s31, s16
	s_add_u32 s18, s36, s17
	;; [unrolled: 3-line block ×4, first 2 shown]
	s_clause 0x1
	global_store_b128 v0, v[8:11], s[34:35] offset:32
	global_store_b128 v0, v[1:4], s[34:35] offset:48
	v_dual_mov_b32 v1, s16 :: v_dual_mov_b32 v2, s17
	s_addc_u32 s16, s41, s17
	s_add_u32 s17, s42, s18
	v_dual_mov_b32 v3, s18 :: v_dual_mov_b32 v4, s16
	s_addc_u32 s16, s43, s16
	s_add_u32 s18, s44, s17
	;; [unrolled: 3-line block ×6, first 2 shown]
	s_addc_u32 s1, s1, s16
	s_delay_alu instid0(SALU_CYCLE_1)
	v_dual_mov_b32 v22, s0 :: v_dual_mov_b32 v23, s1
	s_add_u32 s0, s2, s0
	s_addc_u32 s1, s3, s1
	s_add_u32 s2, s4, s0
	s_addc_u32 s3, s5, s1
	v_dual_mov_b32 v20, s17 :: v_dual_mov_b32 v21, s16
	v_dual_mov_b32 v24, s0 :: v_dual_mov_b32 v25, s1
	;; [unrolled: 1-line block ×3, first 2 shown]
	s_clause 0x5
	global_store_b128 v0, v[12:15], s[34:35] offset:64
	global_store_b128 v0, v[1:4], s[34:35] offset:80
	;; [unrolled: 1-line block ×6, first 2 shown]
	s_load_b256 s[16:23], s[34:35], 0xc0
	s_add_u32 s0, s6, s2
	s_addc_u32 s1, s7, s3
	s_add_u32 s2, s8, s0
	s_addc_u32 s3, s9, s1
	v_dual_mov_b32 v1, s0 :: v_dual_mov_b32 v2, s1
	s_add_u32 s0, s10, s2
	s_addc_u32 s1, s11, s3
	s_add_u32 s6, s12, s0
	v_dual_mov_b32 v3, s2 :: v_dual_mov_b32 v4, s3
	s_addc_u32 s7, s13, s1
	v_dual_mov_b32 v5, s0 :: v_dual_mov_b32 v6, s1
	s_clause 0x1
	s_load_b64 s[4:5], s[34:35], 0xf0
	s_load_b128 s[0:3], s[34:35], 0xe0
	v_dual_mov_b32 v7, s6 :: v_dual_mov_b32 v8, s7
	s_add_u32 s6, s14, s6
	s_addc_u32 s7, s15, s7
	s_waitcnt lgkmcnt(0)
	s_add_u32 s8, s16, s6
	s_addc_u32 s9, s17, s7
	v_dual_mov_b32 v9, s6 :: v_dual_mov_b32 v10, s7
	s_add_u32 s6, s18, s8
	s_addc_u32 s7, s19, s9
	v_dual_mov_b32 v11, s8 :: v_dual_mov_b32 v12, s9
	;; [unrolled: 3-line block ×4, first 2 shown]
	s_add_u32 s0, s0, s6
	s_addc_u32 s1, s1, s7
	s_delay_alu instid0(SALU_CYCLE_1)
	v_dual_mov_b32 v19, s0 :: v_dual_mov_b32 v20, s1
	s_add_u32 s0, s2, s0
	s_addc_u32 s1, s3, s1
	s_add_u32 s2, s4, s0
	s_addc_u32 s3, s5, s1
	v_dual_mov_b32 v17, s6 :: v_dual_mov_b32 v18, s7
	v_dual_mov_b32 v21, s0 :: v_dual_mov_b32 v22, s1
	;; [unrolled: 1-line block ×3, first 2 shown]
	s_clause 0x5
	global_store_b128 v0, v[1:4], s[34:35] offset:160
	global_store_b128 v0, v[5:8], s[34:35] offset:176
	;; [unrolled: 1-line block ×6, first 2 shown]
	s_nop 0
	s_sendmsg sendmsg(MSG_DEALLOC_VGPRS)
	s_endpgm
	.section	.rodata,"a",@progbits
	.p2align	6, 0x0
	.amdhsa_kernel _ZN9rocsparseL46csrmvn_preprocess_device_32_bins_3phase_phase2IlEEvPT_
		.amdhsa_group_segment_fixed_size 0
		.amdhsa_private_segment_fixed_size 0
		.amdhsa_kernarg_size 8
		.amdhsa_user_sgpr_count 15
		.amdhsa_user_sgpr_dispatch_ptr 0
		.amdhsa_user_sgpr_queue_ptr 0
		.amdhsa_user_sgpr_kernarg_segment_ptr 1
		.amdhsa_user_sgpr_dispatch_id 0
		.amdhsa_user_sgpr_private_segment_size 0
		.amdhsa_wavefront_size32 1
		.amdhsa_uses_dynamic_stack 0
		.amdhsa_enable_private_segment 0
		.amdhsa_system_sgpr_workgroup_id_x 1
		.amdhsa_system_sgpr_workgroup_id_y 0
		.amdhsa_system_sgpr_workgroup_id_z 0
		.amdhsa_system_sgpr_workgroup_info 0
		.amdhsa_system_vgpr_workitem_id 0
		.amdhsa_next_free_vgpr 28
		.amdhsa_next_free_sgpr 52
		.amdhsa_reserve_vcc 0
		.amdhsa_float_round_mode_32 0
		.amdhsa_float_round_mode_16_64 0
		.amdhsa_float_denorm_mode_32 3
		.amdhsa_float_denorm_mode_16_64 3
		.amdhsa_dx10_clamp 1
		.amdhsa_ieee_mode 1
		.amdhsa_fp16_overflow 0
		.amdhsa_workgroup_processor_mode 1
		.amdhsa_memory_ordered 1
		.amdhsa_forward_progress 0
		.amdhsa_shared_vgpr_count 0
		.amdhsa_exception_fp_ieee_invalid_op 0
		.amdhsa_exception_fp_denorm_src 0
		.amdhsa_exception_fp_ieee_div_zero 0
		.amdhsa_exception_fp_ieee_overflow 0
		.amdhsa_exception_fp_ieee_underflow 0
		.amdhsa_exception_fp_ieee_inexact 0
		.amdhsa_exception_int_div_zero 0
	.end_amdhsa_kernel
	.section	.text._ZN9rocsparseL46csrmvn_preprocess_device_32_bins_3phase_phase2IlEEvPT_,"axG",@progbits,_ZN9rocsparseL46csrmvn_preprocess_device_32_bins_3phase_phase2IlEEvPT_,comdat
.Lfunc_end6:
	.size	_ZN9rocsparseL46csrmvn_preprocess_device_32_bins_3phase_phase2IlEEvPT_, .Lfunc_end6-_ZN9rocsparseL46csrmvn_preprocess_device_32_bins_3phase_phase2IlEEvPT_
                                        ; -- End function
	.section	.AMDGPU.csdata,"",@progbits
; Kernel info:
; codeLenInByte = 736
; NumSgprs: 52
; NumVgprs: 28
; ScratchSize: 0
; MemoryBound: 1
; FloatMode: 240
; IeeeMode: 1
; LDSByteSize: 0 bytes/workgroup (compile time only)
; SGPRBlocks: 6
; VGPRBlocks: 3
; NumSGPRsForWavesPerEU: 52
; NumVGPRsForWavesPerEU: 28
; Occupancy: 16
; WaveLimiterHint : 1
; COMPUTE_PGM_RSRC2:SCRATCH_EN: 0
; COMPUTE_PGM_RSRC2:USER_SGPR: 15
; COMPUTE_PGM_RSRC2:TRAP_HANDLER: 0
; COMPUTE_PGM_RSRC2:TGID_X_EN: 1
; COMPUTE_PGM_RSRC2:TGID_Y_EN: 0
; COMPUTE_PGM_RSRC2:TGID_Z_EN: 0
; COMPUTE_PGM_RSRC2:TIDIG_COMP_CNT: 0
	.section	.text._ZN9rocsparseL46csrmvn_preprocess_device_32_bins_3phase_phase3ILj256EllEEvT1_PKT0_PKS1_S6_PS1_,"axG",@progbits,_ZN9rocsparseL46csrmvn_preprocess_device_32_bins_3phase_phase3ILj256EllEEvT1_PKT0_PKS1_S6_PS1_,comdat
	.globl	_ZN9rocsparseL46csrmvn_preprocess_device_32_bins_3phase_phase3ILj256EllEEvT1_PKT0_PKS1_S6_PS1_ ; -- Begin function _ZN9rocsparseL46csrmvn_preprocess_device_32_bins_3phase_phase3ILj256EllEEvT1_PKT0_PKS1_S6_PS1_
	.p2align	8
	.type	_ZN9rocsparseL46csrmvn_preprocess_device_32_bins_3phase_phase3ILj256EllEEvT1_PKT0_PKS1_S6_PS1_,@function
_ZN9rocsparseL46csrmvn_preprocess_device_32_bins_3phase_phase3ILj256EllEEvT1_PKT0_PKS1_S6_PS1_: ; @_ZN9rocsparseL46csrmvn_preprocess_device_32_bins_3phase_phase3ILj256EllEEvT1_PKT0_PKS1_S6_PS1_
; %bb.0:
	s_load_b256 s[4:11], s[0:1], 0x0
	v_lshl_or_b32 v4, s15, 8, v0
	v_mov_b32_e32 v5, 0
	s_mov_b32 s2, exec_lo
	s_waitcnt lgkmcnt(0)
	s_delay_alu instid0(VALU_DEP_1)
	v_cmpx_gt_i64_e64 s[4:5], v[4:5]
	s_cbranch_execz .LBB7_5
; %bb.1:
	s_clause 0x1
	s_load_b32 s12, s[0:1], 0x28
	s_load_b64 s[2:3], s[0:1], 0x20
	v_lshlrev_b64 v[6:7], 3, v[4:5]
	v_dual_mov_b32 v9, v5 :: v_dual_mov_b32 v8, v4
	s_mov_b32 s13, 0
	s_mov_b32 s14, 0x55555555
	;; [unrolled: 1-line block ×15, first 2 shown]
	s_waitcnt lgkmcnt(0)
	s_lshl_b32 s12, s12, 8
	s_mov_b32 s25, 0x3fd24924
	s_mov_b32 s27, 0x3fd99999
	;; [unrolled: 1-line block ×4, first 2 shown]
	s_lshl_b64 s[34:35], s[12:13], 3
	s_mov_b32 s36, 0x55555780
	s_branch .LBB7_3
.LBB7_2:                                ;   in Loop: Header=BB7_3 Depth=1
	s_or_b32 exec_lo, exec_lo, s0
	s_delay_alu instid0(VALU_DEP_1) | instskip(NEXT) | instid1(VALU_DEP_1)
	v_lshlrev_b64 v[0:1], 3, v[4:5]
	v_add_co_u32 v0, vcc_lo, s10, v0
	s_delay_alu instid0(VALU_DEP_2)
	v_add_co_ci_u32_e32 v1, vcc_lo, s11, v1, vcc_lo
	v_add_co_u32 v2, vcc_lo, s8, v6
	v_add_co_ci_u32_e32 v3, vcc_lo, s9, v7, vcc_lo
	v_add_co_u32 v6, s0, v6, s34
	global_load_b64 v[0:1], v[0:1], off
	global_load_b64 v[2:3], v[2:3], off
	v_add_co_ci_u32_e64 v7, s0, s35, v7, s0
	s_waitcnt vmcnt(1)
	v_lshlrev_b64 v[0:1], 3, v[0:1]
	s_waitcnt vmcnt(0)
	v_lshlrev_b64 v[2:3], 3, v[2:3]
	s_delay_alu instid0(VALU_DEP_2) | instskip(NEXT) | instid1(VALU_DEP_3)
	v_add_co_u32 v0, vcc_lo, s2, v0
	v_add_co_ci_u32_e32 v1, vcc_lo, s3, v1, vcc_lo
	s_delay_alu instid0(VALU_DEP_2) | instskip(NEXT) | instid1(VALU_DEP_2)
	v_add_co_u32 v0, vcc_lo, v0, v2
	v_add_co_ci_u32_e32 v1, vcc_lo, v1, v3, vcc_lo
	global_store_b64 v[0:1], v[8:9], off
	v_add_co_u32 v8, vcc_lo, v8, s12
	v_add_co_ci_u32_e32 v9, vcc_lo, 0, v9, vcc_lo
	s_delay_alu instid0(VALU_DEP_1) | instskip(SKIP_1) | instid1(SALU_CYCLE_1)
	v_cmp_le_i64_e32 vcc_lo, s[4:5], v[8:9]
	s_or_b32 s13, vcc_lo, s13
	s_and_not1_b32 exec_lo, exec_lo, s13
	s_cbranch_execz .LBB7_5
.LBB7_3:                                ; =>This Inner Loop Header: Depth=1
	v_add_co_u32 v0, vcc_lo, s6, v6
	v_add_co_ci_u32_e32 v1, vcc_lo, s7, v7, vcc_lo
	v_mov_b32_e32 v4, 0
	s_mov_b32 s0, exec_lo
	global_load_b128 v[0:3], v[0:1], off
	s_waitcnt vmcnt(0)
	v_cmpx_ne_u64_e64 v[2:3], v[0:1]
	s_cbranch_execz .LBB7_2
; %bb.4:                                ;   in Loop: Header=BB7_3 Depth=1
	v_sub_co_u32 v0, vcc_lo, v2, v0
	v_sub_co_ci_u32_e32 v1, vcc_lo, v3, v1, vcc_lo
	s_mov_b32 s37, s15
	s_delay_alu instid0(VALU_DEP_2) | instskip(NEXT) | instid1(VALU_DEP_2)
	v_cvt_f64_u32_e32 v[10:11], v0
	v_cvt_f64_i32_e32 v[2:3], v1
	s_delay_alu instid0(VALU_DEP_1) | instskip(NEXT) | instid1(VALU_DEP_1)
	v_ldexp_f64 v[2:3], v[2:3], 32
	v_add_f64 v[2:3], v[2:3], v[10:11]
	s_delay_alu instid0(VALU_DEP_1) | instskip(SKIP_1) | instid1(VALU_DEP_2)
	v_frexp_mant_f64_e32 v[10:11], v[2:3]
	v_frexp_exp_i32_f64_e32 v4, v[2:3]
	v_cmp_gt_f64_e32 vcc_lo, s[14:15], v[10:11]
	v_cndmask_b32_e64 v13, 0x3ff00000, 2.0, vcc_lo
	s_delay_alu instid0(VALU_DEP_3) | instskip(SKIP_2) | instid1(VALU_DEP_1)
	v_subrev_co_ci_u32_e32 v4, vcc_lo, 0, v4, vcc_lo
	v_cmp_lt_i64_e32 vcc_lo, -1, v[0:1]
	v_mov_b32_e32 v12, v5
	v_mul_f64 v[10:11], v[10:11], v[12:13]
	s_delay_alu instid0(VALU_DEP_1) | instskip(SKIP_1) | instid1(VALU_DEP_2)
	v_add_f64 v[12:13], v[10:11], 1.0
	v_add_f64 v[18:19], v[10:11], -1.0
	v_rcp_f64_e32 v[14:15], v[12:13]
	v_add_f64 v[20:21], v[12:13], -1.0
	s_delay_alu instid0(VALU_DEP_1) | instskip(SKIP_2) | instid1(VALU_DEP_1)
	v_add_f64 v[10:11], v[10:11], -v[20:21]
	s_waitcnt_depctr 0xfff
	v_fma_f64 v[16:17], -v[12:13], v[14:15], 1.0
	v_fma_f64 v[14:15], v[16:17], v[14:15], v[14:15]
	s_delay_alu instid0(VALU_DEP_1) | instskip(NEXT) | instid1(VALU_DEP_1)
	v_fma_f64 v[16:17], -v[12:13], v[14:15], 1.0
	v_fma_f64 v[14:15], v[16:17], v[14:15], v[14:15]
	s_delay_alu instid0(VALU_DEP_1) | instskip(NEXT) | instid1(VALU_DEP_1)
	v_mul_f64 v[16:17], v[18:19], v[14:15]
	v_mul_f64 v[22:23], v[12:13], v[16:17]
	s_delay_alu instid0(VALU_DEP_1) | instskip(NEXT) | instid1(VALU_DEP_1)
	v_fma_f64 v[12:13], v[16:17], v[12:13], -v[22:23]
	v_fma_f64 v[10:11], v[16:17], v[10:11], v[12:13]
	s_delay_alu instid0(VALU_DEP_1) | instskip(NEXT) | instid1(VALU_DEP_1)
	v_add_f64 v[12:13], v[22:23], v[10:11]
	v_add_f64 v[20:21], v[18:19], -v[12:13]
	v_add_f64 v[22:23], v[12:13], -v[22:23]
	s_delay_alu instid0(VALU_DEP_2) | instskip(NEXT) | instid1(VALU_DEP_2)
	v_add_f64 v[18:19], v[18:19], -v[20:21]
	v_add_f64 v[10:11], v[22:23], -v[10:11]
	s_delay_alu instid0(VALU_DEP_2) | instskip(NEXT) | instid1(VALU_DEP_1)
	v_add_f64 v[12:13], v[18:19], -v[12:13]
	v_add_f64 v[10:11], v[10:11], v[12:13]
	s_delay_alu instid0(VALU_DEP_1) | instskip(NEXT) | instid1(VALU_DEP_1)
	v_add_f64 v[10:11], v[20:21], v[10:11]
	v_mul_f64 v[10:11], v[14:15], v[10:11]
	s_delay_alu instid0(VALU_DEP_1) | instskip(NEXT) | instid1(VALU_DEP_1)
	v_add_f64 v[12:13], v[16:17], v[10:11]
	v_mul_f64 v[14:15], v[12:13], v[12:13]
	s_delay_alu instid0(VALU_DEP_1) | instskip(SKIP_1) | instid1(VALU_DEP_2)
	v_fma_f64 v[18:19], v[14:15], s[18:19], s[16:17]
	v_mul_f64 v[20:21], v[12:13], v[14:15]
	v_fma_f64 v[18:19], v[14:15], v[18:19], s[20:21]
	s_delay_alu instid0(VALU_DEP_1) | instskip(NEXT) | instid1(VALU_DEP_1)
	v_fma_f64 v[18:19], v[14:15], v[18:19], s[22:23]
	v_fma_f64 v[18:19], v[14:15], v[18:19], s[24:25]
	s_delay_alu instid0(VALU_DEP_1) | instskip(NEXT) | instid1(VALU_DEP_1)
	v_fma_f64 v[18:19], v[14:15], v[18:19], s[26:27]
	v_fma_f64 v[14:15], v[14:15], v[18:19], s[36:37]
	v_ldexp_f64 v[18:19], v[12:13], 1
	v_add_f64 v[12:13], v[12:13], -v[16:17]
	s_delay_alu instid0(VALU_DEP_3) | instskip(NEXT) | instid1(VALU_DEP_2)
	v_mul_f64 v[14:15], v[20:21], v[14:15]
	v_add_f64 v[10:11], v[10:11], -v[12:13]
	s_delay_alu instid0(VALU_DEP_2) | instskip(NEXT) | instid1(VALU_DEP_2)
	v_add_f64 v[16:17], v[18:19], v[14:15]
	v_ldexp_f64 v[10:11], v[10:11], 1
	s_delay_alu instid0(VALU_DEP_2) | instskip(NEXT) | instid1(VALU_DEP_1)
	v_add_f64 v[12:13], v[16:17], -v[18:19]
	v_add_f64 v[12:13], v[14:15], -v[12:13]
	s_delay_alu instid0(VALU_DEP_1) | instskip(NEXT) | instid1(VALU_DEP_1)
	v_add_f64 v[10:11], v[10:11], v[12:13]
	v_add_f64 v[12:13], v[16:17], v[10:11]
	s_delay_alu instid0(VALU_DEP_1) | instskip(SKIP_1) | instid1(VALU_DEP_2)
	v_add_f64 v[14:15], v[12:13], -v[16:17]
	v_mul_f64 v[16:17], v[12:13], s[28:29]
	v_add_f64 v[10:11], v[10:11], -v[14:15]
	s_delay_alu instid0(VALU_DEP_2) | instskip(NEXT) | instid1(VALU_DEP_1)
	v_fma_f64 v[14:15], v[12:13], s[28:29], -v[16:17]
	v_fma_f64 v[10:11], v[10:11], s[28:29], v[14:15]
	s_delay_alu instid0(VALU_DEP_1) | instskip(SKIP_1) | instid1(VALU_DEP_2)
	v_fma_f64 v[2:3], v[12:13], s[30:31], v[10:11]
	v_cvt_f64_i32_e32 v[10:11], v4
	v_add_f64 v[12:13], v[16:17], v[2:3]
	s_delay_alu instid0(VALU_DEP_1) | instskip(SKIP_1) | instid1(VALU_DEP_2)
	v_add_f64 v[14:15], v[12:13], v[10:11]
	v_add_f64 v[16:17], v[12:13], -v[16:17]
	v_add_f64 v[18:19], v[14:15], -v[10:11]
	s_delay_alu instid0(VALU_DEP_2) | instskip(NEXT) | instid1(VALU_DEP_2)
	v_add_f64 v[2:3], v[2:3], -v[16:17]
	v_add_f64 v[20:21], v[18:19], -v[14:15]
	;; [unrolled: 1-line block ×3, first 2 shown]
	s_delay_alu instid0(VALU_DEP_2) | instskip(NEXT) | instid1(VALU_DEP_1)
	v_add_f64 v[10:11], v[20:21], v[10:11]
	v_add_f64 v[10:11], v[12:13], v[10:11]
	s_delay_alu instid0(VALU_DEP_1) | instskip(NEXT) | instid1(VALU_DEP_1)
	v_add_f64 v[2:3], v[2:3], v[10:11]
	v_add_f64 v[2:3], v[14:15], v[2:3]
	s_delay_alu instid0(VALU_DEP_1) | instskip(NEXT) | instid1(VALU_DEP_2)
	v_cndmask_b32_e32 v1, 0x7ff80000, v3, vcc_lo
	v_cndmask_b32_e32 v0, 0, v2, vcc_lo
	s_delay_alu instid0(VALU_DEP_1) | instskip(NEXT) | instid1(VALU_DEP_1)
	v_ceil_f64_e32 v[0:1], v[0:1]
	v_cvt_u32_f64_e32 v4, v[0:1]
	s_branch .LBB7_2
.LBB7_5:
	s_nop 0
	s_sendmsg sendmsg(MSG_DEALLOC_VGPRS)
	s_endpgm
	.section	.rodata,"a",@progbits
	.p2align	6, 0x0
	.amdhsa_kernel _ZN9rocsparseL46csrmvn_preprocess_device_32_bins_3phase_phase3ILj256EllEEvT1_PKT0_PKS1_S6_PS1_
		.amdhsa_group_segment_fixed_size 0
		.amdhsa_private_segment_fixed_size 0
		.amdhsa_kernarg_size 296
		.amdhsa_user_sgpr_count 15
		.amdhsa_user_sgpr_dispatch_ptr 0
		.amdhsa_user_sgpr_queue_ptr 0
		.amdhsa_user_sgpr_kernarg_segment_ptr 1
		.amdhsa_user_sgpr_dispatch_id 0
		.amdhsa_user_sgpr_private_segment_size 0
		.amdhsa_wavefront_size32 1
		.amdhsa_uses_dynamic_stack 0
		.amdhsa_enable_private_segment 0
		.amdhsa_system_sgpr_workgroup_id_x 1
		.amdhsa_system_sgpr_workgroup_id_y 0
		.amdhsa_system_sgpr_workgroup_id_z 0
		.amdhsa_system_sgpr_workgroup_info 0
		.amdhsa_system_vgpr_workitem_id 0
		.amdhsa_next_free_vgpr 24
		.amdhsa_next_free_sgpr 38
		.amdhsa_reserve_vcc 1
		.amdhsa_float_round_mode_32 0
		.amdhsa_float_round_mode_16_64 0
		.amdhsa_float_denorm_mode_32 3
		.amdhsa_float_denorm_mode_16_64 3
		.amdhsa_dx10_clamp 1
		.amdhsa_ieee_mode 1
		.amdhsa_fp16_overflow 0
		.amdhsa_workgroup_processor_mode 1
		.amdhsa_memory_ordered 1
		.amdhsa_forward_progress 0
		.amdhsa_shared_vgpr_count 0
		.amdhsa_exception_fp_ieee_invalid_op 0
		.amdhsa_exception_fp_denorm_src 0
		.amdhsa_exception_fp_ieee_div_zero 0
		.amdhsa_exception_fp_ieee_overflow 0
		.amdhsa_exception_fp_ieee_underflow 0
		.amdhsa_exception_fp_ieee_inexact 0
		.amdhsa_exception_int_div_zero 0
	.end_amdhsa_kernel
	.section	.text._ZN9rocsparseL46csrmvn_preprocess_device_32_bins_3phase_phase3ILj256EllEEvT1_PKT0_PKS1_S6_PS1_,"axG",@progbits,_ZN9rocsparseL46csrmvn_preprocess_device_32_bins_3phase_phase3ILj256EllEEvT1_PKT0_PKS1_S6_PS1_,comdat
.Lfunc_end7:
	.size	_ZN9rocsparseL46csrmvn_preprocess_device_32_bins_3phase_phase3ILj256EllEEvT1_PKT0_PKS1_S6_PS1_, .Lfunc_end7-_ZN9rocsparseL46csrmvn_preprocess_device_32_bins_3phase_phase3ILj256EllEEvT1_PKT0_PKS1_S6_PS1_
                                        ; -- End function
	.section	.AMDGPU.csdata,"",@progbits
; Kernel info:
; codeLenInByte = 1176
; NumSgprs: 40
; NumVgprs: 24
; ScratchSize: 0
; MemoryBound: 0
; FloatMode: 240
; IeeeMode: 1
; LDSByteSize: 0 bytes/workgroup (compile time only)
; SGPRBlocks: 4
; VGPRBlocks: 2
; NumSGPRsForWavesPerEU: 40
; NumVGPRsForWavesPerEU: 24
; Occupancy: 16
; WaveLimiterHint : 1
; COMPUTE_PGM_RSRC2:SCRATCH_EN: 0
; COMPUTE_PGM_RSRC2:USER_SGPR: 15
; COMPUTE_PGM_RSRC2:TRAP_HANDLER: 0
; COMPUTE_PGM_RSRC2:TGID_X_EN: 1
; COMPUTE_PGM_RSRC2:TGID_Y_EN: 0
; COMPUTE_PGM_RSRC2:TGID_Z_EN: 0
; COMPUTE_PGM_RSRC2:TIDIG_COMP_CNT: 0
	.section	.text._ZN9rocsparseL28csrmvn_lrb_short_rows_kernelIiiffffEEvbT_PT0_S3_jNS_24const_host_device_scalarIT4_EEPKS1_PKS2_PKT1_PKT2_S6_PT3_21rocsparse_index_base_b,"axG",@progbits,_ZN9rocsparseL28csrmvn_lrb_short_rows_kernelIiiffffEEvbT_PT0_S3_jNS_24const_host_device_scalarIT4_EEPKS1_PKS2_PKT1_PKT2_S6_PT3_21rocsparse_index_base_b,comdat
	.globl	_ZN9rocsparseL28csrmvn_lrb_short_rows_kernelIiiffffEEvbT_PT0_S3_jNS_24const_host_device_scalarIT4_EEPKS1_PKS2_PKT1_PKT2_S6_PT3_21rocsparse_index_base_b ; -- Begin function _ZN9rocsparseL28csrmvn_lrb_short_rows_kernelIiiffffEEvbT_PT0_S3_jNS_24const_host_device_scalarIT4_EEPKS1_PKS2_PKT1_PKT2_S6_PT3_21rocsparse_index_base_b
	.p2align	8
	.type	_ZN9rocsparseL28csrmvn_lrb_short_rows_kernelIiiffffEEvbT_PT0_S3_jNS_24const_host_device_scalarIT4_EEPKS1_PKS2_PKT1_PKT2_S6_PT3_21rocsparse_index_base_b,@function
_ZN9rocsparseL28csrmvn_lrb_short_rows_kernelIiiffffEEvbT_PT0_S3_jNS_24const_host_device_scalarIT4_EEPKS1_PKS2_PKT1_PKT2_S6_PT3_21rocsparse_index_base_b: ; @_ZN9rocsparseL28csrmvn_lrb_short_rows_kernelIiiffffEEvbT_PT0_S3_jNS_24const_host_device_scalarIT4_EEPKS1_PKS2_PKT1_PKT2_S6_PT3_21rocsparse_index_base_b
; %bb.0:
	s_clause 0x2
	s_load_b64 s[20:21], s[0:1], 0x58
	s_load_b64 s[22:23], s[0:1], 0x20
	;; [unrolled: 1-line block ×3, first 2 shown]
	s_waitcnt lgkmcnt(0)
	s_bitcmp1_b32 s21, 0
	s_cselect_b32 s4, -1, 0
	s_delay_alu instid0(SALU_CYCLE_1)
	s_and_b32 vcc_lo, exec_lo, s4
	s_xor_b32 s4, s4, -1
	s_cbranch_vccnz .LBB8_2
; %bb.1:
	s_load_b32 s22, s[22:23], 0x0
.LBB8_2:
	s_and_not1_b32 vcc_lo, exec_lo, s4
	s_cbranch_vccnz .LBB8_4
; %bb.3:
	s_load_b32 s2, s[2:3], 0x0
.LBB8_4:
	s_waitcnt lgkmcnt(0)
	v_cmp_neq_f32_e64 s3, s22, 0
	v_cmp_neq_f32_e64 s4, s2, 1.0
	s_mov_b32 s13, 0
	s_delay_alu instid0(VALU_DEP_1) | instskip(NEXT) | instid1(SALU_CYCLE_1)
	s_or_b32 s3, s3, s4
	s_and_not1_b32 vcc_lo, exec_lo, s3
	s_cbranch_vccnz .LBB8_18
; %bb.5:
	s_clause 0x1
	s_load_b32 s12, s[0:1], 0x18
	s_load_b128 s[16:19], s[0:1], 0x8
	s_mov_b32 s7, s13
	s_waitcnt lgkmcnt(0)
	s_lshl_b64 s[4:5], s[12:13], 2
	s_delay_alu instid0(SALU_CYCLE_1) | instskip(SKIP_2) | instid1(SALU_CYCLE_1)
	s_add_u32 s4, s18, s4
	s_addc_u32 s5, s19, s5
	s_add_i32 s6, s12, 1
	s_lshl_b64 s[6:7], s[6:7], 2
	s_delay_alu instid0(SALU_CYCLE_1)
	s_add_u32 s6, s18, s6
	s_addc_u32 s7, s19, s7
	s_clause 0x1
	s_load_b32 s3, s[4:5], 0x0
	s_load_b32 s4, s[6:7], 0x0
	s_lshl_b32 s13, s15, 8
	s_delay_alu instid0(SALU_CYCLE_1) | instskip(SKIP_2) | instid1(SALU_CYCLE_1)
	s_add_i32 s5, s13, 0x100
	s_waitcnt lgkmcnt(0)
	s_sub_i32 s4, s4, s3
	s_min_u32 s14, s4, s5
	s_cmp_gt_u32 s12, 23
	s_cbranch_scc1 .LBB8_12
; %bb.6:
	s_load_b256 s[4:11], s[0:1], 0x28
	v_bfe_u32 v5, v0, 0, s12
	v_lshl_add_u32 v7, v0, 2, 0
	v_mov_b32_e32 v2, 0
	s_lshl_b32 s15, 0x100, s12
	s_mov_b32 s18, 0
	v_subrev_nc_u32_e32 v6, s20, v5
	s_branch .LBB8_9
.LBB8_7:                                ;   in Loop: Header=BB8_9 Depth=1
	s_or_b32 exec_lo, exec_lo, s21
	ds_store_b32 v7, v1
.LBB8_8:                                ;   in Loop: Header=BB8_9 Depth=1
	s_or_b32 exec_lo, exec_lo, s19
	v_add_nc_u32_e32 v7, 0x400, v7
	s_addk_i32 s18, 0x100
	s_delay_alu instid0(SALU_CYCLE_1)
	s_cmp_ge_u32 s18, s15
	s_cbranch_scc1 .LBB8_12
.LBB8_9:                                ; =>This Inner Loop Header: Depth=1
	v_add_nc_u32_e32 v1, s18, v0
	s_mov_b32 s19, exec_lo
	s_delay_alu instid0(VALU_DEP_1) | instskip(NEXT) | instid1(VALU_DEP_1)
	v_lshrrev_b32_e32 v1, s12, v1
	v_add_nc_u32_e32 v1, s13, v1
	s_delay_alu instid0(VALU_DEP_1)
	v_cmpx_gt_u32_e64 s14, v1
	s_cbranch_execz .LBB8_8
; %bb.10:                               ;   in Loop: Header=BB8_9 Depth=1
	v_add_nc_u32_e32 v1, s3, v1
	s_delay_alu instid0(VALU_DEP_1) | instskip(NEXT) | instid1(VALU_DEP_1)
	v_lshlrev_b64 v[3:4], 2, v[1:2]
	v_add_co_u32 v3, vcc_lo, s16, v3
	s_delay_alu instid0(VALU_DEP_2) | instskip(SKIP_3) | instid1(VALU_DEP_1)
	v_add_co_ci_u32_e32 v4, vcc_lo, s17, v4, vcc_lo
	global_load_b32 v3, v[3:4], off
	s_waitcnt vmcnt(0)
	v_ashrrev_i32_e32 v4, 31, v3
	v_lshlrev_b64 v[3:4], 2, v[3:4]
	s_waitcnt lgkmcnt(0)
	s_delay_alu instid0(VALU_DEP_1) | instskip(NEXT) | instid1(VALU_DEP_2)
	v_add_co_u32 v3, vcc_lo, s4, v3
	v_add_co_ci_u32_e32 v4, vcc_lo, s5, v4, vcc_lo
	global_load_b64 v[3:4], v[3:4], off
	s_waitcnt vmcnt(0)
	v_sub_nc_u32_e32 v1, v4, v3
	s_delay_alu instid0(VALU_DEP_1)
	v_cmp_lt_u32_e32 vcc_lo, v5, v1
	v_mov_b32_e32 v1, 0
	s_and_saveexec_b32 s21, vcc_lo
	s_cbranch_execz .LBB8_7
; %bb.11:                               ;   in Loop: Header=BB8_9 Depth=1
	v_add_nc_u32_e32 v1, v6, v3
	s_delay_alu instid0(VALU_DEP_1) | instskip(NEXT) | instid1(VALU_DEP_1)
	v_lshlrev_b64 v[3:4], 2, v[1:2]
	v_add_co_u32 v8, vcc_lo, s6, v3
	s_delay_alu instid0(VALU_DEP_2)
	v_add_co_ci_u32_e32 v9, vcc_lo, s7, v4, vcc_lo
	v_add_co_u32 v3, vcc_lo, s8, v3
	v_add_co_ci_u32_e32 v4, vcc_lo, s9, v4, vcc_lo
	global_load_b32 v1, v[8:9], off
	s_waitcnt vmcnt(0)
	v_subrev_nc_u32_e32 v8, s20, v1
	global_load_b32 v1, v[3:4], off
	v_ashrrev_i32_e32 v9, 31, v8
	s_delay_alu instid0(VALU_DEP_1) | instskip(NEXT) | instid1(VALU_DEP_1)
	v_lshlrev_b64 v[8:9], 2, v[8:9]
	v_add_co_u32 v3, vcc_lo, s10, v8
	s_delay_alu instid0(VALU_DEP_2) | instskip(SKIP_4) | instid1(VALU_DEP_1)
	v_add_co_ci_u32_e32 v4, vcc_lo, s11, v9, vcc_lo
	global_load_b32 v3, v[3:4], off
	s_waitcnt vmcnt(1)
	v_mul_f32_e32 v1, s22, v1
	s_waitcnt vmcnt(0)
	v_mul_f32_e32 v1, v1, v3
	s_branch .LBB8_7
.LBB8_12:
	s_waitcnt lgkmcnt(0)
	s_sub_i32 s4, s14, s13
	s_delay_alu instid0(SALU_CYCLE_1)
	v_cmp_gt_u32_e32 vcc_lo, s4, v0
	s_barrier
	buffer_gl0_inv
	s_and_saveexec_b32 s4, vcc_lo
	s_cbranch_execz .LBB8_18
; %bb.13:
	v_add3_u32 v1, s3, s13, v0
	v_mov_b32_e32 v2, 0
	s_load_b64 s[0:1], s[0:1], 0x50
	v_lshlrev_b32_e32 v0, s12, v0
	s_mov_b32 s3, 1
	s_delay_alu instid0(VALU_DEP_2) | instskip(NEXT) | instid1(VALU_DEP_2)
	v_lshlrev_b64 v[3:4], 2, v[1:2]
	v_lshl_add_u32 v0, v0, 2, 0
	s_delay_alu instid0(VALU_DEP_2) | instskip(NEXT) | instid1(VALU_DEP_3)
	v_add_co_u32 v3, vcc_lo, s16, v3
	v_add_co_ci_u32_e32 v4, vcc_lo, s17, v4, vcc_lo
	global_load_b32 v3, v[3:4], off
.LBB8_14:                               ; =>This Inner Loop Header: Depth=1
	ds_load_b32 v1, v0
	v_add_nc_u32_e32 v0, 4, v0
	s_lshr_b32 s4, s3, s12
	s_add_i32 s3, s3, 1
	s_cmp_lg_u32 s4, 0
	s_waitcnt lgkmcnt(0)
	v_add_f32_e32 v2, v2, v1
	s_cbranch_scc0 .LBB8_14
; %bb.15:
	s_waitcnt vmcnt(0)
	v_ashrrev_i32_e32 v4, 31, v3
	v_cmp_neq_f32_e64 s3, s2, 0
	s_delay_alu instid0(VALU_DEP_2) | instskip(NEXT) | instid1(VALU_DEP_2)
	v_lshlrev_b64 v[0:1], 2, v[3:4]
	s_and_b32 vcc_lo, exec_lo, s3
	s_cbranch_vccz .LBB8_17
; %bb.16:
	s_delay_alu instid0(VALU_DEP_1) | instskip(NEXT) | instid1(VALU_DEP_2)
	v_add_co_u32 v3, vcc_lo, s0, v0
	v_add_co_ci_u32_e32 v4, vcc_lo, s1, v1, vcc_lo
	global_load_b32 v3, v[3:4], off
	s_waitcnt vmcnt(0)
	v_fmac_f32_e32 v2, s2, v3
.LBB8_17:
	s_delay_alu instid0(VALU_DEP_1) | instskip(NEXT) | instid1(VALU_DEP_2)
	v_add_co_u32 v0, vcc_lo, s0, v0
	v_add_co_ci_u32_e32 v1, vcc_lo, s1, v1, vcc_lo
	global_store_b32 v[0:1], v2, off
.LBB8_18:
	s_nop 0
	s_sendmsg sendmsg(MSG_DEALLOC_VGPRS)
	s_endpgm
	.section	.rodata,"a",@progbits
	.p2align	6, 0x0
	.amdhsa_kernel _ZN9rocsparseL28csrmvn_lrb_short_rows_kernelIiiffffEEvbT_PT0_S3_jNS_24const_host_device_scalarIT4_EEPKS1_PKS2_PKT1_PKT2_S6_PT3_21rocsparse_index_base_b
		.amdhsa_group_segment_fixed_size 0
		.amdhsa_private_segment_fixed_size 0
		.amdhsa_kernarg_size 96
		.amdhsa_user_sgpr_count 15
		.amdhsa_user_sgpr_dispatch_ptr 0
		.amdhsa_user_sgpr_queue_ptr 0
		.amdhsa_user_sgpr_kernarg_segment_ptr 1
		.amdhsa_user_sgpr_dispatch_id 0
		.amdhsa_user_sgpr_private_segment_size 0
		.amdhsa_wavefront_size32 1
		.amdhsa_uses_dynamic_stack 0
		.amdhsa_enable_private_segment 0
		.amdhsa_system_sgpr_workgroup_id_x 1
		.amdhsa_system_sgpr_workgroup_id_y 0
		.amdhsa_system_sgpr_workgroup_id_z 0
		.amdhsa_system_sgpr_workgroup_info 0
		.amdhsa_system_vgpr_workitem_id 0
		.amdhsa_next_free_vgpr 10
		.amdhsa_next_free_sgpr 24
		.amdhsa_reserve_vcc 1
		.amdhsa_float_round_mode_32 0
		.amdhsa_float_round_mode_16_64 0
		.amdhsa_float_denorm_mode_32 3
		.amdhsa_float_denorm_mode_16_64 3
		.amdhsa_dx10_clamp 1
		.amdhsa_ieee_mode 1
		.amdhsa_fp16_overflow 0
		.amdhsa_workgroup_processor_mode 1
		.amdhsa_memory_ordered 1
		.amdhsa_forward_progress 0
		.amdhsa_shared_vgpr_count 0
		.amdhsa_exception_fp_ieee_invalid_op 0
		.amdhsa_exception_fp_denorm_src 0
		.amdhsa_exception_fp_ieee_div_zero 0
		.amdhsa_exception_fp_ieee_overflow 0
		.amdhsa_exception_fp_ieee_underflow 0
		.amdhsa_exception_fp_ieee_inexact 0
		.amdhsa_exception_int_div_zero 0
	.end_amdhsa_kernel
	.section	.text._ZN9rocsparseL28csrmvn_lrb_short_rows_kernelIiiffffEEvbT_PT0_S3_jNS_24const_host_device_scalarIT4_EEPKS1_PKS2_PKT1_PKT2_S6_PT3_21rocsparse_index_base_b,"axG",@progbits,_ZN9rocsparseL28csrmvn_lrb_short_rows_kernelIiiffffEEvbT_PT0_S3_jNS_24const_host_device_scalarIT4_EEPKS1_PKS2_PKT1_PKT2_S6_PT3_21rocsparse_index_base_b,comdat
.Lfunc_end8:
	.size	_ZN9rocsparseL28csrmvn_lrb_short_rows_kernelIiiffffEEvbT_PT0_S3_jNS_24const_host_device_scalarIT4_EEPKS1_PKS2_PKT1_PKT2_S6_PT3_21rocsparse_index_base_b, .Lfunc_end8-_ZN9rocsparseL28csrmvn_lrb_short_rows_kernelIiiffffEEvbT_PT0_S3_jNS_24const_host_device_scalarIT4_EEPKS1_PKS2_PKT1_PKT2_S6_PT3_21rocsparse_index_base_b
                                        ; -- End function
	.section	.AMDGPU.csdata,"",@progbits
; Kernel info:
; codeLenInByte = 852
; NumSgprs: 26
; NumVgprs: 10
; ScratchSize: 0
; MemoryBound: 0
; FloatMode: 240
; IeeeMode: 1
; LDSByteSize: 0 bytes/workgroup (compile time only)
; SGPRBlocks: 3
; VGPRBlocks: 1
; NumSGPRsForWavesPerEU: 26
; NumVGPRsForWavesPerEU: 10
; Occupancy: 16
; WaveLimiterHint : 1
; COMPUTE_PGM_RSRC2:SCRATCH_EN: 0
; COMPUTE_PGM_RSRC2:USER_SGPR: 15
; COMPUTE_PGM_RSRC2:TRAP_HANDLER: 0
; COMPUTE_PGM_RSRC2:TGID_X_EN: 1
; COMPUTE_PGM_RSRC2:TGID_Y_EN: 0
; COMPUTE_PGM_RSRC2:TGID_Z_EN: 0
; COMPUTE_PGM_RSRC2:TIDIG_COMP_CNT: 0
	.section	.text._ZN9rocsparseL30csrmvn_lrb_short_rows_2_kernelIiiffffEEvbT_PT0_S3_jNS_24const_host_device_scalarIT4_EEPKS1_PKS2_PKT1_PKT2_S6_PT3_21rocsparse_index_base_b,"axG",@progbits,_ZN9rocsparseL30csrmvn_lrb_short_rows_2_kernelIiiffffEEvbT_PT0_S3_jNS_24const_host_device_scalarIT4_EEPKS1_PKS2_PKT1_PKT2_S6_PT3_21rocsparse_index_base_b,comdat
	.globl	_ZN9rocsparseL30csrmvn_lrb_short_rows_2_kernelIiiffffEEvbT_PT0_S3_jNS_24const_host_device_scalarIT4_EEPKS1_PKS2_PKT1_PKT2_S6_PT3_21rocsparse_index_base_b ; -- Begin function _ZN9rocsparseL30csrmvn_lrb_short_rows_2_kernelIiiffffEEvbT_PT0_S3_jNS_24const_host_device_scalarIT4_EEPKS1_PKS2_PKT1_PKT2_S6_PT3_21rocsparse_index_base_b
	.p2align	8
	.type	_ZN9rocsparseL30csrmvn_lrb_short_rows_2_kernelIiiffffEEvbT_PT0_S3_jNS_24const_host_device_scalarIT4_EEPKS1_PKS2_PKT1_PKT2_S6_PT3_21rocsparse_index_base_b,@function
_ZN9rocsparseL30csrmvn_lrb_short_rows_2_kernelIiiffffEEvbT_PT0_S3_jNS_24const_host_device_scalarIT4_EEPKS1_PKS2_PKT1_PKT2_S6_PT3_21rocsparse_index_base_b: ; @_ZN9rocsparseL30csrmvn_lrb_short_rows_2_kernelIiiffffEEvbT_PT0_S3_jNS_24const_host_device_scalarIT4_EEPKS1_PKS2_PKT1_PKT2_S6_PT3_21rocsparse_index_base_b
; %bb.0:
	s_clause 0x2
	s_load_b64 s[20:21], s[0:1], 0x58
	s_load_b64 s[18:19], s[0:1], 0x20
	;; [unrolled: 1-line block ×3, first 2 shown]
	s_waitcnt lgkmcnt(0)
	s_bitcmp1_b32 s21, 0
	s_cselect_b32 s2, -1, 0
	s_delay_alu instid0(SALU_CYCLE_1)
	s_and_b32 vcc_lo, exec_lo, s2
	s_xor_b32 s2, s2, -1
	s_cbranch_vccnz .LBB9_2
; %bb.1:
	s_load_b32 s18, s[18:19], 0x0
.LBB9_2:
	s_and_not1_b32 vcc_lo, exec_lo, s2
	s_cbranch_vccnz .LBB9_4
; %bb.3:
	s_load_b32 s12, s[12:13], 0x0
.LBB9_4:
	s_waitcnt lgkmcnt(0)
	v_cmp_neq_f32_e64 s2, s18, 0
	v_cmp_neq_f32_e64 s3, s12, 1.0
	s_mov_b32 s17, 0
	s_delay_alu instid0(VALU_DEP_1) | instskip(NEXT) | instid1(SALU_CYCLE_1)
	s_or_b32 s2, s2, s3
	s_and_not1_b32 vcc_lo, exec_lo, s2
	s_cbranch_vccnz .LBB9_30
; %bb.5:
	s_clause 0x1
	s_load_b32 s16, s[0:1], 0x18
	s_load_b128 s[8:11], s[0:1], 0x8
	s_mov_b32 s5, s17
	s_waitcnt lgkmcnt(0)
	s_lshl_b64 s[2:3], s[16:17], 2
	v_lshrrev_b32_e32 v1, s16, v0
	s_add_u32 s2, s10, s2
	s_addc_u32 s3, s11, s3
	s_add_i32 s4, s16, 1
	v_bfe_u32 v6, v0, 0, s16
	s_lshl_b64 s[4:5], s[4:5], 2
	s_delay_alu instid0(SALU_CYCLE_1)
	s_add_u32 s4, s10, s4
	s_addc_u32 s5, s11, s5
	s_clause 0x1
	s_load_b32 s14, s[2:3], 0x0
	s_load_b32 s17, s[4:5], 0x0
	s_clause 0x1
	s_load_b64 s[10:11], s[0:1], 0x50
	s_load_b256 s[0:7], s[0:1], 0x28
	s_lshr_b32 s13, 0x400, s16
	v_subrev_nc_u32_e32 v5, s20, v6
	s_mul_i32 s15, s13, s15
	s_delay_alu instid0(SALU_CYCLE_1) | instskip(SKIP_3) | instid1(SALU_CYCLE_1)
	v_add_nc_u32_e32 v1, s15, v1
	s_add_i32 s19, s15, s13
	s_waitcnt lgkmcnt(0)
	s_sub_i32 s17, s17, s14
	s_min_u32 s17, s17, s19
	s_mov_b32 s19, exec_lo
	v_cmpx_gt_u32_e64 s17, v1
	s_cbranch_execz .LBB9_9
; %bb.6:
	v_dual_mov_b32 v2, 0 :: v_dual_add_nc_u32 v1, s14, v1
	s_mov_b32 s21, exec_lo
	s_delay_alu instid0(VALU_DEP_1) | instskip(NEXT) | instid1(VALU_DEP_1)
	v_lshlrev_b64 v[3:4], 2, v[1:2]
	v_add_co_u32 v3, vcc_lo, s8, v3
	s_delay_alu instid0(VALU_DEP_2) | instskip(SKIP_3) | instid1(VALU_DEP_1)
	v_add_co_ci_u32_e32 v4, vcc_lo, s9, v4, vcc_lo
	global_load_b32 v3, v[3:4], off
	s_waitcnt vmcnt(0)
	v_ashrrev_i32_e32 v4, 31, v3
	v_lshlrev_b64 v[3:4], 2, v[3:4]
	s_delay_alu instid0(VALU_DEP_1) | instskip(NEXT) | instid1(VALU_DEP_2)
	v_add_co_u32 v3, vcc_lo, s0, v3
	v_add_co_ci_u32_e32 v4, vcc_lo, s1, v4, vcc_lo
	global_load_b64 v[3:4], v[3:4], off
	s_waitcnt vmcnt(0)
	v_sub_nc_u32_e32 v1, v4, v3
	s_delay_alu instid0(VALU_DEP_1)
	v_cmpx_lt_u32_e64 v6, v1
	s_cbranch_execz .LBB9_8
; %bb.7:
	v_dual_mov_b32 v2, 0 :: v_dual_add_nc_u32 v1, v3, v5
	s_delay_alu instid0(VALU_DEP_1) | instskip(NEXT) | instid1(VALU_DEP_1)
	v_lshlrev_b64 v[1:2], 2, v[1:2]
	v_add_co_u32 v3, vcc_lo, s2, v1
	s_delay_alu instid0(VALU_DEP_2)
	v_add_co_ci_u32_e32 v4, vcc_lo, s3, v2, vcc_lo
	v_add_co_u32 v1, vcc_lo, s4, v1
	v_add_co_ci_u32_e32 v2, vcc_lo, s5, v2, vcc_lo
	global_load_b32 v3, v[3:4], off
	global_load_b32 v7, v[1:2], off
	s_waitcnt vmcnt(1)
	v_subrev_nc_u32_e32 v3, s20, v3
	s_delay_alu instid0(VALU_DEP_1) | instskip(NEXT) | instid1(VALU_DEP_1)
	v_ashrrev_i32_e32 v4, 31, v3
	v_lshlrev_b64 v[3:4], 2, v[3:4]
	s_delay_alu instid0(VALU_DEP_1) | instskip(NEXT) | instid1(VALU_DEP_2)
	v_add_co_u32 v1, vcc_lo, s6, v3
	v_add_co_ci_u32_e32 v2, vcc_lo, s7, v4, vcc_lo
	global_load_b32 v1, v[1:2], off
	s_waitcnt vmcnt(1)
	v_mul_f32_e32 v2, s18, v7
	s_waitcnt vmcnt(0)
	s_delay_alu instid0(VALU_DEP_1)
	v_mul_f32_e32 v2, v2, v1
.LBB9_8:
	s_or_b32 exec_lo, exec_lo, s21
	v_lshlrev_b32_e32 v1, 2, v0
	ds_store_b32 v1, v2
.LBB9_9:
	s_or_b32 exec_lo, exec_lo, s19
	v_or_b32_e32 v1, 0x100, v0
	s_mov_b32 s19, exec_lo
	s_delay_alu instid0(VALU_DEP_1) | instskip(NEXT) | instid1(VALU_DEP_1)
	v_lshrrev_b32_e32 v1, s16, v1
	v_add_nc_u32_e32 v1, s15, v1
	s_delay_alu instid0(VALU_DEP_1)
	v_cmpx_gt_u32_e64 s17, v1
	s_cbranch_execz .LBB9_13
; %bb.10:
	v_dual_mov_b32 v2, 0 :: v_dual_add_nc_u32 v1, s14, v1
	s_mov_b32 s21, exec_lo
	s_delay_alu instid0(VALU_DEP_1) | instskip(NEXT) | instid1(VALU_DEP_1)
	v_lshlrev_b64 v[3:4], 2, v[1:2]
	v_add_co_u32 v3, vcc_lo, s8, v3
	s_delay_alu instid0(VALU_DEP_2) | instskip(SKIP_3) | instid1(VALU_DEP_1)
	v_add_co_ci_u32_e32 v4, vcc_lo, s9, v4, vcc_lo
	global_load_b32 v3, v[3:4], off
	s_waitcnt vmcnt(0)
	v_ashrrev_i32_e32 v4, 31, v3
	v_lshlrev_b64 v[3:4], 2, v[3:4]
	s_delay_alu instid0(VALU_DEP_1) | instskip(NEXT) | instid1(VALU_DEP_2)
	v_add_co_u32 v3, vcc_lo, s0, v3
	v_add_co_ci_u32_e32 v4, vcc_lo, s1, v4, vcc_lo
	global_load_b64 v[3:4], v[3:4], off
	s_waitcnt vmcnt(0)
	v_sub_nc_u32_e32 v1, v4, v3
	s_delay_alu instid0(VALU_DEP_1)
	v_cmpx_lt_u32_e64 v6, v1
	s_cbranch_execz .LBB9_12
; %bb.11:
	v_dual_mov_b32 v2, 0 :: v_dual_add_nc_u32 v1, v3, v5
	s_delay_alu instid0(VALU_DEP_1) | instskip(NEXT) | instid1(VALU_DEP_1)
	v_lshlrev_b64 v[1:2], 2, v[1:2]
	v_add_co_u32 v3, vcc_lo, s2, v1
	s_delay_alu instid0(VALU_DEP_2)
	v_add_co_ci_u32_e32 v4, vcc_lo, s3, v2, vcc_lo
	v_add_co_u32 v1, vcc_lo, s4, v1
	v_add_co_ci_u32_e32 v2, vcc_lo, s5, v2, vcc_lo
	global_load_b32 v3, v[3:4], off
	global_load_b32 v7, v[1:2], off
	s_waitcnt vmcnt(1)
	v_subrev_nc_u32_e32 v3, s20, v3
	s_delay_alu instid0(VALU_DEP_1) | instskip(NEXT) | instid1(VALU_DEP_1)
	v_ashrrev_i32_e32 v4, 31, v3
	v_lshlrev_b64 v[3:4], 2, v[3:4]
	s_delay_alu instid0(VALU_DEP_1) | instskip(NEXT) | instid1(VALU_DEP_2)
	v_add_co_u32 v1, vcc_lo, s6, v3
	v_add_co_ci_u32_e32 v2, vcc_lo, s7, v4, vcc_lo
	global_load_b32 v1, v[1:2], off
	s_waitcnt vmcnt(1)
	v_mul_f32_e32 v2, s18, v7
	s_waitcnt vmcnt(0)
	s_delay_alu instid0(VALU_DEP_1)
	v_mul_f32_e32 v2, v2, v1
.LBB9_12:
	s_or_b32 exec_lo, exec_lo, s21
	v_lshlrev_b32_e32 v1, 2, v0
	ds_store_b32 v1, v2 offset:1024
.LBB9_13:
	s_or_b32 exec_lo, exec_lo, s19
	v_or_b32_e32 v1, 0x200, v0
	s_mov_b32 s19, exec_lo
	s_delay_alu instid0(VALU_DEP_1) | instskip(NEXT) | instid1(VALU_DEP_1)
	v_lshrrev_b32_e32 v1, s16, v1
	v_add_nc_u32_e32 v1, s15, v1
	s_delay_alu instid0(VALU_DEP_1)
	v_cmpx_gt_u32_e64 s17, v1
	s_cbranch_execz .LBB9_17
; %bb.14:
	v_dual_mov_b32 v2, 0 :: v_dual_add_nc_u32 v1, s14, v1
	s_mov_b32 s21, exec_lo
	s_delay_alu instid0(VALU_DEP_1) | instskip(NEXT) | instid1(VALU_DEP_1)
	v_lshlrev_b64 v[3:4], 2, v[1:2]
	v_add_co_u32 v3, vcc_lo, s8, v3
	s_delay_alu instid0(VALU_DEP_2) | instskip(SKIP_3) | instid1(VALU_DEP_1)
	v_add_co_ci_u32_e32 v4, vcc_lo, s9, v4, vcc_lo
	global_load_b32 v3, v[3:4], off
	s_waitcnt vmcnt(0)
	v_ashrrev_i32_e32 v4, 31, v3
	v_lshlrev_b64 v[3:4], 2, v[3:4]
	s_delay_alu instid0(VALU_DEP_1) | instskip(NEXT) | instid1(VALU_DEP_2)
	v_add_co_u32 v3, vcc_lo, s0, v3
	v_add_co_ci_u32_e32 v4, vcc_lo, s1, v4, vcc_lo
	global_load_b64 v[3:4], v[3:4], off
	s_waitcnt vmcnt(0)
	v_sub_nc_u32_e32 v1, v4, v3
	s_delay_alu instid0(VALU_DEP_1)
	v_cmpx_lt_u32_e64 v6, v1
	s_cbranch_execz .LBB9_16
; %bb.15:
	v_dual_mov_b32 v2, 0 :: v_dual_add_nc_u32 v1, v3, v5
	s_delay_alu instid0(VALU_DEP_1) | instskip(NEXT) | instid1(VALU_DEP_1)
	v_lshlrev_b64 v[1:2], 2, v[1:2]
	v_add_co_u32 v3, vcc_lo, s2, v1
	s_delay_alu instid0(VALU_DEP_2)
	v_add_co_ci_u32_e32 v4, vcc_lo, s3, v2, vcc_lo
	v_add_co_u32 v1, vcc_lo, s4, v1
	v_add_co_ci_u32_e32 v2, vcc_lo, s5, v2, vcc_lo
	global_load_b32 v3, v[3:4], off
	global_load_b32 v7, v[1:2], off
	s_waitcnt vmcnt(1)
	v_subrev_nc_u32_e32 v3, s20, v3
	s_delay_alu instid0(VALU_DEP_1) | instskip(NEXT) | instid1(VALU_DEP_1)
	v_ashrrev_i32_e32 v4, 31, v3
	v_lshlrev_b64 v[3:4], 2, v[3:4]
	s_delay_alu instid0(VALU_DEP_1) | instskip(NEXT) | instid1(VALU_DEP_2)
	v_add_co_u32 v1, vcc_lo, s6, v3
	v_add_co_ci_u32_e32 v2, vcc_lo, s7, v4, vcc_lo
	global_load_b32 v1, v[1:2], off
	s_waitcnt vmcnt(1)
	v_mul_f32_e32 v2, s18, v7
	s_waitcnt vmcnt(0)
	s_delay_alu instid0(VALU_DEP_1)
	v_mul_f32_e32 v2, v2, v1
.LBB9_16:
	s_or_b32 exec_lo, exec_lo, s21
	v_lshlrev_b32_e32 v1, 2, v0
	ds_store_b32 v1, v2 offset:2048
.LBB9_17:
	s_or_b32 exec_lo, exec_lo, s19
	v_or_b32_e32 v1, 0x300, v0
	s_mov_b32 s19, exec_lo
	s_delay_alu instid0(VALU_DEP_1) | instskip(NEXT) | instid1(VALU_DEP_1)
	v_lshrrev_b32_e32 v1, s16, v1
	v_add_nc_u32_e32 v1, s15, v1
	s_delay_alu instid0(VALU_DEP_1)
	v_cmpx_gt_u32_e64 s17, v1
	s_cbranch_execz .LBB9_21
; %bb.18:
	v_dual_mov_b32 v2, 0 :: v_dual_add_nc_u32 v1, s14, v1
	s_delay_alu instid0(VALU_DEP_1) | instskip(NEXT) | instid1(VALU_DEP_1)
	v_lshlrev_b64 v[3:4], 2, v[1:2]
	v_add_co_u32 v3, vcc_lo, s8, v3
	s_delay_alu instid0(VALU_DEP_2) | instskip(SKIP_3) | instid1(VALU_DEP_1)
	v_add_co_ci_u32_e32 v4, vcc_lo, s9, v4, vcc_lo
	global_load_b32 v3, v[3:4], off
	s_waitcnt vmcnt(0)
	v_ashrrev_i32_e32 v4, 31, v3
	v_lshlrev_b64 v[3:4], 2, v[3:4]
	s_delay_alu instid0(VALU_DEP_1) | instskip(NEXT) | instid1(VALU_DEP_2)
	v_add_co_u32 v3, vcc_lo, s0, v3
	v_add_co_ci_u32_e32 v4, vcc_lo, s1, v4, vcc_lo
	s_mov_b32 s0, exec_lo
	global_load_b64 v[3:4], v[3:4], off
	s_waitcnt vmcnt(0)
	v_sub_nc_u32_e32 v1, v4, v3
	s_delay_alu instid0(VALU_DEP_1)
	v_cmpx_lt_u32_e64 v6, v1
	s_cbranch_execz .LBB9_20
; %bb.19:
	v_dual_mov_b32 v2, 0 :: v_dual_add_nc_u32 v1, v3, v5
	s_delay_alu instid0(VALU_DEP_1) | instskip(NEXT) | instid1(VALU_DEP_1)
	v_lshlrev_b64 v[1:2], 2, v[1:2]
	v_add_co_u32 v3, vcc_lo, s2, v1
	s_delay_alu instid0(VALU_DEP_2)
	v_add_co_ci_u32_e32 v4, vcc_lo, s3, v2, vcc_lo
	v_add_co_u32 v1, vcc_lo, s4, v1
	v_add_co_ci_u32_e32 v2, vcc_lo, s5, v2, vcc_lo
	global_load_b32 v3, v[3:4], off
	global_load_b32 v5, v[1:2], off
	s_waitcnt vmcnt(1)
	v_subrev_nc_u32_e32 v3, s20, v3
	s_delay_alu instid0(VALU_DEP_1) | instskip(NEXT) | instid1(VALU_DEP_1)
	v_ashrrev_i32_e32 v4, 31, v3
	v_lshlrev_b64 v[3:4], 2, v[3:4]
	s_delay_alu instid0(VALU_DEP_1) | instskip(NEXT) | instid1(VALU_DEP_2)
	v_add_co_u32 v1, vcc_lo, s6, v3
	v_add_co_ci_u32_e32 v2, vcc_lo, s7, v4, vcc_lo
	global_load_b32 v1, v[1:2], off
	s_waitcnt vmcnt(1)
	v_mul_f32_e32 v2, s18, v5
	s_waitcnt vmcnt(0)
	s_delay_alu instid0(VALU_DEP_1)
	v_mul_f32_e32 v2, v2, v1
.LBB9_20:
	s_or_b32 exec_lo, exec_lo, s0
	v_lshlrev_b32_e32 v1, 2, v0
	ds_store_b32 v1, v2 offset:3072
.LBB9_21:
	s_or_b32 exec_lo, exec_lo, s19
	s_cmp_lt_u32 s16, 11
	s_waitcnt lgkmcnt(0)
	s_barrier
	buffer_gl0_inv
	s_cbranch_scc0 .LBB9_30
; %bb.22:
	v_cmp_neq_f32_e64 s0, s12, 0
	v_mov_b32_e32 v2, 0
	s_sub_i32 s1, s17, s15
	s_add_i32 s14, s14, s15
	s_mov_b32 s2, 0
	s_set_inst_prefetch_distance 0x1
	s_branch .LBB9_25
	.p2align	6
.LBB9_23:                               ;   in Loop: Header=BB9_25 Depth=1
	s_delay_alu instid0(VALU_DEP_1) | instskip(NEXT) | instid1(VALU_DEP_2)
	v_add_co_u32 v3, vcc_lo, s10, v3
	v_add_co_ci_u32_e32 v4, vcc_lo, s11, v4, vcc_lo
	global_store_b32 v[3:4], v1, off
.LBB9_24:                               ;   in Loop: Header=BB9_25 Depth=1
	s_or_b32 exec_lo, exec_lo, s3
	s_addk_i32 s2, 0x100
	s_delay_alu instid0(SALU_CYCLE_1)
	s_cmp_lt_u32 s2, s13
	s_cbranch_scc0 .LBB9_30
.LBB9_25:                               ; =>This Loop Header: Depth=1
                                        ;     Child Loop BB9_27 Depth 2
	v_add_nc_u32_e32 v4, s2, v0
	s_mov_b32 s3, exec_lo
	s_delay_alu instid0(VALU_DEP_1)
	v_cmpx_gt_u32_e64 s1, v4
	s_cbranch_execz .LBB9_24
; %bb.26:                               ;   in Loop: Header=BB9_25 Depth=1
	v_add_nc_u32_e32 v1, s14, v4
	s_mov_b32 s4, 1
	s_delay_alu instid0(VALU_DEP_1) | instskip(SKIP_1) | instid1(VALU_DEP_1)
	v_lshlrev_b64 v[5:6], 2, v[1:2]
	v_lshlrev_b32_e32 v1, s16, v4
	v_dual_mov_b32 v1, 0 :: v_dual_lshlrev_b32 v4, 2, v1
	s_delay_alu instid0(VALU_DEP_3) | instskip(NEXT) | instid1(VALU_DEP_4)
	v_add_co_u32 v5, vcc_lo, s8, v5
	v_add_co_ci_u32_e32 v6, vcc_lo, s9, v6, vcc_lo
	global_load_b32 v3, v[5:6], off
.LBB9_27:                               ;   Parent Loop BB9_25 Depth=1
                                        ; =>  This Inner Loop Header: Depth=2
	ds_load_b32 v5, v4
	v_add_nc_u32_e32 v4, 4, v4
	s_lshr_b32 s5, s4, s16
	s_add_i32 s4, s4, 1
	s_cmp_lg_u32 s5, 0
	s_waitcnt lgkmcnt(0)
	v_add_f32_e32 v1, v1, v5
	s_cbranch_scc0 .LBB9_27
; %bb.28:                               ;   in Loop: Header=BB9_25 Depth=1
	s_waitcnt vmcnt(0)
	v_ashrrev_i32_e32 v4, 31, v3
	s_and_b32 vcc_lo, exec_lo, s0
	s_delay_alu instid0(VALU_DEP_1)
	v_lshlrev_b64 v[3:4], 2, v[3:4]
	s_cbranch_vccz .LBB9_23
; %bb.29:                               ;   in Loop: Header=BB9_25 Depth=1
	s_delay_alu instid0(VALU_DEP_1) | instskip(NEXT) | instid1(VALU_DEP_2)
	v_add_co_u32 v5, vcc_lo, s10, v3
	v_add_co_ci_u32_e32 v6, vcc_lo, s11, v4, vcc_lo
	global_load_b32 v5, v[5:6], off
	s_waitcnt vmcnt(0)
	v_fmac_f32_e32 v1, s12, v5
	s_branch .LBB9_23
.LBB9_30:
	s_set_inst_prefetch_distance 0x2
	s_nop 0
	s_sendmsg sendmsg(MSG_DEALLOC_VGPRS)
	s_endpgm
	.section	.rodata,"a",@progbits
	.p2align	6, 0x0
	.amdhsa_kernel _ZN9rocsparseL30csrmvn_lrb_short_rows_2_kernelIiiffffEEvbT_PT0_S3_jNS_24const_host_device_scalarIT4_EEPKS1_PKS2_PKT1_PKT2_S6_PT3_21rocsparse_index_base_b
		.amdhsa_group_segment_fixed_size 4096
		.amdhsa_private_segment_fixed_size 0
		.amdhsa_kernarg_size 96
		.amdhsa_user_sgpr_count 15
		.amdhsa_user_sgpr_dispatch_ptr 0
		.amdhsa_user_sgpr_queue_ptr 0
		.amdhsa_user_sgpr_kernarg_segment_ptr 1
		.amdhsa_user_sgpr_dispatch_id 0
		.amdhsa_user_sgpr_private_segment_size 0
		.amdhsa_wavefront_size32 1
		.amdhsa_uses_dynamic_stack 0
		.amdhsa_enable_private_segment 0
		.amdhsa_system_sgpr_workgroup_id_x 1
		.amdhsa_system_sgpr_workgroup_id_y 0
		.amdhsa_system_sgpr_workgroup_id_z 0
		.amdhsa_system_sgpr_workgroup_info 0
		.amdhsa_system_vgpr_workitem_id 0
		.amdhsa_next_free_vgpr 8
		.amdhsa_next_free_sgpr 22
		.amdhsa_reserve_vcc 1
		.amdhsa_float_round_mode_32 0
		.amdhsa_float_round_mode_16_64 0
		.amdhsa_float_denorm_mode_32 3
		.amdhsa_float_denorm_mode_16_64 3
		.amdhsa_dx10_clamp 1
		.amdhsa_ieee_mode 1
		.amdhsa_fp16_overflow 0
		.amdhsa_workgroup_processor_mode 1
		.amdhsa_memory_ordered 1
		.amdhsa_forward_progress 0
		.amdhsa_shared_vgpr_count 0
		.amdhsa_exception_fp_ieee_invalid_op 0
		.amdhsa_exception_fp_denorm_src 0
		.amdhsa_exception_fp_ieee_div_zero 0
		.amdhsa_exception_fp_ieee_overflow 0
		.amdhsa_exception_fp_ieee_underflow 0
		.amdhsa_exception_fp_ieee_inexact 0
		.amdhsa_exception_int_div_zero 0
	.end_amdhsa_kernel
	.section	.text._ZN9rocsparseL30csrmvn_lrb_short_rows_2_kernelIiiffffEEvbT_PT0_S3_jNS_24const_host_device_scalarIT4_EEPKS1_PKS2_PKT1_PKT2_S6_PT3_21rocsparse_index_base_b,"axG",@progbits,_ZN9rocsparseL30csrmvn_lrb_short_rows_2_kernelIiiffffEEvbT_PT0_S3_jNS_24const_host_device_scalarIT4_EEPKS1_PKS2_PKT1_PKT2_S6_PT3_21rocsparse_index_base_b,comdat
.Lfunc_end9:
	.size	_ZN9rocsparseL30csrmvn_lrb_short_rows_2_kernelIiiffffEEvbT_PT0_S3_jNS_24const_host_device_scalarIT4_EEPKS1_PKS2_PKT1_PKT2_S6_PT3_21rocsparse_index_base_b, .Lfunc_end9-_ZN9rocsparseL30csrmvn_lrb_short_rows_2_kernelIiiffffEEvbT_PT0_S3_jNS_24const_host_device_scalarIT4_EEPKS1_PKS2_PKT1_PKT2_S6_PT3_21rocsparse_index_base_b
                                        ; -- End function
	.section	.AMDGPU.csdata,"",@progbits
; Kernel info:
; codeLenInByte = 1760
; NumSgprs: 24
; NumVgprs: 8
; ScratchSize: 0
; MemoryBound: 0
; FloatMode: 240
; IeeeMode: 1
; LDSByteSize: 4096 bytes/workgroup (compile time only)
; SGPRBlocks: 2
; VGPRBlocks: 0
; NumSGPRsForWavesPerEU: 24
; NumVGPRsForWavesPerEU: 8
; Occupancy: 16
; WaveLimiterHint : 1
; COMPUTE_PGM_RSRC2:SCRATCH_EN: 0
; COMPUTE_PGM_RSRC2:USER_SGPR: 15
; COMPUTE_PGM_RSRC2:TRAP_HANDLER: 0
; COMPUTE_PGM_RSRC2:TGID_X_EN: 1
; COMPUTE_PGM_RSRC2:TGID_Y_EN: 0
; COMPUTE_PGM_RSRC2:TGID_Z_EN: 0
; COMPUTE_PGM_RSRC2:TIDIG_COMP_CNT: 0
	.section	.text._ZN9rocsparseL41csrmvn_lrb_medium_rows_warp_reduce_kernelILj256ELj32EiiffffEEvbT1_lPT2_S3_jNS_24const_host_device_scalarIT6_EEPKS1_PKS2_PKT3_PKT4_S6_PT5_21rocsparse_index_base_b,"axG",@progbits,_ZN9rocsparseL41csrmvn_lrb_medium_rows_warp_reduce_kernelILj256ELj32EiiffffEEvbT1_lPT2_S3_jNS_24const_host_device_scalarIT6_EEPKS1_PKS2_PKT3_PKT4_S6_PT5_21rocsparse_index_base_b,comdat
	.globl	_ZN9rocsparseL41csrmvn_lrb_medium_rows_warp_reduce_kernelILj256ELj32EiiffffEEvbT1_lPT2_S3_jNS_24const_host_device_scalarIT6_EEPKS1_PKS2_PKT3_PKT4_S6_PT5_21rocsparse_index_base_b ; -- Begin function _ZN9rocsparseL41csrmvn_lrb_medium_rows_warp_reduce_kernelILj256ELj32EiiffffEEvbT1_lPT2_S3_jNS_24const_host_device_scalarIT6_EEPKS1_PKS2_PKT3_PKT4_S6_PT5_21rocsparse_index_base_b
	.p2align	8
	.type	_ZN9rocsparseL41csrmvn_lrb_medium_rows_warp_reduce_kernelILj256ELj32EiiffffEEvbT1_lPT2_S3_jNS_24const_host_device_scalarIT6_EEPKS1_PKS2_PKT3_PKT4_S6_PT5_21rocsparse_index_base_b,@function
_ZN9rocsparseL41csrmvn_lrb_medium_rows_warp_reduce_kernelILj256ELj32EiiffffEEvbT1_lPT2_S3_jNS_24const_host_device_scalarIT6_EEPKS1_PKS2_PKT3_PKT4_S6_PT5_21rocsparse_index_base_b: ; @_ZN9rocsparseL41csrmvn_lrb_medium_rows_warp_reduce_kernelILj256ELj32EiiffffEEvbT1_lPT2_S3_jNS_24const_host_device_scalarIT6_EEPKS1_PKS2_PKT3_PKT4_S6_PT5_21rocsparse_index_base_b
; %bb.0:
	s_clause 0x2
	s_load_b64 s[8:9], s[0:1], 0x60
	s_load_b64 s[10:11], s[0:1], 0x28
	;; [unrolled: 1-line block ×3, first 2 shown]
	s_waitcnt lgkmcnt(0)
	s_bitcmp1_b32 s9, 0
	s_cselect_b32 s4, -1, 0
	s_delay_alu instid0(SALU_CYCLE_1)
	s_and_b32 vcc_lo, exec_lo, s4
	s_xor_b32 s4, s4, -1
	s_cbranch_vccnz .LBB10_2
; %bb.1:
	s_load_b32 s10, s[10:11], 0x0
.LBB10_2:
	s_and_not1_b32 vcc_lo, exec_lo, s4
	s_cbranch_vccnz .LBB10_4
; %bb.3:
	s_load_b32 s2, s[2:3], 0x0
.LBB10_4:
	s_waitcnt lgkmcnt(0)
	v_cmp_neq_f32_e64 s3, s10, 0
	v_cmp_neq_f32_e64 s4, s2, 1.0
	s_delay_alu instid0(VALU_DEP_1) | instskip(NEXT) | instid1(SALU_CYCLE_1)
	s_or_b32 s3, s3, s4
	s_and_not1_b32 vcc_lo, exec_lo, s3
	s_cbranch_vccnz .LBB10_14
; %bb.5:
	s_load_b64 s[4:5], s[0:1], 0x8
	v_lshrrev_b32_e32 v1, 5, v0
	s_mov_b32 s3, exec_lo
	s_delay_alu instid0(VALU_DEP_1) | instskip(NEXT) | instid1(VALU_DEP_1)
	v_lshl_or_b32 v1, s15, 3, v1
	v_ashrrev_i32_e32 v2, 31, v1
	s_waitcnt lgkmcnt(0)
	s_delay_alu instid0(VALU_DEP_1)
	v_cmpx_gt_i64_e64 s[4:5], v[1:2]
	s_cbranch_execz .LBB10_14
; %bb.6:
	s_clause 0x1
	s_load_b32 s14, s[0:1], 0x20
	s_load_b128 s[4:7], s[0:1], 0x10
	s_mov_b32 s15, 0
	v_and_b32_e32 v0, 31, v0
	s_delay_alu instid0(VALU_DEP_1) | instskip(SKIP_2) | instid1(SALU_CYCLE_1)
	v_subrev_nc_u32_e32 v5, s8, v0
	s_waitcnt lgkmcnt(0)
	s_lshl_b64 s[12:13], s[14:15], 2
	s_add_u32 s6, s6, s12
	s_addc_u32 s7, s7, s13
	s_load_b64 s[12:13], s[0:1], 0x58
	s_load_b32 s3, s[6:7], 0x0
	s_waitcnt lgkmcnt(0)
	v_add_nc_u32_e32 v1, s3, v1
	s_mov_b32 s3, exec_lo
	s_delay_alu instid0(VALU_DEP_1) | instskip(NEXT) | instid1(VALU_DEP_1)
	v_ashrrev_i32_e32 v2, 31, v1
	v_lshlrev_b64 v[1:2], 2, v[1:2]
	s_delay_alu instid0(VALU_DEP_1) | instskip(NEXT) | instid1(VALU_DEP_2)
	v_add_co_u32 v1, vcc_lo, s4, v1
	v_add_co_ci_u32_e32 v2, vcc_lo, s5, v2, vcc_lo
	s_load_b64 s[4:5], s[0:1], 0x30
	global_load_b32 v1, v[1:2], off
	s_waitcnt vmcnt(0)
	v_ashrrev_i32_e32 v2, 31, v1
	s_delay_alu instid0(VALU_DEP_1) | instskip(SKIP_1) | instid1(VALU_DEP_1)
	v_lshlrev_b64 v[1:2], 2, v[1:2]
	s_waitcnt lgkmcnt(0)
	v_add_co_u32 v3, vcc_lo, s4, v1
	s_delay_alu instid0(VALU_DEP_2)
	v_add_co_ci_u32_e32 v4, vcc_lo, s5, v2, vcc_lo
	global_load_b64 v[3:4], v[3:4], off
	s_waitcnt vmcnt(0)
	v_subrev_nc_u32_e32 v6, s8, v4
	v_add_nc_u32_e32 v3, v3, v5
	v_mov_b32_e32 v5, 0
	s_delay_alu instid0(VALU_DEP_2)
	v_cmpx_lt_i32_e64 v3, v6
	s_cbranch_execz .LBB10_10
; %bb.7:
	s_clause 0x1
	s_load_b128 s[4:7], s[0:1], 0x38
	s_load_b64 s[0:1], s[0:1], 0x48
	v_mov_b32_e32 v5, 0
	.p2align	6
.LBB10_8:                               ; =>This Inner Loop Header: Depth=1
	v_ashrrev_i32_e32 v4, 31, v3
	s_delay_alu instid0(VALU_DEP_1) | instskip(SKIP_1) | instid1(VALU_DEP_1)
	v_lshlrev_b64 v[7:8], 2, v[3:4]
	s_waitcnt lgkmcnt(0)
	v_add_co_u32 v9, vcc_lo, s4, v7
	s_delay_alu instid0(VALU_DEP_2)
	v_add_co_ci_u32_e32 v10, vcc_lo, s5, v8, vcc_lo
	v_add_co_u32 v7, vcc_lo, s6, v7
	v_add_co_ci_u32_e32 v8, vcc_lo, s7, v8, vcc_lo
	global_load_b32 v4, v[9:10], off
	s_waitcnt vmcnt(0)
	v_subrev_nc_u32_e32 v9, s8, v4
	global_load_b32 v4, v[7:8], off
	v_add_nc_u32_e32 v3, 32, v3
	v_ashrrev_i32_e32 v10, 31, v9
	s_delay_alu instid0(VALU_DEP_1) | instskip(NEXT) | instid1(VALU_DEP_1)
	v_lshlrev_b64 v[9:10], 2, v[9:10]
	v_add_co_u32 v7, vcc_lo, s0, v9
	s_delay_alu instid0(VALU_DEP_2)
	v_add_co_ci_u32_e32 v8, vcc_lo, s1, v10, vcc_lo
	global_load_b32 v7, v[7:8], off
	s_waitcnt vmcnt(1)
	v_mul_f32_e32 v4, s10, v4
	v_cmp_ge_i32_e32 vcc_lo, v3, v6
	s_or_b32 s15, vcc_lo, s15
	s_waitcnt vmcnt(0)
	s_delay_alu instid0(VALU_DEP_2)
	v_fmac_f32_e32 v5, v4, v7
	s_and_not1_b32 exec_lo, exec_lo, s15
	s_cbranch_execnz .LBB10_8
; %bb.9:
	s_or_b32 exec_lo, exec_lo, s15
.LBB10_10:
	s_delay_alu instid0(SALU_CYCLE_1) | instskip(SKIP_1) | instid1(VALU_DEP_1)
	s_or_b32 exec_lo, exec_lo, s3
	v_mbcnt_lo_u32_b32 v3, -1, 0
	v_xor_b32_e32 v4, 16, v3
	v_xor_b32_e32 v6, 8, v3
	s_delay_alu instid0(VALU_DEP_2) | instskip(SKIP_1) | instid1(VALU_DEP_3)
	v_cmp_gt_i32_e32 vcc_lo, 32, v4
	v_cndmask_b32_e32 v4, v3, v4, vcc_lo
	v_cmp_gt_i32_e32 vcc_lo, 32, v6
	s_delay_alu instid0(VALU_DEP_2)
	v_lshlrev_b32_e32 v4, 2, v4
	v_cndmask_b32_e32 v6, v3, v6, vcc_lo
	ds_bpermute_b32 v4, v4, v5
	v_lshlrev_b32_e32 v6, 2, v6
	s_waitcnt lgkmcnt(0)
	v_add_f32_e32 v4, v5, v4
	ds_bpermute_b32 v5, v6, v4
	v_xor_b32_e32 v6, 4, v3
	s_delay_alu instid0(VALU_DEP_1) | instskip(SKIP_1) | instid1(VALU_DEP_1)
	v_cmp_gt_i32_e32 vcc_lo, 32, v6
	v_cndmask_b32_e32 v6, v3, v6, vcc_lo
	v_lshlrev_b32_e32 v6, 2, v6
	s_waitcnt lgkmcnt(0)
	v_add_f32_e32 v4, v4, v5
	ds_bpermute_b32 v5, v6, v4
	v_xor_b32_e32 v6, 2, v3
	s_delay_alu instid0(VALU_DEP_1) | instskip(SKIP_1) | instid1(VALU_DEP_1)
	v_cmp_gt_i32_e32 vcc_lo, 32, v6
	v_cndmask_b32_e32 v6, v3, v6, vcc_lo
	v_lshlrev_b32_e32 v6, 2, v6
	s_waitcnt lgkmcnt(0)
	v_add_f32_e32 v4, v4, v5
	ds_bpermute_b32 v5, v6, v4
	v_xor_b32_e32 v6, 1, v3
	s_delay_alu instid0(VALU_DEP_1) | instskip(SKIP_3) | instid1(VALU_DEP_2)
	v_cmp_gt_i32_e32 vcc_lo, 32, v6
	v_cndmask_b32_e32 v6, v3, v6, vcc_lo
	v_cmp_eq_u32_e32 vcc_lo, 31, v0
	s_waitcnt lgkmcnt(0)
	v_dual_add_f32 v3, v4, v5 :: v_dual_lshlrev_b32 v4, 2, v6
	ds_bpermute_b32 v4, v4, v3
	s_and_b32 exec_lo, exec_lo, vcc_lo
	s_cbranch_execz .LBB10_14
; %bb.11:
	v_cmp_eq_f32_e64 s0, s2, 0
	s_waitcnt lgkmcnt(0)
	v_add_f32_e32 v0, v3, v4
	s_delay_alu instid0(VALU_DEP_2)
	s_and_b32 vcc_lo, exec_lo, s0
	s_cbranch_vccnz .LBB10_13
; %bb.12:
	v_add_co_u32 v3, vcc_lo, s12, v1
	v_add_co_ci_u32_e32 v4, vcc_lo, s13, v2, vcc_lo
	global_load_b32 v3, v[3:4], off
	s_waitcnt vmcnt(0)
	v_fmac_f32_e32 v0, s2, v3
.LBB10_13:
	v_add_co_u32 v1, vcc_lo, s12, v1
	v_add_co_ci_u32_e32 v2, vcc_lo, s13, v2, vcc_lo
	global_store_b32 v[1:2], v0, off
.LBB10_14:
	s_nop 0
	s_sendmsg sendmsg(MSG_DEALLOC_VGPRS)
	s_endpgm
	.section	.rodata,"a",@progbits
	.p2align	6, 0x0
	.amdhsa_kernel _ZN9rocsparseL41csrmvn_lrb_medium_rows_warp_reduce_kernelILj256ELj32EiiffffEEvbT1_lPT2_S3_jNS_24const_host_device_scalarIT6_EEPKS1_PKS2_PKT3_PKT4_S6_PT5_21rocsparse_index_base_b
		.amdhsa_group_segment_fixed_size 0
		.amdhsa_private_segment_fixed_size 0
		.amdhsa_kernarg_size 104
		.amdhsa_user_sgpr_count 15
		.amdhsa_user_sgpr_dispatch_ptr 0
		.amdhsa_user_sgpr_queue_ptr 0
		.amdhsa_user_sgpr_kernarg_segment_ptr 1
		.amdhsa_user_sgpr_dispatch_id 0
		.amdhsa_user_sgpr_private_segment_size 0
		.amdhsa_wavefront_size32 1
		.amdhsa_uses_dynamic_stack 0
		.amdhsa_enable_private_segment 0
		.amdhsa_system_sgpr_workgroup_id_x 1
		.amdhsa_system_sgpr_workgroup_id_y 0
		.amdhsa_system_sgpr_workgroup_id_z 0
		.amdhsa_system_sgpr_workgroup_info 0
		.amdhsa_system_vgpr_workitem_id 0
		.amdhsa_next_free_vgpr 11
		.amdhsa_next_free_sgpr 16
		.amdhsa_reserve_vcc 1
		.amdhsa_float_round_mode_32 0
		.amdhsa_float_round_mode_16_64 0
		.amdhsa_float_denorm_mode_32 3
		.amdhsa_float_denorm_mode_16_64 3
		.amdhsa_dx10_clamp 1
		.amdhsa_ieee_mode 1
		.amdhsa_fp16_overflow 0
		.amdhsa_workgroup_processor_mode 1
		.amdhsa_memory_ordered 1
		.amdhsa_forward_progress 0
		.amdhsa_shared_vgpr_count 0
		.amdhsa_exception_fp_ieee_invalid_op 0
		.amdhsa_exception_fp_denorm_src 0
		.amdhsa_exception_fp_ieee_div_zero 0
		.amdhsa_exception_fp_ieee_overflow 0
		.amdhsa_exception_fp_ieee_underflow 0
		.amdhsa_exception_fp_ieee_inexact 0
		.amdhsa_exception_int_div_zero 0
	.end_amdhsa_kernel
	.section	.text._ZN9rocsparseL41csrmvn_lrb_medium_rows_warp_reduce_kernelILj256ELj32EiiffffEEvbT1_lPT2_S3_jNS_24const_host_device_scalarIT6_EEPKS1_PKS2_PKT3_PKT4_S6_PT5_21rocsparse_index_base_b,"axG",@progbits,_ZN9rocsparseL41csrmvn_lrb_medium_rows_warp_reduce_kernelILj256ELj32EiiffffEEvbT1_lPT2_S3_jNS_24const_host_device_scalarIT6_EEPKS1_PKS2_PKT3_PKT4_S6_PT5_21rocsparse_index_base_b,comdat
.Lfunc_end10:
	.size	_ZN9rocsparseL41csrmvn_lrb_medium_rows_warp_reduce_kernelILj256ELj32EiiffffEEvbT1_lPT2_S3_jNS_24const_host_device_scalarIT6_EEPKS1_PKS2_PKT3_PKT4_S6_PT5_21rocsparse_index_base_b, .Lfunc_end10-_ZN9rocsparseL41csrmvn_lrb_medium_rows_warp_reduce_kernelILj256ELj32EiiffffEEvbT1_lPT2_S3_jNS_24const_host_device_scalarIT6_EEPKS1_PKS2_PKT3_PKT4_S6_PT5_21rocsparse_index_base_b
                                        ; -- End function
	.section	.AMDGPU.csdata,"",@progbits
; Kernel info:
; codeLenInByte = 844
; NumSgprs: 18
; NumVgprs: 11
; ScratchSize: 0
; MemoryBound: 0
; FloatMode: 240
; IeeeMode: 1
; LDSByteSize: 0 bytes/workgroup (compile time only)
; SGPRBlocks: 2
; VGPRBlocks: 1
; NumSGPRsForWavesPerEU: 18
; NumVGPRsForWavesPerEU: 11
; Occupancy: 16
; WaveLimiterHint : 1
; COMPUTE_PGM_RSRC2:SCRATCH_EN: 0
; COMPUTE_PGM_RSRC2:USER_SGPR: 15
; COMPUTE_PGM_RSRC2:TRAP_HANDLER: 0
; COMPUTE_PGM_RSRC2:TGID_X_EN: 1
; COMPUTE_PGM_RSRC2:TGID_Y_EN: 0
; COMPUTE_PGM_RSRC2:TGID_Z_EN: 0
; COMPUTE_PGM_RSRC2:TIDIG_COMP_CNT: 0
	.section	.text._ZN9rocsparseL41csrmvn_lrb_medium_rows_warp_reduce_kernelILj256ELj64EiiffffEEvbT1_lPT2_S3_jNS_24const_host_device_scalarIT6_EEPKS1_PKS2_PKT3_PKT4_S6_PT5_21rocsparse_index_base_b,"axG",@progbits,_ZN9rocsparseL41csrmvn_lrb_medium_rows_warp_reduce_kernelILj256ELj64EiiffffEEvbT1_lPT2_S3_jNS_24const_host_device_scalarIT6_EEPKS1_PKS2_PKT3_PKT4_S6_PT5_21rocsparse_index_base_b,comdat
	.globl	_ZN9rocsparseL41csrmvn_lrb_medium_rows_warp_reduce_kernelILj256ELj64EiiffffEEvbT1_lPT2_S3_jNS_24const_host_device_scalarIT6_EEPKS1_PKS2_PKT3_PKT4_S6_PT5_21rocsparse_index_base_b ; -- Begin function _ZN9rocsparseL41csrmvn_lrb_medium_rows_warp_reduce_kernelILj256ELj64EiiffffEEvbT1_lPT2_S3_jNS_24const_host_device_scalarIT6_EEPKS1_PKS2_PKT3_PKT4_S6_PT5_21rocsparse_index_base_b
	.p2align	8
	.type	_ZN9rocsparseL41csrmvn_lrb_medium_rows_warp_reduce_kernelILj256ELj64EiiffffEEvbT1_lPT2_S3_jNS_24const_host_device_scalarIT6_EEPKS1_PKS2_PKT3_PKT4_S6_PT5_21rocsparse_index_base_b,@function
_ZN9rocsparseL41csrmvn_lrb_medium_rows_warp_reduce_kernelILj256ELj64EiiffffEEvbT1_lPT2_S3_jNS_24const_host_device_scalarIT6_EEPKS1_PKS2_PKT3_PKT4_S6_PT5_21rocsparse_index_base_b: ; @_ZN9rocsparseL41csrmvn_lrb_medium_rows_warp_reduce_kernelILj256ELj64EiiffffEEvbT1_lPT2_S3_jNS_24const_host_device_scalarIT6_EEPKS1_PKS2_PKT3_PKT4_S6_PT5_21rocsparse_index_base_b
; %bb.0:
	s_clause 0x2
	s_load_b64 s[8:9], s[0:1], 0x60
	s_load_b64 s[10:11], s[0:1], 0x28
	;; [unrolled: 1-line block ×3, first 2 shown]
	s_waitcnt lgkmcnt(0)
	s_bitcmp1_b32 s9, 0
	s_cselect_b32 s4, -1, 0
	s_delay_alu instid0(SALU_CYCLE_1)
	s_and_b32 vcc_lo, exec_lo, s4
	s_xor_b32 s4, s4, -1
	s_cbranch_vccnz .LBB11_2
; %bb.1:
	s_load_b32 s10, s[10:11], 0x0
.LBB11_2:
	s_and_not1_b32 vcc_lo, exec_lo, s4
	s_cbranch_vccnz .LBB11_4
; %bb.3:
	s_load_b32 s2, s[2:3], 0x0
.LBB11_4:
	s_waitcnt lgkmcnt(0)
	v_cmp_neq_f32_e64 s3, s10, 0
	v_cmp_neq_f32_e64 s4, s2, 1.0
	s_delay_alu instid0(VALU_DEP_1) | instskip(NEXT) | instid1(SALU_CYCLE_1)
	s_or_b32 s3, s3, s4
	s_and_not1_b32 vcc_lo, exec_lo, s3
	s_cbranch_vccnz .LBB11_14
; %bb.5:
	s_load_b64 s[4:5], s[0:1], 0x8
	v_lshrrev_b32_e32 v1, 6, v0
	s_mov_b32 s3, exec_lo
	s_delay_alu instid0(VALU_DEP_1) | instskip(NEXT) | instid1(VALU_DEP_1)
	v_lshl_or_b32 v1, s15, 2, v1
	v_ashrrev_i32_e32 v2, 31, v1
	s_waitcnt lgkmcnt(0)
	s_delay_alu instid0(VALU_DEP_1)
	v_cmpx_gt_i64_e64 s[4:5], v[1:2]
	s_cbranch_execz .LBB11_14
; %bb.6:
	s_clause 0x1
	s_load_b32 s14, s[0:1], 0x20
	s_load_b128 s[4:7], s[0:1], 0x10
	s_mov_b32 s15, 0
	v_and_b32_e32 v0, 63, v0
	s_delay_alu instid0(VALU_DEP_1) | instskip(SKIP_2) | instid1(SALU_CYCLE_1)
	v_subrev_nc_u32_e32 v5, s8, v0
	s_waitcnt lgkmcnt(0)
	s_lshl_b64 s[12:13], s[14:15], 2
	s_add_u32 s6, s6, s12
	s_addc_u32 s7, s7, s13
	s_load_b64 s[12:13], s[0:1], 0x58
	s_load_b32 s3, s[6:7], 0x0
	s_waitcnt lgkmcnt(0)
	v_add_nc_u32_e32 v1, s3, v1
	s_mov_b32 s3, exec_lo
	s_delay_alu instid0(VALU_DEP_1) | instskip(NEXT) | instid1(VALU_DEP_1)
	v_ashrrev_i32_e32 v2, 31, v1
	v_lshlrev_b64 v[1:2], 2, v[1:2]
	s_delay_alu instid0(VALU_DEP_1) | instskip(NEXT) | instid1(VALU_DEP_2)
	v_add_co_u32 v1, vcc_lo, s4, v1
	v_add_co_ci_u32_e32 v2, vcc_lo, s5, v2, vcc_lo
	s_load_b64 s[4:5], s[0:1], 0x30
	global_load_b32 v1, v[1:2], off
	s_waitcnt vmcnt(0)
	v_ashrrev_i32_e32 v2, 31, v1
	s_delay_alu instid0(VALU_DEP_1) | instskip(SKIP_1) | instid1(VALU_DEP_1)
	v_lshlrev_b64 v[1:2], 2, v[1:2]
	s_waitcnt lgkmcnt(0)
	v_add_co_u32 v3, vcc_lo, s4, v1
	s_delay_alu instid0(VALU_DEP_2)
	v_add_co_ci_u32_e32 v4, vcc_lo, s5, v2, vcc_lo
	global_load_b64 v[3:4], v[3:4], off
	s_waitcnt vmcnt(0)
	v_subrev_nc_u32_e32 v6, s8, v4
	v_add_nc_u32_e32 v3, v3, v5
	v_mov_b32_e32 v5, 0
	s_delay_alu instid0(VALU_DEP_2)
	v_cmpx_lt_i32_e64 v3, v6
	s_cbranch_execz .LBB11_10
; %bb.7:
	s_clause 0x1
	s_load_b128 s[4:7], s[0:1], 0x38
	s_load_b64 s[0:1], s[0:1], 0x48
	v_mov_b32_e32 v5, 0
	.p2align	6
.LBB11_8:                               ; =>This Inner Loop Header: Depth=1
	v_ashrrev_i32_e32 v4, 31, v3
	s_delay_alu instid0(VALU_DEP_1) | instskip(SKIP_1) | instid1(VALU_DEP_1)
	v_lshlrev_b64 v[7:8], 2, v[3:4]
	s_waitcnt lgkmcnt(0)
	v_add_co_u32 v9, vcc_lo, s4, v7
	s_delay_alu instid0(VALU_DEP_2)
	v_add_co_ci_u32_e32 v10, vcc_lo, s5, v8, vcc_lo
	v_add_co_u32 v7, vcc_lo, s6, v7
	v_add_co_ci_u32_e32 v8, vcc_lo, s7, v8, vcc_lo
	global_load_b32 v4, v[9:10], off
	s_waitcnt vmcnt(0)
	v_subrev_nc_u32_e32 v9, s8, v4
	global_load_b32 v4, v[7:8], off
	v_add_nc_u32_e32 v3, 64, v3
	v_ashrrev_i32_e32 v10, 31, v9
	s_delay_alu instid0(VALU_DEP_1) | instskip(NEXT) | instid1(VALU_DEP_1)
	v_lshlrev_b64 v[9:10], 2, v[9:10]
	v_add_co_u32 v7, vcc_lo, s0, v9
	s_delay_alu instid0(VALU_DEP_2)
	v_add_co_ci_u32_e32 v8, vcc_lo, s1, v10, vcc_lo
	global_load_b32 v7, v[7:8], off
	s_waitcnt vmcnt(1)
	v_mul_f32_e32 v4, s10, v4
	v_cmp_ge_i32_e32 vcc_lo, v3, v6
	s_or_b32 s15, vcc_lo, s15
	s_waitcnt vmcnt(0)
	s_delay_alu instid0(VALU_DEP_2)
	v_fmac_f32_e32 v5, v4, v7
	s_and_not1_b32 exec_lo, exec_lo, s15
	s_cbranch_execnz .LBB11_8
; %bb.9:
	s_or_b32 exec_lo, exec_lo, s15
.LBB11_10:
	s_delay_alu instid0(SALU_CYCLE_1) | instskip(SKIP_1) | instid1(VALU_DEP_1)
	s_or_b32 exec_lo, exec_lo, s3
	v_mbcnt_lo_u32_b32 v3, -1, 0
	v_or_b32_e32 v4, 32, v3
	v_xor_b32_e32 v6, 16, v3
	s_delay_alu instid0(VALU_DEP_2) | instskip(SKIP_1) | instid1(VALU_DEP_3)
	v_cmp_gt_i32_e32 vcc_lo, 32, v4
	v_cndmask_b32_e32 v4, v3, v4, vcc_lo
	v_cmp_gt_i32_e32 vcc_lo, 32, v6
	s_delay_alu instid0(VALU_DEP_2)
	v_lshlrev_b32_e32 v4, 2, v4
	v_cndmask_b32_e32 v6, v3, v6, vcc_lo
	ds_bpermute_b32 v4, v4, v5
	v_lshlrev_b32_e32 v6, 2, v6
	s_waitcnt lgkmcnt(0)
	v_add_f32_e32 v4, v5, v4
	ds_bpermute_b32 v5, v6, v4
	v_xor_b32_e32 v6, 8, v3
	s_delay_alu instid0(VALU_DEP_1) | instskip(SKIP_1) | instid1(VALU_DEP_1)
	v_cmp_gt_i32_e32 vcc_lo, 32, v6
	v_cndmask_b32_e32 v6, v3, v6, vcc_lo
	v_lshlrev_b32_e32 v6, 2, v6
	s_waitcnt lgkmcnt(0)
	v_add_f32_e32 v4, v4, v5
	ds_bpermute_b32 v5, v6, v4
	v_xor_b32_e32 v6, 4, v3
	s_delay_alu instid0(VALU_DEP_1) | instskip(SKIP_1) | instid1(VALU_DEP_1)
	v_cmp_gt_i32_e32 vcc_lo, 32, v6
	v_cndmask_b32_e32 v6, v3, v6, vcc_lo
	;; [unrolled: 8-line block ×3, first 2 shown]
	v_lshlrev_b32_e32 v6, 2, v6
	s_waitcnt lgkmcnt(0)
	v_add_f32_e32 v4, v4, v5
	ds_bpermute_b32 v5, v6, v4
	v_xor_b32_e32 v6, 1, v3
	s_delay_alu instid0(VALU_DEP_1) | instskip(SKIP_3) | instid1(VALU_DEP_2)
	v_cmp_gt_i32_e32 vcc_lo, 32, v6
	v_cndmask_b32_e32 v6, v3, v6, vcc_lo
	v_cmp_eq_u32_e32 vcc_lo, 63, v0
	s_waitcnt lgkmcnt(0)
	v_dual_add_f32 v3, v4, v5 :: v_dual_lshlrev_b32 v4, 2, v6
	ds_bpermute_b32 v4, v4, v3
	s_and_b32 exec_lo, exec_lo, vcc_lo
	s_cbranch_execz .LBB11_14
; %bb.11:
	v_cmp_eq_f32_e64 s0, s2, 0
	s_waitcnt lgkmcnt(0)
	v_add_f32_e32 v0, v3, v4
	s_delay_alu instid0(VALU_DEP_2)
	s_and_b32 vcc_lo, exec_lo, s0
	s_cbranch_vccnz .LBB11_13
; %bb.12:
	v_add_co_u32 v3, vcc_lo, s12, v1
	v_add_co_ci_u32_e32 v4, vcc_lo, s13, v2, vcc_lo
	global_load_b32 v3, v[3:4], off
	s_waitcnt vmcnt(0)
	v_fmac_f32_e32 v0, s2, v3
.LBB11_13:
	v_add_co_u32 v1, vcc_lo, s12, v1
	v_add_co_ci_u32_e32 v2, vcc_lo, s13, v2, vcc_lo
	global_store_b32 v[1:2], v0, off
.LBB11_14:
	s_nop 0
	s_sendmsg sendmsg(MSG_DEALLOC_VGPRS)
	s_endpgm
	.section	.rodata,"a",@progbits
	.p2align	6, 0x0
	.amdhsa_kernel _ZN9rocsparseL41csrmvn_lrb_medium_rows_warp_reduce_kernelILj256ELj64EiiffffEEvbT1_lPT2_S3_jNS_24const_host_device_scalarIT6_EEPKS1_PKS2_PKT3_PKT4_S6_PT5_21rocsparse_index_base_b
		.amdhsa_group_segment_fixed_size 0
		.amdhsa_private_segment_fixed_size 0
		.amdhsa_kernarg_size 104
		.amdhsa_user_sgpr_count 15
		.amdhsa_user_sgpr_dispatch_ptr 0
		.amdhsa_user_sgpr_queue_ptr 0
		.amdhsa_user_sgpr_kernarg_segment_ptr 1
		.amdhsa_user_sgpr_dispatch_id 0
		.amdhsa_user_sgpr_private_segment_size 0
		.amdhsa_wavefront_size32 1
		.amdhsa_uses_dynamic_stack 0
		.amdhsa_enable_private_segment 0
		.amdhsa_system_sgpr_workgroup_id_x 1
		.amdhsa_system_sgpr_workgroup_id_y 0
		.amdhsa_system_sgpr_workgroup_id_z 0
		.amdhsa_system_sgpr_workgroup_info 0
		.amdhsa_system_vgpr_workitem_id 0
		.amdhsa_next_free_vgpr 11
		.amdhsa_next_free_sgpr 16
		.amdhsa_reserve_vcc 1
		.amdhsa_float_round_mode_32 0
		.amdhsa_float_round_mode_16_64 0
		.amdhsa_float_denorm_mode_32 3
		.amdhsa_float_denorm_mode_16_64 3
		.amdhsa_dx10_clamp 1
		.amdhsa_ieee_mode 1
		.amdhsa_fp16_overflow 0
		.amdhsa_workgroup_processor_mode 1
		.amdhsa_memory_ordered 1
		.amdhsa_forward_progress 0
		.amdhsa_shared_vgpr_count 0
		.amdhsa_exception_fp_ieee_invalid_op 0
		.amdhsa_exception_fp_denorm_src 0
		.amdhsa_exception_fp_ieee_div_zero 0
		.amdhsa_exception_fp_ieee_overflow 0
		.amdhsa_exception_fp_ieee_underflow 0
		.amdhsa_exception_fp_ieee_inexact 0
		.amdhsa_exception_int_div_zero 0
	.end_amdhsa_kernel
	.section	.text._ZN9rocsparseL41csrmvn_lrb_medium_rows_warp_reduce_kernelILj256ELj64EiiffffEEvbT1_lPT2_S3_jNS_24const_host_device_scalarIT6_EEPKS1_PKS2_PKT3_PKT4_S6_PT5_21rocsparse_index_base_b,"axG",@progbits,_ZN9rocsparseL41csrmvn_lrb_medium_rows_warp_reduce_kernelILj256ELj64EiiffffEEvbT1_lPT2_S3_jNS_24const_host_device_scalarIT6_EEPKS1_PKS2_PKT3_PKT4_S6_PT5_21rocsparse_index_base_b,comdat
.Lfunc_end11:
	.size	_ZN9rocsparseL41csrmvn_lrb_medium_rows_warp_reduce_kernelILj256ELj64EiiffffEEvbT1_lPT2_S3_jNS_24const_host_device_scalarIT6_EEPKS1_PKS2_PKT3_PKT4_S6_PT5_21rocsparse_index_base_b, .Lfunc_end11-_ZN9rocsparseL41csrmvn_lrb_medium_rows_warp_reduce_kernelILj256ELj64EiiffffEEvbT1_lPT2_S3_jNS_24const_host_device_scalarIT6_EEPKS1_PKS2_PKT3_PKT4_S6_PT5_21rocsparse_index_base_b
                                        ; -- End function
	.section	.AMDGPU.csdata,"",@progbits
; Kernel info:
; codeLenInByte = 880
; NumSgprs: 18
; NumVgprs: 11
; ScratchSize: 0
; MemoryBound: 0
; FloatMode: 240
; IeeeMode: 1
; LDSByteSize: 0 bytes/workgroup (compile time only)
; SGPRBlocks: 2
; VGPRBlocks: 1
; NumSGPRsForWavesPerEU: 18
; NumVGPRsForWavesPerEU: 11
; Occupancy: 16
; WaveLimiterHint : 1
; COMPUTE_PGM_RSRC2:SCRATCH_EN: 0
; COMPUTE_PGM_RSRC2:USER_SGPR: 15
; COMPUTE_PGM_RSRC2:TRAP_HANDLER: 0
; COMPUTE_PGM_RSRC2:TGID_X_EN: 1
; COMPUTE_PGM_RSRC2:TGID_Y_EN: 0
; COMPUTE_PGM_RSRC2:TGID_Z_EN: 0
; COMPUTE_PGM_RSRC2:TIDIG_COMP_CNT: 0
	.section	.text._ZN9rocsparseL29csrmvn_lrb_medium_rows_kernelILj256EiiffffEEvbT0_PT1_S3_jNS_24const_host_device_scalarIT5_EEPKS1_PKS2_PKT2_PKT3_S6_PT4_21rocsparse_index_base_b,"axG",@progbits,_ZN9rocsparseL29csrmvn_lrb_medium_rows_kernelILj256EiiffffEEvbT0_PT1_S3_jNS_24const_host_device_scalarIT5_EEPKS1_PKS2_PKT2_PKT3_S6_PT4_21rocsparse_index_base_b,comdat
	.globl	_ZN9rocsparseL29csrmvn_lrb_medium_rows_kernelILj256EiiffffEEvbT0_PT1_S3_jNS_24const_host_device_scalarIT5_EEPKS1_PKS2_PKT2_PKT3_S6_PT4_21rocsparse_index_base_b ; -- Begin function _ZN9rocsparseL29csrmvn_lrb_medium_rows_kernelILj256EiiffffEEvbT0_PT1_S3_jNS_24const_host_device_scalarIT5_EEPKS1_PKS2_PKT2_PKT3_S6_PT4_21rocsparse_index_base_b
	.p2align	8
	.type	_ZN9rocsparseL29csrmvn_lrb_medium_rows_kernelILj256EiiffffEEvbT0_PT1_S3_jNS_24const_host_device_scalarIT5_EEPKS1_PKS2_PKT2_PKT3_S6_PT4_21rocsparse_index_base_b,@function
_ZN9rocsparseL29csrmvn_lrb_medium_rows_kernelILj256EiiffffEEvbT0_PT1_S3_jNS_24const_host_device_scalarIT5_EEPKS1_PKS2_PKT2_PKT3_S6_PT4_21rocsparse_index_base_b: ; @_ZN9rocsparseL29csrmvn_lrb_medium_rows_kernelILj256EiiffffEEvbT0_PT1_S3_jNS_24const_host_device_scalarIT5_EEPKS1_PKS2_PKT2_PKT3_S6_PT4_21rocsparse_index_base_b
; %bb.0:
	s_clause 0x2
	s_load_b64 s[12:13], s[0:1], 0x58
	s_load_b64 s[16:17], s[0:1], 0x20
	;; [unrolled: 1-line block ×3, first 2 shown]
	s_waitcnt lgkmcnt(0)
	s_bitcmp1_b32 s13, 0
	s_cselect_b32 s4, -1, 0
	s_delay_alu instid0(SALU_CYCLE_1)
	s_and_b32 vcc_lo, exec_lo, s4
	s_xor_b32 s4, s4, -1
	s_cbranch_vccnz .LBB12_2
; %bb.1:
	s_load_b32 s16, s[16:17], 0x0
.LBB12_2:
	s_and_not1_b32 vcc_lo, exec_lo, s4
	s_cbranch_vccnz .LBB12_4
; %bb.3:
	s_load_b32 s2, s[2:3], 0x0
.LBB12_4:
	s_waitcnt lgkmcnt(0)
	v_cmp_neq_f32_e64 s3, s16, 0
	v_cmp_neq_f32_e64 s4, s2, 1.0
	s_mov_b32 s5, 0
	s_delay_alu instid0(VALU_DEP_1) | instskip(NEXT) | instid1(SALU_CYCLE_1)
	s_or_b32 s3, s3, s4
	s_and_not1_b32 vcc_lo, exec_lo, s3
	s_cbranch_vccnz .LBB12_29
; %bb.5:
	s_clause 0x1
	s_load_b32 s4, s[0:1], 0x18
	s_load_b128 s[8:11], s[0:1], 0x8
	v_subrev_nc_u32_e32 v1, s12, v0
	v_mov_b32_e32 v3, 0
	s_waitcnt lgkmcnt(0)
	s_lshl_b64 s[4:5], s[4:5], 2
	s_delay_alu instid0(SALU_CYCLE_1)
	s_add_u32 s4, s10, s4
	s_addc_u32 s5, s11, s5
	s_load_b32 s3, s[4:5], 0x0
	s_waitcnt lgkmcnt(0)
	s_add_i32 s4, s3, s15
	s_mov_b32 s3, exec_lo
	s_ashr_i32 s5, s4, 31
	s_delay_alu instid0(SALU_CYCLE_1) | instskip(NEXT) | instid1(SALU_CYCLE_1)
	s_lshl_b64 s[4:5], s[4:5], 2
	s_add_u32 s4, s8, s4
	s_addc_u32 s5, s9, s5
	s_load_b32 s4, s[4:5], 0x0
	s_load_b64 s[6:7], s[0:1], 0x28
	s_waitcnt lgkmcnt(0)
	s_ashr_i32 s5, s4, 31
	s_delay_alu instid0(SALU_CYCLE_1) | instskip(NEXT) | instid1(SALU_CYCLE_1)
	s_lshl_b64 s[8:9], s[4:5], 2
	s_add_u32 s4, s6, s8
	s_addc_u32 s5, s7, s9
	s_load_b64 s[4:5], s[4:5], 0x0
	s_load_b64 s[10:11], s[0:1], 0x50
	s_waitcnt lgkmcnt(0)
	v_add_nc_u32_e32 v1, s4, v1
	s_sub_i32 s13, s5, s12
	s_delay_alu instid0(VALU_DEP_1) | instid1(SALU_CYCLE_1)
	v_cmpx_gt_i32_e64 s13, v1
	s_cbranch_execz .LBB12_9
; %bb.6:
	s_clause 0x1
	s_load_b128 s[4:7], s[0:1], 0x30
	s_load_b64 s[0:1], s[0:1], 0x40
	v_mov_b32_e32 v3, 0
	s_mov_b32 s14, 0
	.p2align	6
.LBB12_7:                               ; =>This Inner Loop Header: Depth=1
	v_ashrrev_i32_e32 v2, 31, v1
	s_delay_alu instid0(VALU_DEP_1) | instskip(SKIP_1) | instid1(VALU_DEP_1)
	v_lshlrev_b64 v[4:5], 2, v[1:2]
	s_waitcnt lgkmcnt(0)
	v_add_co_u32 v6, vcc_lo, s4, v4
	s_delay_alu instid0(VALU_DEP_2)
	v_add_co_ci_u32_e32 v7, vcc_lo, s5, v5, vcc_lo
	v_add_co_u32 v4, vcc_lo, s6, v4
	v_add_co_ci_u32_e32 v5, vcc_lo, s7, v5, vcc_lo
	global_load_b32 v2, v[6:7], off
	s_waitcnt vmcnt(0)
	v_subrev_nc_u32_e32 v6, s12, v2
	global_load_b32 v2, v[4:5], off
	v_add_nc_u32_e32 v1, 0x100, v1
	v_ashrrev_i32_e32 v7, 31, v6
	s_delay_alu instid0(VALU_DEP_1) | instskip(NEXT) | instid1(VALU_DEP_1)
	v_lshlrev_b64 v[6:7], 2, v[6:7]
	v_add_co_u32 v4, vcc_lo, s0, v6
	s_delay_alu instid0(VALU_DEP_2)
	v_add_co_ci_u32_e32 v5, vcc_lo, s1, v7, vcc_lo
	global_load_b32 v4, v[4:5], off
	s_waitcnt vmcnt(1)
	v_mul_f32_e32 v2, s16, v2
	v_cmp_le_i32_e32 vcc_lo, s13, v1
	s_or_b32 s14, vcc_lo, s14
	s_waitcnt vmcnt(0)
	s_delay_alu instid0(VALU_DEP_2)
	v_fmac_f32_e32 v3, v2, v4
	s_and_not1_b32 exec_lo, exec_lo, s14
	s_cbranch_execnz .LBB12_7
; %bb.8:
	s_or_b32 exec_lo, exec_lo, s14
.LBB12_9:
	s_delay_alu instid0(SALU_CYCLE_1)
	s_or_b32 exec_lo, exec_lo, s3
	v_lshlrev_b32_e32 v1, 2, v0
	s_mov_b32 s0, exec_lo
	ds_store_b32 v1, v3
	s_waitcnt lgkmcnt(0)
	s_barrier
	buffer_gl0_inv
	v_cmpx_gt_u32_e32 0x80, v0
	s_cbranch_execz .LBB12_11
; %bb.10:
	ds_load_2addr_stride64_b32 v[2:3], v1 offset1:2
	s_waitcnt lgkmcnt(0)
	v_add_f32_e32 v2, v2, v3
	ds_store_b32 v1, v2
.LBB12_11:
	s_or_b32 exec_lo, exec_lo, s0
	s_delay_alu instid0(SALU_CYCLE_1)
	s_mov_b32 s0, exec_lo
	s_waitcnt lgkmcnt(0)
	s_barrier
	buffer_gl0_inv
	v_cmpx_gt_u32_e32 64, v0
	s_cbranch_execz .LBB12_13
; %bb.12:
	ds_load_2addr_stride64_b32 v[2:3], v1 offset1:1
	s_waitcnt lgkmcnt(0)
	v_add_f32_e32 v2, v2, v3
	ds_store_b32 v1, v2
.LBB12_13:
	s_or_b32 exec_lo, exec_lo, s0
	s_delay_alu instid0(SALU_CYCLE_1)
	s_mov_b32 s0, exec_lo
	s_waitcnt lgkmcnt(0)
	s_barrier
	buffer_gl0_inv
	v_cmpx_gt_u32_e32 32, v0
	s_cbranch_execz .LBB12_15
; %bb.14:
	ds_load_2addr_b32 v[2:3], v1 offset1:32
	s_waitcnt lgkmcnt(0)
	v_add_f32_e32 v2, v2, v3
	ds_store_b32 v1, v2
.LBB12_15:
	s_or_b32 exec_lo, exec_lo, s0
	s_delay_alu instid0(SALU_CYCLE_1)
	s_mov_b32 s0, exec_lo
	s_waitcnt lgkmcnt(0)
	s_barrier
	buffer_gl0_inv
	v_cmpx_gt_u32_e32 16, v0
	s_cbranch_execz .LBB12_17
; %bb.16:
	ds_load_2addr_b32 v[2:3], v1 offset1:16
	s_waitcnt lgkmcnt(0)
	v_add_f32_e32 v2, v2, v3
	ds_store_b32 v1, v2
.LBB12_17:
	;; [unrolled: 14-line block ×5, first 2 shown]
	s_or_b32 exec_lo, exec_lo, s0
	v_cmp_eq_u32_e32 vcc_lo, 0, v0
	s_waitcnt lgkmcnt(0)
	s_barrier
	buffer_gl0_inv
	s_and_saveexec_b32 s0, vcc_lo
	s_cbranch_execz .LBB12_25
; %bb.24:
	v_mov_b32_e32 v2, 0
	ds_load_b64 v[0:1], v2
	s_waitcnt lgkmcnt(0)
	v_add_f32_e32 v0, v0, v1
	ds_store_b32 v2, v0
.LBB12_25:
	s_or_b32 exec_lo, exec_lo, s0
	s_waitcnt lgkmcnt(0)
	s_barrier
	buffer_gl0_inv
	s_and_saveexec_b32 s0, vcc_lo
	s_cbranch_execz .LBB12_29
; %bb.26:
	v_mov_b32_e32 v0, 0
	v_cmp_eq_f32_e64 s0, s2, 0
	ds_load_b32 v1, v0
	s_and_b32 vcc_lo, exec_lo, s0
	s_cbranch_vccnz .LBB12_28
; %bb.27:
	s_add_u32 s0, s10, s8
	s_addc_u32 s1, s11, s9
	s_load_b32 s0, s[0:1], 0x0
	s_waitcnt lgkmcnt(0)
	v_fmac_f32_e64 v1, s2, s0
.LBB12_28:
	s_add_u32 s0, s10, s8
	s_addc_u32 s1, s11, s9
	s_waitcnt lgkmcnt(0)
	global_store_b32 v0, v1, s[0:1]
.LBB12_29:
	s_nop 0
	s_sendmsg sendmsg(MSG_DEALLOC_VGPRS)
	s_endpgm
	.section	.rodata,"a",@progbits
	.p2align	6, 0x0
	.amdhsa_kernel _ZN9rocsparseL29csrmvn_lrb_medium_rows_kernelILj256EiiffffEEvbT0_PT1_S3_jNS_24const_host_device_scalarIT5_EEPKS1_PKS2_PKT2_PKT3_S6_PT4_21rocsparse_index_base_b
		.amdhsa_group_segment_fixed_size 1024
		.amdhsa_private_segment_fixed_size 0
		.amdhsa_kernarg_size 96
		.amdhsa_user_sgpr_count 15
		.amdhsa_user_sgpr_dispatch_ptr 0
		.amdhsa_user_sgpr_queue_ptr 0
		.amdhsa_user_sgpr_kernarg_segment_ptr 1
		.amdhsa_user_sgpr_dispatch_id 0
		.amdhsa_user_sgpr_private_segment_size 0
		.amdhsa_wavefront_size32 1
		.amdhsa_uses_dynamic_stack 0
		.amdhsa_enable_private_segment 0
		.amdhsa_system_sgpr_workgroup_id_x 1
		.amdhsa_system_sgpr_workgroup_id_y 0
		.amdhsa_system_sgpr_workgroup_id_z 0
		.amdhsa_system_sgpr_workgroup_info 0
		.amdhsa_system_vgpr_workitem_id 0
		.amdhsa_next_free_vgpr 8
		.amdhsa_next_free_sgpr 18
		.amdhsa_reserve_vcc 1
		.amdhsa_float_round_mode_32 0
		.amdhsa_float_round_mode_16_64 0
		.amdhsa_float_denorm_mode_32 3
		.amdhsa_float_denorm_mode_16_64 3
		.amdhsa_dx10_clamp 1
		.amdhsa_ieee_mode 1
		.amdhsa_fp16_overflow 0
		.amdhsa_workgroup_processor_mode 1
		.amdhsa_memory_ordered 1
		.amdhsa_forward_progress 0
		.amdhsa_shared_vgpr_count 0
		.amdhsa_exception_fp_ieee_invalid_op 0
		.amdhsa_exception_fp_denorm_src 0
		.amdhsa_exception_fp_ieee_div_zero 0
		.amdhsa_exception_fp_ieee_overflow 0
		.amdhsa_exception_fp_ieee_underflow 0
		.amdhsa_exception_fp_ieee_inexact 0
		.amdhsa_exception_int_div_zero 0
	.end_amdhsa_kernel
	.section	.text._ZN9rocsparseL29csrmvn_lrb_medium_rows_kernelILj256EiiffffEEvbT0_PT1_S3_jNS_24const_host_device_scalarIT5_EEPKS1_PKS2_PKT2_PKT3_S6_PT4_21rocsparse_index_base_b,"axG",@progbits,_ZN9rocsparseL29csrmvn_lrb_medium_rows_kernelILj256EiiffffEEvbT0_PT1_S3_jNS_24const_host_device_scalarIT5_EEPKS1_PKS2_PKT2_PKT3_S6_PT4_21rocsparse_index_base_b,comdat
.Lfunc_end12:
	.size	_ZN9rocsparseL29csrmvn_lrb_medium_rows_kernelILj256EiiffffEEvbT0_PT1_S3_jNS_24const_host_device_scalarIT5_EEPKS1_PKS2_PKT2_PKT3_S6_PT4_21rocsparse_index_base_b, .Lfunc_end12-_ZN9rocsparseL29csrmvn_lrb_medium_rows_kernelILj256EiiffffEEvbT0_PT1_S3_jNS_24const_host_device_scalarIT5_EEPKS1_PKS2_PKT2_PKT3_S6_PT4_21rocsparse_index_base_b
                                        ; -- End function
	.section	.AMDGPU.csdata,"",@progbits
; Kernel info:
; codeLenInByte = 1092
; NumSgprs: 20
; NumVgprs: 8
; ScratchSize: 0
; MemoryBound: 0
; FloatMode: 240
; IeeeMode: 1
; LDSByteSize: 1024 bytes/workgroup (compile time only)
; SGPRBlocks: 2
; VGPRBlocks: 0
; NumSGPRsForWavesPerEU: 20
; NumVGPRsForWavesPerEU: 8
; Occupancy: 16
; WaveLimiterHint : 1
; COMPUTE_PGM_RSRC2:SCRATCH_EN: 0
; COMPUTE_PGM_RSRC2:USER_SGPR: 15
; COMPUTE_PGM_RSRC2:TRAP_HANDLER: 0
; COMPUTE_PGM_RSRC2:TGID_X_EN: 1
; COMPUTE_PGM_RSRC2:TGID_Y_EN: 0
; COMPUTE_PGM_RSRC2:TGID_Z_EN: 0
; COMPUTE_PGM_RSRC2:TIDIG_COMP_CNT: 0
	.section	.text._ZN9rocsparseL27csrmvn_lrb_long_rows_kernelIiiffffEEvbT_PjPT0_S4_jNS_24const_host_device_scalarIT4_EEPKS1_PKS3_PKT1_PKT2_S7_PT3_21rocsparse_index_base_b,"axG",@progbits,_ZN9rocsparseL27csrmvn_lrb_long_rows_kernelIiiffffEEvbT_PjPT0_S4_jNS_24const_host_device_scalarIT4_EEPKS1_PKS3_PKT1_PKT2_S7_PT3_21rocsparse_index_base_b,comdat
	.globl	_ZN9rocsparseL27csrmvn_lrb_long_rows_kernelIiiffffEEvbT_PjPT0_S4_jNS_24const_host_device_scalarIT4_EEPKS1_PKS3_PKT1_PKT2_S7_PT3_21rocsparse_index_base_b ; -- Begin function _ZN9rocsparseL27csrmvn_lrb_long_rows_kernelIiiffffEEvbT_PjPT0_S4_jNS_24const_host_device_scalarIT4_EEPKS1_PKS3_PKT1_PKT2_S7_PT3_21rocsparse_index_base_b
	.p2align	8
	.type	_ZN9rocsparseL27csrmvn_lrb_long_rows_kernelIiiffffEEvbT_PjPT0_S4_jNS_24const_host_device_scalarIT4_EEPKS1_PKS3_PKT1_PKT2_S7_PT3_21rocsparse_index_base_b,@function
_ZN9rocsparseL27csrmvn_lrb_long_rows_kernelIiiffffEEvbT_PjPT0_S4_jNS_24const_host_device_scalarIT4_EEPKS1_PKS3_PKT1_PKT2_S7_PT3_21rocsparse_index_base_b: ; @_ZN9rocsparseL27csrmvn_lrb_long_rows_kernelIiiffffEEvbT_PjPT0_S4_jNS_24const_host_device_scalarIT4_EEPKS1_PKS3_PKT1_PKT2_S7_PT3_21rocsparse_index_base_b
; %bb.0:
	s_mov_b32 s8, s15
	s_clause 0x2
	s_load_b64 s[14:15], s[0:1], 0x60
	s_load_b64 s[16:17], s[0:1], 0x28
	;; [unrolled: 1-line block ×3, first 2 shown]
	s_waitcnt lgkmcnt(0)
	s_bitcmp1_b32 s15, 0
	s_cselect_b32 s4, -1, 0
	s_delay_alu instid0(SALU_CYCLE_1)
	s_and_b32 vcc_lo, exec_lo, s4
	s_xor_b32 s4, s4, -1
	s_cbranch_vccnz .LBB13_2
; %bb.1:
	s_load_b32 s16, s[16:17], 0x0
.LBB13_2:
	s_and_not1_b32 vcc_lo, exec_lo, s4
	s_cbranch_vccnz .LBB13_4
; %bb.3:
	s_load_b32 s2, s[2:3], 0x0
.LBB13_4:
	s_waitcnt lgkmcnt(0)
	v_cmp_neq_f32_e64 s3, s16, 0
	v_cmp_neq_f32_e64 s4, s2, 1.0
	s_mov_b32 s5, 0
	s_delay_alu instid0(VALU_DEP_1) | instskip(NEXT) | instid1(SALU_CYCLE_1)
	s_or_b32 s3, s3, s4
	s_and_not1_b32 vcc_lo, exec_lo, s3
	s_cbranch_vccnz .LBB13_39
; %bb.5:
	s_clause 0x1
	s_load_b32 s4, s[0:1], 0x20
	s_load_b64 s[6:7], s[0:1], 0x18
	v_mov_b32_e32 v3, 0
	s_waitcnt lgkmcnt(0)
	s_lshl_b64 s[10:11], s[4:5], 2
	s_delay_alu instid0(SALU_CYCLE_1) | instskip(SKIP_4) | instid1(SALU_CYCLE_1)
	s_add_u32 s6, s6, s10
	s_addc_u32 s7, s7, s11
	s_lshl_b32 s3, -1, s4
	s_load_b32 s10, s[6:7], 0x0
	s_not_b32 s3, s3
	s_mul_hi_u32 s3, s3, 0x2aaaaaab
	s_delay_alu instid0(SALU_CYCLE_1) | instskip(NEXT) | instid1(SALU_CYCLE_1)
	s_lshr_b32 s3, s3, 7
	s_add_i32 s9, s3, 1
	s_not_b32 s3, s3
	v_cvt_f32_u32_e32 v1, s9
	s_delay_alu instid0(VALU_DEP_1) | instskip(SKIP_2) | instid1(VALU_DEP_1)
	v_rcp_iflag_f32_e32 v1, v1
	s_waitcnt_depctr 0xfff
	v_mul_f32_e32 v1, 0x4f7ffffe, v1
	v_cvt_u32_f32_e32 v1, v1
	s_delay_alu instid0(VALU_DEP_1) | instskip(NEXT) | instid1(VALU_DEP_1)
	v_readfirstlane_b32 s4, v1
	s_mul_i32 s3, s3, s4
	s_delay_alu instid0(SALU_CYCLE_1) | instskip(NEXT) | instid1(SALU_CYCLE_1)
	s_mul_hi_u32 s3, s4, s3
	s_add_i32 s4, s4, s3
	s_delay_alu instid0(SALU_CYCLE_1) | instskip(SKIP_4) | instid1(SALU_CYCLE_1)
	s_mul_hi_u32 s3, s8, s4
	s_load_b128 s[4:7], s[0:1], 0x8
	s_mul_i32 s11, s3, s9
	s_add_i32 s12, s3, 1
	s_sub_i32 s11, s8, s11
	s_sub_i32 s13, s11, s9
	s_cmp_ge_u32 s11, s9
	s_cselect_b32 s3, s12, s3
	s_cselect_b32 s11, s13, s11
	s_add_i32 s12, s3, 1
	s_cmp_ge_u32 s11, s9
	s_cselect_b32 s3, s12, s3
	s_waitcnt lgkmcnt(0)
	s_add_i32 s10, s3, s10
	s_mul_i32 s12, s3, s9
	s_ashr_i32 s11, s10, 31
	s_sub_i32 s17, s8, s12
	s_lshl_b64 s[10:11], s[10:11], 2
	v_or_b32_e32 v1, s17, v0
	s_add_u32 s6, s6, s10
	s_addc_u32 s7, s7, s11
	s_load_b32 s6, s[6:7], 0x0
	s_load_b64 s[10:11], s[0:1], 0x30
	s_mov_b32 s3, exec_lo
	s_waitcnt lgkmcnt(0)
	s_ashr_i32 s7, s6, 31
	s_delay_alu instid0(SALU_CYCLE_1) | instskip(NEXT) | instid1(SALU_CYCLE_1)
	s_lshl_b64 s[6:7], s[6:7], 2
	s_add_u32 s18, s10, s6
	s_addc_u32 s19, s11, s7
	s_ashr_i32 s9, s8, 31
	s_delay_alu instid0(SALU_CYCLE_1)
	s_lshl_b64 s[10:11], s[8:9], 2
	s_load_b64 s[8:9], s[0:1], 0x58
	s_add_u32 s10, s4, s10
	s_addc_u32 s11, s5, s11
	s_load_b64 s[18:19], s[18:19], 0x0
	s_load_b32 s15, s[10:11], 0x0
	v_cmpx_eq_u32_e32 0, v1
	s_cbranch_execz .LBB13_9
; %bb.6:
	s_waitcnt lgkmcnt(0)
	s_add_u32 s22, s8, s6
	s_addc_u32 s23, s9, s7
	s_mov_b32 s21, exec_lo
	s_load_b32 s20, s[22:23], 0x0
	v_mbcnt_lo_u32_b32 v2, s21, 0
	v_add_f32_e64 v1, s2, -1.0
	s_mov_b32 s2, exec_lo
	s_waitcnt vmcnt(0) expcnt(0) lgkmcnt(0)
	s_delay_alu instid0(VALU_DEP_2)
	v_cmpx_eq_u32_e32 0, v2
	s_cbranch_execz .LBB13_8
; %bb.7:
	s_ashr_i32 s13, s12, 31
	s_delay_alu instid0(SALU_CYCLE_1) | instskip(NEXT) | instid1(SALU_CYCLE_1)
	s_lshl_b64 s[22:23], s[12:13], 2
	s_add_u32 s22, s4, s22
	s_addc_u32 s23, s5, s23
	s_bcnt1_i32_b32 s13, s21
	s_delay_alu instid0(SALU_CYCLE_1) | instskip(NEXT) | instid1(SALU_CYCLE_1)
	s_and_b32 s13, s13, 1
	v_dual_mov_b32 v2, 0 :: v_dual_mov_b32 v3, s13
	global_atomic_xor_b32 v2, v3, s[22:23]
.LBB13_8:
	s_or_b32 exec_lo, exec_lo, s2
	v_mul_f32_e32 v3, s20, v1
.LBB13_9:
	s_or_b32 exec_lo, exec_lo, s3
	s_mul_i32 s2, s17, 0x300
	s_waitcnt lgkmcnt(0)
	s_sub_i32 s3, s19, s14
	s_sub_i32 s2, s2, s14
	s_mov_b32 s13, exec_lo
	s_add_i32 s2, s2, s18
	s_delay_alu instid0(SALU_CYCLE_1) | instskip(SKIP_1) | instid1(SALU_CYCLE_1)
	v_add_nc_u32_e32 v1, s2, v0
	s_addk_i32 s2, 0x300
	s_min_i32 s20, s2, s3
	s_delay_alu instid0(VALU_DEP_1) | instid1(SALU_CYCLE_1)
	v_cmpx_gt_i32_e64 s20, v1
	s_cbranch_execz .LBB13_13
; %bb.10:
	s_clause 0x1
	s_load_b64 s[18:19], s[0:1], 0x48
	s_load_b128 s[0:3], s[0:1], 0x38
	s_mov_b32 s21, 0
	.p2align	6
.LBB13_11:                              ; =>This Inner Loop Header: Depth=1
	v_ashrrev_i32_e32 v2, 31, v1
	s_delay_alu instid0(VALU_DEP_1) | instskip(SKIP_1) | instid1(VALU_DEP_1)
	v_lshlrev_b64 v[4:5], 2, v[1:2]
	s_waitcnt lgkmcnt(0)
	v_add_co_u32 v6, vcc_lo, s0, v4
	s_delay_alu instid0(VALU_DEP_2)
	v_add_co_ci_u32_e32 v7, vcc_lo, s1, v5, vcc_lo
	v_add_co_u32 v4, vcc_lo, s2, v4
	v_add_co_ci_u32_e32 v5, vcc_lo, s3, v5, vcc_lo
	global_load_b32 v2, v[6:7], off
	s_waitcnt vmcnt(0)
	v_subrev_nc_u32_e32 v6, s14, v2
	global_load_b32 v2, v[4:5], off
	v_add_nc_u32_e32 v1, 0x100, v1
	v_ashrrev_i32_e32 v7, 31, v6
	s_delay_alu instid0(VALU_DEP_1) | instskip(NEXT) | instid1(VALU_DEP_1)
	v_lshlrev_b64 v[6:7], 2, v[6:7]
	v_add_co_u32 v4, vcc_lo, s18, v6
	s_delay_alu instid0(VALU_DEP_2)
	v_add_co_ci_u32_e32 v5, vcc_lo, s19, v7, vcc_lo
	global_load_b32 v4, v[4:5], off
	s_waitcnt vmcnt(1)
	v_mul_f32_e32 v2, s16, v2
	v_cmp_le_i32_e32 vcc_lo, s20, v1
	s_or_b32 s21, vcc_lo, s21
	s_waitcnt vmcnt(0)
	s_delay_alu instid0(VALU_DEP_2)
	v_fmac_f32_e32 v3, v2, v4
	s_and_not1_b32 exec_lo, exec_lo, s21
	s_cbranch_execnz .LBB13_11
; %bb.12:
	s_or_b32 exec_lo, exec_lo, s21
.LBB13_13:
	s_delay_alu instid0(SALU_CYCLE_1)
	s_or_b32 exec_lo, exec_lo, s13
	v_lshlrev_b32_e32 v1, 2, v0
	s_mov_b32 s0, exec_lo
	ds_store_b32 v1, v3
	s_waitcnt lgkmcnt(0)
	s_waitcnt_vscnt null, 0x0
	s_barrier
	buffer_gl0_inv
	v_cmpx_gt_u32_e32 0x80, v0
	s_cbranch_execz .LBB13_15
; %bb.14:
	ds_load_2addr_stride64_b32 v[2:3], v1 offset1:2
	s_waitcnt lgkmcnt(0)
	v_add_f32_e32 v2, v2, v3
	ds_store_b32 v1, v2
.LBB13_15:
	s_or_b32 exec_lo, exec_lo, s0
	s_delay_alu instid0(SALU_CYCLE_1)
	s_mov_b32 s0, exec_lo
	s_waitcnt lgkmcnt(0)
	s_barrier
	buffer_gl0_inv
	v_cmpx_gt_u32_e32 64, v0
	s_cbranch_execz .LBB13_17
; %bb.16:
	ds_load_2addr_stride64_b32 v[2:3], v1 offset1:1
	s_waitcnt lgkmcnt(0)
	v_add_f32_e32 v2, v2, v3
	ds_store_b32 v1, v2
.LBB13_17:
	s_or_b32 exec_lo, exec_lo, s0
	s_delay_alu instid0(SALU_CYCLE_1)
	s_mov_b32 s0, exec_lo
	s_waitcnt lgkmcnt(0)
	s_barrier
	buffer_gl0_inv
	v_cmpx_gt_u32_e32 32, v0
	s_cbranch_execz .LBB13_19
; %bb.18:
	ds_load_2addr_b32 v[2:3], v1 offset1:32
	s_waitcnt lgkmcnt(0)
	v_add_f32_e32 v2, v2, v3
	ds_store_b32 v1, v2
.LBB13_19:
	s_or_b32 exec_lo, exec_lo, s0
	s_delay_alu instid0(SALU_CYCLE_1)
	s_mov_b32 s0, exec_lo
	s_waitcnt lgkmcnt(0)
	s_barrier
	buffer_gl0_inv
	v_cmpx_gt_u32_e32 16, v0
	s_cbranch_execz .LBB13_21
; %bb.20:
	ds_load_2addr_b32 v[2:3], v1 offset1:16
	s_waitcnt lgkmcnt(0)
	v_add_f32_e32 v2, v2, v3
	ds_store_b32 v1, v2
.LBB13_21:
	;; [unrolled: 14-line block ×5, first 2 shown]
	s_or_b32 exec_lo, exec_lo, s0
	v_cmp_eq_u32_e32 vcc_lo, 0, v0
	s_waitcnt lgkmcnt(0)
	s_barrier
	buffer_gl0_inv
	s_and_saveexec_b32 s0, vcc_lo
	s_cbranch_execz .LBB13_29
; %bb.28:
	v_mov_b32_e32 v2, 0
	ds_load_b64 v[0:1], v2
	s_waitcnt lgkmcnt(0)
	v_add_f32_e32 v0, v0, v1
	ds_store_b32 v2, v0
.LBB13_29:
	s_or_b32 exec_lo, exec_lo, s0
	s_waitcnt lgkmcnt(0)
	s_barrier
	buffer_gl0_inv
	s_and_saveexec_b32 s0, vcc_lo
	s_cbranch_execz .LBB13_39
; %bb.30:
	s_cmp_eq_u32 s17, 0
	s_cbranch_scc1 .LBB13_36
; %bb.31:
	s_ashr_i32 s13, s12, 31
	v_mov_b32_e32 v0, 0
	s_lshl_b64 s[0:1], s[12:13], 2
	s_delay_alu instid0(SALU_CYCLE_1)
	s_add_u32 s0, s4, s0
	s_addc_u32 s1, s5, s1
	s_branch .LBB13_33
.LBB13_32:                              ;   in Loop: Header=BB13_33 Depth=1
	s_or_b32 exec_lo, exec_lo, s2
	s_waitcnt vmcnt(0)
	v_readfirstlane_b32 s2, v1
	s_delay_alu instid0(VALU_DEP_1)
	s_cmp_eq_u32 s2, s15
	s_cbranch_scc0 .LBB13_35
.LBB13_33:                              ; =>This Inner Loop Header: Depth=1
	v_mbcnt_lo_u32_b32 v1, exec_lo, 0
	s_delay_alu instid0(VALU_DEP_1)
	v_cmp_eq_u32_e32 vcc_lo, 0, v1
                                        ; implicit-def: $vgpr1
	s_and_saveexec_b32 s2, vcc_lo
	s_cbranch_execz .LBB13_32
; %bb.34:                               ;   in Loop: Header=BB13_33 Depth=1
	global_load_b32 v1, v0, s[0:1] glc
	s_branch .LBB13_32
.LBB13_35:
	v_mov_b32_e32 v0, 0
	global_load_b32 v1, v0, s[10:11]
	s_waitcnt vmcnt(0)
	v_xor_b32_e32 v1, 1, v1
	global_store_b32 v0, v1, s[10:11]
.LBB13_36:
	s_mov_b32 s2, exec_lo
	s_delay_alu instid0(SALU_CYCLE_1) | instskip(NEXT) | instid1(VALU_DEP_1)
	v_mbcnt_lo_u32_b32 v0, s2, 0
	v_cmp_eq_u32_e32 vcc_lo, 0, v0
	s_and_b32 s0, exec_lo, vcc_lo
	s_delay_alu instid0(SALU_CYCLE_1)
	s_mov_b32 exec_lo, s0
	s_cbranch_execz .LBB13_39
; %bb.37:
	s_add_u32 s0, s8, s6
	s_addc_u32 s1, s9, s7
	s_bcnt1_i32_b32 s2, s2
	s_delay_alu instid0(SALU_CYCLE_1)
	v_cvt_f32_ubyte0_e32 v3, s2
	v_mov_b32_e32 v2, 0
	s_mov_b32 s2, 0
	global_load_b32 v1, v2, s[0:1]
	ds_load_b32 v0, v2
	s_waitcnt lgkmcnt(0)
	v_mul_f32_e32 v3, v0, v3
.LBB13_38:                              ; =>This Inner Loop Header: Depth=1
	s_waitcnt vmcnt(0)
	s_delay_alu instid0(VALU_DEP_1)
	v_add_f32_e32 v0, v1, v3
	global_atomic_cmpswap_b32 v0, v2, v[0:1], s[0:1] glc
	s_waitcnt vmcnt(0)
	v_cmp_eq_u32_e32 vcc_lo, v0, v1
	v_mov_b32_e32 v1, v0
	s_or_b32 s2, vcc_lo, s2
	s_delay_alu instid0(SALU_CYCLE_1)
	s_and_not1_b32 exec_lo, exec_lo, s2
	s_cbranch_execnz .LBB13_38
.LBB13_39:
	s_nop 0
	s_sendmsg sendmsg(MSG_DEALLOC_VGPRS)
	s_endpgm
	.section	.rodata,"a",@progbits
	.p2align	6, 0x0
	.amdhsa_kernel _ZN9rocsparseL27csrmvn_lrb_long_rows_kernelIiiffffEEvbT_PjPT0_S4_jNS_24const_host_device_scalarIT4_EEPKS1_PKS3_PKT1_PKT2_S7_PT3_21rocsparse_index_base_b
		.amdhsa_group_segment_fixed_size 1024
		.amdhsa_private_segment_fixed_size 0
		.amdhsa_kernarg_size 104
		.amdhsa_user_sgpr_count 15
		.amdhsa_user_sgpr_dispatch_ptr 0
		.amdhsa_user_sgpr_queue_ptr 0
		.amdhsa_user_sgpr_kernarg_segment_ptr 1
		.amdhsa_user_sgpr_dispatch_id 0
		.amdhsa_user_sgpr_private_segment_size 0
		.amdhsa_wavefront_size32 1
		.amdhsa_uses_dynamic_stack 0
		.amdhsa_enable_private_segment 0
		.amdhsa_system_sgpr_workgroup_id_x 1
		.amdhsa_system_sgpr_workgroup_id_y 0
		.amdhsa_system_sgpr_workgroup_id_z 0
		.amdhsa_system_sgpr_workgroup_info 0
		.amdhsa_system_vgpr_workitem_id 0
		.amdhsa_next_free_vgpr 8
		.amdhsa_next_free_sgpr 24
		.amdhsa_reserve_vcc 1
		.amdhsa_float_round_mode_32 0
		.amdhsa_float_round_mode_16_64 0
		.amdhsa_float_denorm_mode_32 3
		.amdhsa_float_denorm_mode_16_64 3
		.amdhsa_dx10_clamp 1
		.amdhsa_ieee_mode 1
		.amdhsa_fp16_overflow 0
		.amdhsa_workgroup_processor_mode 1
		.amdhsa_memory_ordered 1
		.amdhsa_forward_progress 0
		.amdhsa_shared_vgpr_count 0
		.amdhsa_exception_fp_ieee_invalid_op 0
		.amdhsa_exception_fp_denorm_src 0
		.amdhsa_exception_fp_ieee_div_zero 0
		.amdhsa_exception_fp_ieee_overflow 0
		.amdhsa_exception_fp_ieee_underflow 0
		.amdhsa_exception_fp_ieee_inexact 0
		.amdhsa_exception_int_div_zero 0
	.end_amdhsa_kernel
	.section	.text._ZN9rocsparseL27csrmvn_lrb_long_rows_kernelIiiffffEEvbT_PjPT0_S4_jNS_24const_host_device_scalarIT4_EEPKS1_PKS3_PKT1_PKT2_S7_PT3_21rocsparse_index_base_b,"axG",@progbits,_ZN9rocsparseL27csrmvn_lrb_long_rows_kernelIiiffffEEvbT_PjPT0_S4_jNS_24const_host_device_scalarIT4_EEPKS1_PKS3_PKT1_PKT2_S7_PT3_21rocsparse_index_base_b,comdat
.Lfunc_end13:
	.size	_ZN9rocsparseL27csrmvn_lrb_long_rows_kernelIiiffffEEvbT_PjPT0_S4_jNS_24const_host_device_scalarIT4_EEPKS1_PKS3_PKT1_PKT2_S7_PT3_21rocsparse_index_base_b, .Lfunc_end13-_ZN9rocsparseL27csrmvn_lrb_long_rows_kernelIiiffffEEvbT_PjPT0_S4_jNS_24const_host_device_scalarIT4_EEPKS1_PKS3_PKT1_PKT2_S7_PT3_21rocsparse_index_base_b
                                        ; -- End function
	.section	.AMDGPU.csdata,"",@progbits
; Kernel info:
; codeLenInByte = 1612
; NumSgprs: 26
; NumVgprs: 8
; ScratchSize: 0
; MemoryBound: 0
; FloatMode: 240
; IeeeMode: 1
; LDSByteSize: 1024 bytes/workgroup (compile time only)
; SGPRBlocks: 3
; VGPRBlocks: 0
; NumSGPRsForWavesPerEU: 26
; NumVGPRsForWavesPerEU: 8
; Occupancy: 16
; WaveLimiterHint : 1
; COMPUTE_PGM_RSRC2:SCRATCH_EN: 0
; COMPUTE_PGM_RSRC2:USER_SGPR: 15
; COMPUTE_PGM_RSRC2:TRAP_HANDLER: 0
; COMPUTE_PGM_RSRC2:TGID_X_EN: 1
; COMPUTE_PGM_RSRC2:TGID_Y_EN: 0
; COMPUTE_PGM_RSRC2:TGID_Z_EN: 0
; COMPUTE_PGM_RSRC2:TIDIG_COMP_CNT: 0
	.section	.text._ZN9rocsparseL28csrmvn_lrb_short_rows_kernelIliffffEEvbT_PT0_S3_jNS_24const_host_device_scalarIT4_EEPKS1_PKS2_PKT1_PKT2_S6_PT3_21rocsparse_index_base_b,"axG",@progbits,_ZN9rocsparseL28csrmvn_lrb_short_rows_kernelIliffffEEvbT_PT0_S3_jNS_24const_host_device_scalarIT4_EEPKS1_PKS2_PKT1_PKT2_S6_PT3_21rocsparse_index_base_b,comdat
	.globl	_ZN9rocsparseL28csrmvn_lrb_short_rows_kernelIliffffEEvbT_PT0_S3_jNS_24const_host_device_scalarIT4_EEPKS1_PKS2_PKT1_PKT2_S6_PT3_21rocsparse_index_base_b ; -- Begin function _ZN9rocsparseL28csrmvn_lrb_short_rows_kernelIliffffEEvbT_PT0_S3_jNS_24const_host_device_scalarIT4_EEPKS1_PKS2_PKT1_PKT2_S6_PT3_21rocsparse_index_base_b
	.p2align	8
	.type	_ZN9rocsparseL28csrmvn_lrb_short_rows_kernelIliffffEEvbT_PT0_S3_jNS_24const_host_device_scalarIT4_EEPKS1_PKS2_PKT1_PKT2_S6_PT3_21rocsparse_index_base_b,@function
_ZN9rocsparseL28csrmvn_lrb_short_rows_kernelIliffffEEvbT_PT0_S3_jNS_24const_host_device_scalarIT4_EEPKS1_PKS2_PKT1_PKT2_S6_PT3_21rocsparse_index_base_b: ; @_ZN9rocsparseL28csrmvn_lrb_short_rows_kernelIliffffEEvbT_PT0_S3_jNS_24const_host_device_scalarIT4_EEPKS1_PKS2_PKT1_PKT2_S6_PT3_21rocsparse_index_base_b
; %bb.0:
	s_clause 0x2
	s_load_b64 s[20:21], s[0:1], 0x60
	s_load_b64 s[22:23], s[0:1], 0x28
	;; [unrolled: 1-line block ×3, first 2 shown]
	s_waitcnt lgkmcnt(0)
	s_bitcmp1_b32 s21, 0
	s_cselect_b32 s4, -1, 0
	s_delay_alu instid0(SALU_CYCLE_1)
	s_and_b32 vcc_lo, exec_lo, s4
	s_xor_b32 s4, s4, -1
	s_cbranch_vccnz .LBB14_2
; %bb.1:
	s_load_b32 s22, s[22:23], 0x0
.LBB14_2:
	s_and_not1_b32 vcc_lo, exec_lo, s4
	s_cbranch_vccnz .LBB14_4
; %bb.3:
	s_load_b32 s2, s[2:3], 0x0
.LBB14_4:
	s_waitcnt lgkmcnt(0)
	v_cmp_neq_f32_e64 s3, s22, 0
	v_cmp_neq_f32_e64 s4, s2, 1.0
	s_mov_b32 s13, 0
	s_delay_alu instid0(VALU_DEP_1) | instskip(NEXT) | instid1(SALU_CYCLE_1)
	s_or_b32 s3, s3, s4
	s_and_not1_b32 vcc_lo, exec_lo, s3
	s_cbranch_vccnz .LBB14_18
; %bb.5:
	s_clause 0x1
	s_load_b32 s12, s[0:1], 0x20
	s_load_b128 s[16:19], s[0:1], 0x10
	s_mov_b32 s7, s13
	s_waitcnt lgkmcnt(0)
	s_lshl_b64 s[4:5], s[12:13], 2
	s_delay_alu instid0(SALU_CYCLE_1) | instskip(SKIP_2) | instid1(SALU_CYCLE_1)
	s_add_u32 s4, s18, s4
	s_addc_u32 s5, s19, s5
	s_add_i32 s6, s12, 1
	s_lshl_b64 s[6:7], s[6:7], 2
	s_delay_alu instid0(SALU_CYCLE_1)
	s_add_u32 s6, s18, s6
	s_addc_u32 s7, s19, s7
	s_clause 0x1
	s_load_b32 s3, s[4:5], 0x0
	s_load_b32 s4, s[6:7], 0x0
	s_lshl_b32 s13, s15, 8
	s_delay_alu instid0(SALU_CYCLE_1) | instskip(SKIP_2) | instid1(SALU_CYCLE_1)
	s_add_i32 s5, s13, 0x100
	s_waitcnt lgkmcnt(0)
	s_sub_i32 s4, s4, s3
	s_min_u32 s14, s4, s5
	s_cmp_gt_u32 s12, 23
	s_cbranch_scc1 .LBB14_12
; %bb.6:
	s_load_b256 s[4:11], s[0:1], 0x30
	v_mov_b32_e32 v5, 0
	v_bfe_u32 v6, v0, 0, s12
	v_lshl_add_u32 v8, v0, 2, 0
	s_lshl_b32 s15, 0x100, s12
	s_mov_b32 s18, 0
	v_mov_b32_e32 v7, v5
	s_branch .LBB14_9
.LBB14_7:                               ;   in Loop: Header=BB14_9 Depth=1
	s_or_b32 exec_lo, exec_lo, s21
	ds_store_b32 v8, v3
.LBB14_8:                               ;   in Loop: Header=BB14_9 Depth=1
	s_or_b32 exec_lo, exec_lo, s19
	v_add_nc_u32_e32 v8, 0x400, v8
	s_addk_i32 s18, 0x100
	s_delay_alu instid0(SALU_CYCLE_1)
	s_cmp_ge_u32 s18, s15
	s_cbranch_scc1 .LBB14_12
.LBB14_9:                               ; =>This Inner Loop Header: Depth=1
	v_add_nc_u32_e32 v1, s18, v0
	s_mov_b32 s19, exec_lo
	s_delay_alu instid0(VALU_DEP_1) | instskip(NEXT) | instid1(VALU_DEP_1)
	v_lshrrev_b32_e32 v1, s12, v1
	v_add_nc_u32_e32 v1, s13, v1
	s_delay_alu instid0(VALU_DEP_1)
	v_cmpx_gt_u32_e64 s14, v1
	s_cbranch_execz .LBB14_8
; %bb.10:                               ;   in Loop: Header=BB14_9 Depth=1
	v_add_nc_u32_e32 v4, s3, v1
	s_delay_alu instid0(VALU_DEP_1) | instskip(NEXT) | instid1(VALU_DEP_1)
	v_lshlrev_b64 v[1:2], 2, v[4:5]
	v_add_co_u32 v1, vcc_lo, s16, v1
	s_delay_alu instid0(VALU_DEP_2) | instskip(SKIP_3) | instid1(VALU_DEP_1)
	v_add_co_ci_u32_e32 v2, vcc_lo, s17, v2, vcc_lo
	global_load_b32 v1, v[1:2], off
	s_waitcnt vmcnt(0)
	v_ashrrev_i32_e32 v2, 31, v1
	v_lshlrev_b64 v[1:2], 3, v[1:2]
	s_waitcnt lgkmcnt(0)
	s_delay_alu instid0(VALU_DEP_1) | instskip(NEXT) | instid1(VALU_DEP_2)
	v_add_co_u32 v1, vcc_lo, s4, v1
	v_add_co_ci_u32_e32 v2, vcc_lo, s5, v2, vcc_lo
	global_load_b128 v[1:4], v[1:2], off
	s_waitcnt vmcnt(0)
	v_sub_co_u32 v3, vcc_lo, v3, v1
	v_sub_co_ci_u32_e32 v4, vcc_lo, v4, v2, vcc_lo
	s_delay_alu instid0(VALU_DEP_1)
	v_cmp_gt_i64_e32 vcc_lo, v[3:4], v[6:7]
	v_mov_b32_e32 v3, 0
	s_and_saveexec_b32 s21, vcc_lo
	s_cbranch_execz .LBB14_7
; %bb.11:                               ;   in Loop: Header=BB14_9 Depth=1
	v_sub_co_u32 v1, vcc_lo, v1, s20
	v_subrev_co_ci_u32_e32 v2, vcc_lo, 0, v2, vcc_lo
	s_delay_alu instid0(VALU_DEP_2) | instskip(NEXT) | instid1(VALU_DEP_2)
	v_add_co_u32 v1, vcc_lo, v1, v6
	v_add_co_ci_u32_e32 v2, vcc_lo, 0, v2, vcc_lo
	s_delay_alu instid0(VALU_DEP_1) | instskip(NEXT) | instid1(VALU_DEP_1)
	v_lshlrev_b64 v[1:2], 2, v[1:2]
	v_add_co_u32 v3, vcc_lo, s6, v1
	s_delay_alu instid0(VALU_DEP_2)
	v_add_co_ci_u32_e32 v4, vcc_lo, s7, v2, vcc_lo
	v_add_co_u32 v1, vcc_lo, s8, v1
	v_add_co_ci_u32_e32 v2, vcc_lo, s9, v2, vcc_lo
	global_load_b32 v3, v[3:4], off
	global_load_b32 v9, v[1:2], off
	s_waitcnt vmcnt(1)
	v_subrev_nc_u32_e32 v3, s20, v3
	s_delay_alu instid0(VALU_DEP_1) | instskip(NEXT) | instid1(VALU_DEP_1)
	v_ashrrev_i32_e32 v4, 31, v3
	v_lshlrev_b64 v[3:4], 2, v[3:4]
	s_delay_alu instid0(VALU_DEP_1) | instskip(NEXT) | instid1(VALU_DEP_2)
	v_add_co_u32 v1, vcc_lo, s10, v3
	v_add_co_ci_u32_e32 v2, vcc_lo, s11, v4, vcc_lo
	global_load_b32 v1, v[1:2], off
	s_waitcnt vmcnt(1)
	v_mul_f32_e32 v2, s22, v9
	s_waitcnt vmcnt(0)
	s_delay_alu instid0(VALU_DEP_1)
	v_mul_f32_e32 v3, v2, v1
	s_branch .LBB14_7
.LBB14_12:
	s_waitcnt lgkmcnt(0)
	s_sub_i32 s4, s14, s13
	s_delay_alu instid0(SALU_CYCLE_1)
	v_cmp_gt_u32_e32 vcc_lo, s4, v0
	s_barrier
	buffer_gl0_inv
	s_and_saveexec_b32 s4, vcc_lo
	s_cbranch_execz .LBB14_18
; %bb.13:
	v_add3_u32 v1, s3, s13, v0
	v_mov_b32_e32 v2, 0
	s_load_b64 s[0:1], s[0:1], 0x58
	v_lshlrev_b32_e32 v0, s12, v0
	s_mov_b32 s3, 1
	s_delay_alu instid0(VALU_DEP_2) | instskip(NEXT) | instid1(VALU_DEP_2)
	v_lshlrev_b64 v[3:4], 2, v[1:2]
	v_lshl_add_u32 v0, v0, 2, 0
	s_delay_alu instid0(VALU_DEP_2) | instskip(NEXT) | instid1(VALU_DEP_3)
	v_add_co_u32 v3, vcc_lo, s16, v3
	v_add_co_ci_u32_e32 v4, vcc_lo, s17, v4, vcc_lo
	global_load_b32 v3, v[3:4], off
.LBB14_14:                              ; =>This Inner Loop Header: Depth=1
	ds_load_b32 v1, v0
	v_add_nc_u32_e32 v0, 4, v0
	s_lshr_b32 s4, s3, s12
	s_add_i32 s3, s3, 1
	s_cmp_lg_u32 s4, 0
	s_waitcnt lgkmcnt(0)
	v_add_f32_e32 v2, v2, v1
	s_cbranch_scc0 .LBB14_14
; %bb.15:
	s_waitcnt vmcnt(0)
	v_ashrrev_i32_e32 v4, 31, v3
	v_cmp_neq_f32_e64 s3, s2, 0
	s_delay_alu instid0(VALU_DEP_2) | instskip(NEXT) | instid1(VALU_DEP_2)
	v_lshlrev_b64 v[0:1], 2, v[3:4]
	s_and_b32 vcc_lo, exec_lo, s3
	s_cbranch_vccz .LBB14_17
; %bb.16:
	s_delay_alu instid0(VALU_DEP_1) | instskip(NEXT) | instid1(VALU_DEP_2)
	v_add_co_u32 v3, vcc_lo, s0, v0
	v_add_co_ci_u32_e32 v4, vcc_lo, s1, v1, vcc_lo
	global_load_b32 v3, v[3:4], off
	s_waitcnt vmcnt(0)
	v_fmac_f32_e32 v2, s2, v3
.LBB14_17:
	s_delay_alu instid0(VALU_DEP_1) | instskip(NEXT) | instid1(VALU_DEP_2)
	v_add_co_u32 v0, vcc_lo, s0, v0
	v_add_co_ci_u32_e32 v1, vcc_lo, s1, v1, vcc_lo
	global_store_b32 v[0:1], v2, off
.LBB14_18:
	s_nop 0
	s_sendmsg sendmsg(MSG_DEALLOC_VGPRS)
	s_endpgm
	.section	.rodata,"a",@progbits
	.p2align	6, 0x0
	.amdhsa_kernel _ZN9rocsparseL28csrmvn_lrb_short_rows_kernelIliffffEEvbT_PT0_S3_jNS_24const_host_device_scalarIT4_EEPKS1_PKS2_PKT1_PKT2_S6_PT3_21rocsparse_index_base_b
		.amdhsa_group_segment_fixed_size 0
		.amdhsa_private_segment_fixed_size 0
		.amdhsa_kernarg_size 104
		.amdhsa_user_sgpr_count 15
		.amdhsa_user_sgpr_dispatch_ptr 0
		.amdhsa_user_sgpr_queue_ptr 0
		.amdhsa_user_sgpr_kernarg_segment_ptr 1
		.amdhsa_user_sgpr_dispatch_id 0
		.amdhsa_user_sgpr_private_segment_size 0
		.amdhsa_wavefront_size32 1
		.amdhsa_uses_dynamic_stack 0
		.amdhsa_enable_private_segment 0
		.amdhsa_system_sgpr_workgroup_id_x 1
		.amdhsa_system_sgpr_workgroup_id_y 0
		.amdhsa_system_sgpr_workgroup_id_z 0
		.amdhsa_system_sgpr_workgroup_info 0
		.amdhsa_system_vgpr_workitem_id 0
		.amdhsa_next_free_vgpr 10
		.amdhsa_next_free_sgpr 24
		.amdhsa_reserve_vcc 1
		.amdhsa_float_round_mode_32 0
		.amdhsa_float_round_mode_16_64 0
		.amdhsa_float_denorm_mode_32 3
		.amdhsa_float_denorm_mode_16_64 3
		.amdhsa_dx10_clamp 1
		.amdhsa_ieee_mode 1
		.amdhsa_fp16_overflow 0
		.amdhsa_workgroup_processor_mode 1
		.amdhsa_memory_ordered 1
		.amdhsa_forward_progress 0
		.amdhsa_shared_vgpr_count 0
		.amdhsa_exception_fp_ieee_invalid_op 0
		.amdhsa_exception_fp_denorm_src 0
		.amdhsa_exception_fp_ieee_div_zero 0
		.amdhsa_exception_fp_ieee_overflow 0
		.amdhsa_exception_fp_ieee_underflow 0
		.amdhsa_exception_fp_ieee_inexact 0
		.amdhsa_exception_int_div_zero 0
	.end_amdhsa_kernel
	.section	.text._ZN9rocsparseL28csrmvn_lrb_short_rows_kernelIliffffEEvbT_PT0_S3_jNS_24const_host_device_scalarIT4_EEPKS1_PKS2_PKT1_PKT2_S6_PT3_21rocsparse_index_base_b,"axG",@progbits,_ZN9rocsparseL28csrmvn_lrb_short_rows_kernelIliffffEEvbT_PT0_S3_jNS_24const_host_device_scalarIT4_EEPKS1_PKS2_PKT1_PKT2_S6_PT3_21rocsparse_index_base_b,comdat
.Lfunc_end14:
	.size	_ZN9rocsparseL28csrmvn_lrb_short_rows_kernelIliffffEEvbT_PT0_S3_jNS_24const_host_device_scalarIT4_EEPKS1_PKS2_PKT1_PKT2_S6_PT3_21rocsparse_index_base_b, .Lfunc_end14-_ZN9rocsparseL28csrmvn_lrb_short_rows_kernelIliffffEEvbT_PT0_S3_jNS_24const_host_device_scalarIT4_EEPKS1_PKS2_PKT1_PKT2_S6_PT3_21rocsparse_index_base_b
                                        ; -- End function
	.section	.AMDGPU.csdata,"",@progbits
; Kernel info:
; codeLenInByte = 888
; NumSgprs: 26
; NumVgprs: 10
; ScratchSize: 0
; MemoryBound: 0
; FloatMode: 240
; IeeeMode: 1
; LDSByteSize: 0 bytes/workgroup (compile time only)
; SGPRBlocks: 3
; VGPRBlocks: 1
; NumSGPRsForWavesPerEU: 26
; NumVGPRsForWavesPerEU: 10
; Occupancy: 16
; WaveLimiterHint : 1
; COMPUTE_PGM_RSRC2:SCRATCH_EN: 0
; COMPUTE_PGM_RSRC2:USER_SGPR: 15
; COMPUTE_PGM_RSRC2:TRAP_HANDLER: 0
; COMPUTE_PGM_RSRC2:TGID_X_EN: 1
; COMPUTE_PGM_RSRC2:TGID_Y_EN: 0
; COMPUTE_PGM_RSRC2:TGID_Z_EN: 0
; COMPUTE_PGM_RSRC2:TIDIG_COMP_CNT: 0
	.section	.text._ZN9rocsparseL30csrmvn_lrb_short_rows_2_kernelIliffffEEvbT_PT0_S3_jNS_24const_host_device_scalarIT4_EEPKS1_PKS2_PKT1_PKT2_S6_PT3_21rocsparse_index_base_b,"axG",@progbits,_ZN9rocsparseL30csrmvn_lrb_short_rows_2_kernelIliffffEEvbT_PT0_S3_jNS_24const_host_device_scalarIT4_EEPKS1_PKS2_PKT1_PKT2_S6_PT3_21rocsparse_index_base_b,comdat
	.globl	_ZN9rocsparseL30csrmvn_lrb_short_rows_2_kernelIliffffEEvbT_PT0_S3_jNS_24const_host_device_scalarIT4_EEPKS1_PKS2_PKT1_PKT2_S6_PT3_21rocsparse_index_base_b ; -- Begin function _ZN9rocsparseL30csrmvn_lrb_short_rows_2_kernelIliffffEEvbT_PT0_S3_jNS_24const_host_device_scalarIT4_EEPKS1_PKS2_PKT1_PKT2_S6_PT3_21rocsparse_index_base_b
	.p2align	8
	.type	_ZN9rocsparseL30csrmvn_lrb_short_rows_2_kernelIliffffEEvbT_PT0_S3_jNS_24const_host_device_scalarIT4_EEPKS1_PKS2_PKT1_PKT2_S6_PT3_21rocsparse_index_base_b,@function
_ZN9rocsparseL30csrmvn_lrb_short_rows_2_kernelIliffffEEvbT_PT0_S3_jNS_24const_host_device_scalarIT4_EEPKS1_PKS2_PKT1_PKT2_S6_PT3_21rocsparse_index_base_b: ; @_ZN9rocsparseL30csrmvn_lrb_short_rows_2_kernelIliffffEEvbT_PT0_S3_jNS_24const_host_device_scalarIT4_EEPKS1_PKS2_PKT1_PKT2_S6_PT3_21rocsparse_index_base_b
; %bb.0:
	s_clause 0x2
	s_load_b64 s[20:21], s[0:1], 0x60
	s_load_b64 s[18:19], s[0:1], 0x28
	s_load_b64 s[12:13], s[0:1], 0x50
	s_waitcnt lgkmcnt(0)
	s_bitcmp1_b32 s21, 0
	s_cselect_b32 s2, -1, 0
	s_delay_alu instid0(SALU_CYCLE_1)
	s_and_b32 vcc_lo, exec_lo, s2
	s_xor_b32 s2, s2, -1
	s_cbranch_vccnz .LBB15_2
; %bb.1:
	s_load_b32 s18, s[18:19], 0x0
.LBB15_2:
	s_and_not1_b32 vcc_lo, exec_lo, s2
	s_cbranch_vccnz .LBB15_4
; %bb.3:
	s_load_b32 s12, s[12:13], 0x0
.LBB15_4:
	s_waitcnt lgkmcnt(0)
	v_cmp_neq_f32_e64 s2, s18, 0
	v_cmp_neq_f32_e64 s3, s12, 1.0
	s_mov_b32 s17, 0
	s_delay_alu instid0(VALU_DEP_1) | instskip(NEXT) | instid1(SALU_CYCLE_1)
	s_or_b32 s2, s2, s3
	s_and_not1_b32 vcc_lo, exec_lo, s2
	s_cbranch_vccnz .LBB15_30
; %bb.5:
	s_clause 0x1
	s_load_b32 s16, s[0:1], 0x20
	s_load_b128 s[8:11], s[0:1], 0x10
	s_mov_b32 s5, s17
	v_mov_b32_e32 v6, 0
	s_waitcnt lgkmcnt(0)
	s_lshl_b64 s[2:3], s[16:17], 2
	v_lshrrev_b32_e32 v1, s16, v0
	s_add_u32 s2, s10, s2
	s_addc_u32 s3, s11, s3
	s_add_i32 s4, s16, 1
	v_bfe_u32 v5, v0, 0, s16
	s_lshl_b64 s[4:5], s[4:5], 2
	s_delay_alu instid0(SALU_CYCLE_1)
	s_add_u32 s4, s10, s4
	s_addc_u32 s5, s11, s5
	s_clause 0x1
	s_load_b32 s14, s[2:3], 0x0
	s_load_b32 s17, s[4:5], 0x0
	s_clause 0x1
	s_load_b64 s[10:11], s[0:1], 0x58
	s_load_b256 s[0:7], s[0:1], 0x30
	s_lshr_b32 s13, 0x400, s16
	s_delay_alu instid0(SALU_CYCLE_1) | instskip(NEXT) | instid1(SALU_CYCLE_1)
	s_mul_i32 s15, s13, s15
	v_add_nc_u32_e32 v1, s15, v1
	s_add_i32 s19, s15, s13
	s_waitcnt lgkmcnt(0)
	s_sub_i32 s17, s17, s14
	s_delay_alu instid0(SALU_CYCLE_1)
	s_min_u32 s17, s17, s19
	s_mov_b32 s19, exec_lo
	v_cmpx_gt_u32_e64 s17, v1
	s_cbranch_execz .LBB15_9
; %bb.6:
	v_dual_mov_b32 v2, v6 :: v_dual_add_nc_u32 v1, s14, v1
	s_delay_alu instid0(VALU_DEP_1) | instskip(NEXT) | instid1(VALU_DEP_1)
	v_lshlrev_b64 v[1:2], 2, v[1:2]
	v_add_co_u32 v1, vcc_lo, s8, v1
	s_delay_alu instid0(VALU_DEP_2) | instskip(SKIP_3) | instid1(VALU_DEP_1)
	v_add_co_ci_u32_e32 v2, vcc_lo, s9, v2, vcc_lo
	global_load_b32 v1, v[1:2], off
	s_waitcnt vmcnt(0)
	v_ashrrev_i32_e32 v2, 31, v1
	v_lshlrev_b64 v[1:2], 3, v[1:2]
	s_delay_alu instid0(VALU_DEP_1) | instskip(NEXT) | instid1(VALU_DEP_2)
	v_add_co_u32 v1, vcc_lo, s0, v1
	v_add_co_ci_u32_e32 v2, vcc_lo, s1, v2, vcc_lo
	global_load_b128 v[1:4], v[1:2], off
	s_waitcnt vmcnt(0)
	v_sub_co_u32 v3, vcc_lo, v3, v1
	v_sub_co_ci_u32_e32 v4, vcc_lo, v4, v2, vcc_lo
	s_delay_alu instid0(VALU_DEP_1)
	v_cmp_gt_i64_e32 vcc_lo, v[3:4], v[5:6]
	v_mov_b32_e32 v3, v6
	s_and_saveexec_b32 s21, vcc_lo
	s_cbranch_execz .LBB15_8
; %bb.7:
	v_sub_co_u32 v1, vcc_lo, v1, s20
	v_subrev_co_ci_u32_e32 v2, vcc_lo, 0, v2, vcc_lo
	s_delay_alu instid0(VALU_DEP_2) | instskip(NEXT) | instid1(VALU_DEP_2)
	v_add_co_u32 v1, vcc_lo, v1, v5
	v_add_co_ci_u32_e32 v2, vcc_lo, 0, v2, vcc_lo
	s_delay_alu instid0(VALU_DEP_1) | instskip(NEXT) | instid1(VALU_DEP_1)
	v_lshlrev_b64 v[1:2], 2, v[1:2]
	v_add_co_u32 v3, vcc_lo, s2, v1
	s_delay_alu instid0(VALU_DEP_2)
	v_add_co_ci_u32_e32 v4, vcc_lo, s3, v2, vcc_lo
	v_add_co_u32 v1, vcc_lo, s4, v1
	v_add_co_ci_u32_e32 v2, vcc_lo, s5, v2, vcc_lo
	global_load_b32 v3, v[3:4], off
	global_load_b32 v7, v[1:2], off
	s_waitcnt vmcnt(1)
	v_subrev_nc_u32_e32 v3, s20, v3
	s_delay_alu instid0(VALU_DEP_1) | instskip(NEXT) | instid1(VALU_DEP_1)
	v_ashrrev_i32_e32 v4, 31, v3
	v_lshlrev_b64 v[3:4], 2, v[3:4]
	s_delay_alu instid0(VALU_DEP_1) | instskip(NEXT) | instid1(VALU_DEP_2)
	v_add_co_u32 v1, vcc_lo, s6, v3
	v_add_co_ci_u32_e32 v2, vcc_lo, s7, v4, vcc_lo
	global_load_b32 v1, v[1:2], off
	s_waitcnt vmcnt(1)
	v_mul_f32_e32 v2, s18, v7
	s_waitcnt vmcnt(0)
	s_delay_alu instid0(VALU_DEP_1)
	v_mul_f32_e32 v3, v2, v1
.LBB15_8:
	s_or_b32 exec_lo, exec_lo, s21
	v_lshlrev_b32_e32 v1, 2, v0
	ds_store_b32 v1, v3
.LBB15_9:
	s_or_b32 exec_lo, exec_lo, s19
	v_or_b32_e32 v1, 0x100, v0
	s_mov_b32 s19, exec_lo
	s_delay_alu instid0(VALU_DEP_1) | instskip(NEXT) | instid1(VALU_DEP_1)
	v_lshrrev_b32_e32 v1, s16, v1
	v_add_nc_u32_e32 v1, s15, v1
	s_delay_alu instid0(VALU_DEP_1)
	v_cmpx_gt_u32_e64 s17, v1
	s_cbranch_execz .LBB15_13
; %bb.10:
	v_dual_mov_b32 v8, 0 :: v_dual_add_nc_u32 v7, s14, v1
	s_mov_b32 s21, exec_lo
	s_delay_alu instid0(VALU_DEP_1) | instskip(NEXT) | instid1(VALU_DEP_1)
	v_lshlrev_b64 v[1:2], 2, v[7:8]
	v_add_co_u32 v1, vcc_lo, s8, v1
	s_delay_alu instid0(VALU_DEP_2) | instskip(SKIP_3) | instid1(VALU_DEP_1)
	v_add_co_ci_u32_e32 v2, vcc_lo, s9, v2, vcc_lo
	global_load_b32 v1, v[1:2], off
	s_waitcnt vmcnt(0)
	v_ashrrev_i32_e32 v2, 31, v1
	v_lshlrev_b64 v[1:2], 3, v[1:2]
	s_delay_alu instid0(VALU_DEP_1) | instskip(NEXT) | instid1(VALU_DEP_2)
	v_add_co_u32 v1, vcc_lo, s0, v1
	v_add_co_ci_u32_e32 v2, vcc_lo, s1, v2, vcc_lo
	global_load_b128 v[1:4], v[1:2], off
	s_waitcnt vmcnt(0)
	v_sub_co_u32 v3, vcc_lo, v3, v1
	v_sub_co_ci_u32_e32 v4, vcc_lo, v4, v2, vcc_lo
	s_delay_alu instid0(VALU_DEP_1)
	v_cmpx_gt_i64_e64 v[3:4], v[5:6]
	s_cbranch_execz .LBB15_12
; %bb.11:
	v_sub_co_u32 v1, vcc_lo, v1, s20
	v_subrev_co_ci_u32_e32 v2, vcc_lo, 0, v2, vcc_lo
	s_delay_alu instid0(VALU_DEP_2) | instskip(NEXT) | instid1(VALU_DEP_2)
	v_add_co_u32 v1, vcc_lo, v1, v5
	v_add_co_ci_u32_e32 v2, vcc_lo, 0, v2, vcc_lo
	s_delay_alu instid0(VALU_DEP_1) | instskip(NEXT) | instid1(VALU_DEP_1)
	v_lshlrev_b64 v[1:2], 2, v[1:2]
	v_add_co_u32 v3, vcc_lo, s2, v1
	s_delay_alu instid0(VALU_DEP_2)
	v_add_co_ci_u32_e32 v4, vcc_lo, s3, v2, vcc_lo
	v_add_co_u32 v1, vcc_lo, s4, v1
	v_add_co_ci_u32_e32 v2, vcc_lo, s5, v2, vcc_lo
	global_load_b32 v3, v[3:4], off
	global_load_b32 v7, v[1:2], off
	s_waitcnt vmcnt(1)
	v_subrev_nc_u32_e32 v3, s20, v3
	s_delay_alu instid0(VALU_DEP_1) | instskip(NEXT) | instid1(VALU_DEP_1)
	v_ashrrev_i32_e32 v4, 31, v3
	v_lshlrev_b64 v[3:4], 2, v[3:4]
	s_delay_alu instid0(VALU_DEP_1) | instskip(NEXT) | instid1(VALU_DEP_2)
	v_add_co_u32 v1, vcc_lo, s6, v3
	v_add_co_ci_u32_e32 v2, vcc_lo, s7, v4, vcc_lo
	global_load_b32 v1, v[1:2], off
	s_waitcnt vmcnt(1)
	v_mul_f32_e32 v2, s18, v7
	s_waitcnt vmcnt(0)
	s_delay_alu instid0(VALU_DEP_1)
	v_mul_f32_e32 v8, v2, v1
.LBB15_12:
	s_or_b32 exec_lo, exec_lo, s21
	v_lshlrev_b32_e32 v1, 2, v0
	ds_store_b32 v1, v8 offset:1024
.LBB15_13:
	s_or_b32 exec_lo, exec_lo, s19
	v_or_b32_e32 v1, 0x200, v0
	s_mov_b32 s19, exec_lo
	s_delay_alu instid0(VALU_DEP_1) | instskip(NEXT) | instid1(VALU_DEP_1)
	v_lshrrev_b32_e32 v1, s16, v1
	v_add_nc_u32_e32 v1, s15, v1
	s_delay_alu instid0(VALU_DEP_1)
	v_cmpx_gt_u32_e64 s17, v1
	s_cbranch_execz .LBB15_17
; %bb.14:
	v_dual_mov_b32 v8, 0 :: v_dual_add_nc_u32 v7, s14, v1
	s_mov_b32 s21, exec_lo
	s_delay_alu instid0(VALU_DEP_1) | instskip(NEXT) | instid1(VALU_DEP_1)
	v_lshlrev_b64 v[1:2], 2, v[7:8]
	v_add_co_u32 v1, vcc_lo, s8, v1
	s_delay_alu instid0(VALU_DEP_2) | instskip(SKIP_3) | instid1(VALU_DEP_1)
	v_add_co_ci_u32_e32 v2, vcc_lo, s9, v2, vcc_lo
	global_load_b32 v1, v[1:2], off
	s_waitcnt vmcnt(0)
	v_ashrrev_i32_e32 v2, 31, v1
	v_lshlrev_b64 v[1:2], 3, v[1:2]
	s_delay_alu instid0(VALU_DEP_1) | instskip(NEXT) | instid1(VALU_DEP_2)
	v_add_co_u32 v1, vcc_lo, s0, v1
	v_add_co_ci_u32_e32 v2, vcc_lo, s1, v2, vcc_lo
	global_load_b128 v[1:4], v[1:2], off
	s_waitcnt vmcnt(0)
	v_sub_co_u32 v3, vcc_lo, v3, v1
	v_sub_co_ci_u32_e32 v4, vcc_lo, v4, v2, vcc_lo
	s_delay_alu instid0(VALU_DEP_1)
	v_cmpx_gt_i64_e64 v[3:4], v[5:6]
	s_cbranch_execz .LBB15_16
; %bb.15:
	v_sub_co_u32 v1, vcc_lo, v1, s20
	v_subrev_co_ci_u32_e32 v2, vcc_lo, 0, v2, vcc_lo
	s_delay_alu instid0(VALU_DEP_2) | instskip(NEXT) | instid1(VALU_DEP_2)
	v_add_co_u32 v1, vcc_lo, v1, v5
	v_add_co_ci_u32_e32 v2, vcc_lo, 0, v2, vcc_lo
	s_delay_alu instid0(VALU_DEP_1) | instskip(NEXT) | instid1(VALU_DEP_1)
	v_lshlrev_b64 v[1:2], 2, v[1:2]
	v_add_co_u32 v3, vcc_lo, s2, v1
	s_delay_alu instid0(VALU_DEP_2)
	v_add_co_ci_u32_e32 v4, vcc_lo, s3, v2, vcc_lo
	v_add_co_u32 v1, vcc_lo, s4, v1
	v_add_co_ci_u32_e32 v2, vcc_lo, s5, v2, vcc_lo
	global_load_b32 v3, v[3:4], off
	global_load_b32 v7, v[1:2], off
	s_waitcnt vmcnt(1)
	v_subrev_nc_u32_e32 v3, s20, v3
	s_delay_alu instid0(VALU_DEP_1) | instskip(NEXT) | instid1(VALU_DEP_1)
	v_ashrrev_i32_e32 v4, 31, v3
	v_lshlrev_b64 v[3:4], 2, v[3:4]
	s_delay_alu instid0(VALU_DEP_1) | instskip(NEXT) | instid1(VALU_DEP_2)
	v_add_co_u32 v1, vcc_lo, s6, v3
	v_add_co_ci_u32_e32 v2, vcc_lo, s7, v4, vcc_lo
	global_load_b32 v1, v[1:2], off
	s_waitcnt vmcnt(1)
	v_mul_f32_e32 v2, s18, v7
	s_waitcnt vmcnt(0)
	s_delay_alu instid0(VALU_DEP_1)
	v_mul_f32_e32 v8, v2, v1
.LBB15_16:
	s_or_b32 exec_lo, exec_lo, s21
	v_lshlrev_b32_e32 v1, 2, v0
	ds_store_b32 v1, v8 offset:2048
.LBB15_17:
	s_or_b32 exec_lo, exec_lo, s19
	v_or_b32_e32 v1, 0x300, v0
	s_mov_b32 s19, exec_lo
	s_delay_alu instid0(VALU_DEP_1) | instskip(NEXT) | instid1(VALU_DEP_1)
	v_lshrrev_b32_e32 v1, s16, v1
	v_add_nc_u32_e32 v1, s15, v1
	s_delay_alu instid0(VALU_DEP_1)
	v_cmpx_gt_u32_e64 s17, v1
	s_cbranch_execz .LBB15_21
; %bb.18:
	v_dual_mov_b32 v8, 0 :: v_dual_add_nc_u32 v7, s14, v1
	s_delay_alu instid0(VALU_DEP_1) | instskip(NEXT) | instid1(VALU_DEP_1)
	v_lshlrev_b64 v[1:2], 2, v[7:8]
	v_add_co_u32 v1, vcc_lo, s8, v1
	s_delay_alu instid0(VALU_DEP_2) | instskip(SKIP_3) | instid1(VALU_DEP_1)
	v_add_co_ci_u32_e32 v2, vcc_lo, s9, v2, vcc_lo
	global_load_b32 v1, v[1:2], off
	s_waitcnt vmcnt(0)
	v_ashrrev_i32_e32 v2, 31, v1
	v_lshlrev_b64 v[1:2], 3, v[1:2]
	s_delay_alu instid0(VALU_DEP_1) | instskip(NEXT) | instid1(VALU_DEP_2)
	v_add_co_u32 v1, vcc_lo, s0, v1
	v_add_co_ci_u32_e32 v2, vcc_lo, s1, v2, vcc_lo
	s_mov_b32 s0, exec_lo
	global_load_b128 v[1:4], v[1:2], off
	s_waitcnt vmcnt(0)
	v_sub_co_u32 v3, vcc_lo, v3, v1
	v_sub_co_ci_u32_e32 v4, vcc_lo, v4, v2, vcc_lo
	s_delay_alu instid0(VALU_DEP_1)
	v_cmpx_gt_i64_e64 v[3:4], v[5:6]
	s_cbranch_execz .LBB15_20
; %bb.19:
	v_sub_co_u32 v1, vcc_lo, v1, s20
	v_subrev_co_ci_u32_e32 v2, vcc_lo, 0, v2, vcc_lo
	s_delay_alu instid0(VALU_DEP_2) | instskip(NEXT) | instid1(VALU_DEP_2)
	v_add_co_u32 v1, vcc_lo, v1, v5
	v_add_co_ci_u32_e32 v2, vcc_lo, 0, v2, vcc_lo
	s_delay_alu instid0(VALU_DEP_1) | instskip(NEXT) | instid1(VALU_DEP_1)
	v_lshlrev_b64 v[1:2], 2, v[1:2]
	v_add_co_u32 v3, vcc_lo, s2, v1
	s_delay_alu instid0(VALU_DEP_2)
	v_add_co_ci_u32_e32 v4, vcc_lo, s3, v2, vcc_lo
	v_add_co_u32 v1, vcc_lo, s4, v1
	v_add_co_ci_u32_e32 v2, vcc_lo, s5, v2, vcc_lo
	global_load_b32 v3, v[3:4], off
	global_load_b32 v5, v[1:2], off
	s_waitcnt vmcnt(1)
	v_subrev_nc_u32_e32 v3, s20, v3
	s_delay_alu instid0(VALU_DEP_1) | instskip(NEXT) | instid1(VALU_DEP_1)
	v_ashrrev_i32_e32 v4, 31, v3
	v_lshlrev_b64 v[3:4], 2, v[3:4]
	s_delay_alu instid0(VALU_DEP_1) | instskip(NEXT) | instid1(VALU_DEP_2)
	v_add_co_u32 v1, vcc_lo, s6, v3
	v_add_co_ci_u32_e32 v2, vcc_lo, s7, v4, vcc_lo
	global_load_b32 v1, v[1:2], off
	s_waitcnt vmcnt(1)
	v_mul_f32_e32 v2, s18, v5
	s_waitcnt vmcnt(0)
	s_delay_alu instid0(VALU_DEP_1)
	v_mul_f32_e32 v8, v2, v1
.LBB15_20:
	s_or_b32 exec_lo, exec_lo, s0
	v_lshlrev_b32_e32 v1, 2, v0
	ds_store_b32 v1, v8 offset:3072
.LBB15_21:
	s_or_b32 exec_lo, exec_lo, s19
	s_cmp_lt_u32 s16, 11
	s_waitcnt lgkmcnt(0)
	s_barrier
	buffer_gl0_inv
	s_cbranch_scc0 .LBB15_30
; %bb.22:
	v_cmp_neq_f32_e64 s0, s12, 0
	v_mov_b32_e32 v2, 0
	s_sub_i32 s1, s17, s15
	s_add_i32 s14, s14, s15
	s_mov_b32 s2, 0
	s_set_inst_prefetch_distance 0x1
	s_branch .LBB15_25
	.p2align	6
.LBB15_23:                              ;   in Loop: Header=BB15_25 Depth=1
	s_delay_alu instid0(VALU_DEP_1) | instskip(NEXT) | instid1(VALU_DEP_2)
	v_add_co_u32 v3, vcc_lo, s10, v3
	v_add_co_ci_u32_e32 v4, vcc_lo, s11, v4, vcc_lo
	global_store_b32 v[3:4], v1, off
.LBB15_24:                              ;   in Loop: Header=BB15_25 Depth=1
	s_or_b32 exec_lo, exec_lo, s3
	s_addk_i32 s2, 0x100
	s_delay_alu instid0(SALU_CYCLE_1)
	s_cmp_lt_u32 s2, s13
	s_cbranch_scc0 .LBB15_30
.LBB15_25:                              ; =>This Loop Header: Depth=1
                                        ;     Child Loop BB15_27 Depth 2
	v_add_nc_u32_e32 v4, s2, v0
	s_mov_b32 s3, exec_lo
	s_delay_alu instid0(VALU_DEP_1)
	v_cmpx_gt_u32_e64 s1, v4
	s_cbranch_execz .LBB15_24
; %bb.26:                               ;   in Loop: Header=BB15_25 Depth=1
	v_add_nc_u32_e32 v1, s14, v4
	s_mov_b32 s4, 1
	s_delay_alu instid0(VALU_DEP_1) | instskip(SKIP_1) | instid1(VALU_DEP_1)
	v_lshlrev_b64 v[5:6], 2, v[1:2]
	v_lshlrev_b32_e32 v1, s16, v4
	v_dual_mov_b32 v1, 0 :: v_dual_lshlrev_b32 v4, 2, v1
	s_delay_alu instid0(VALU_DEP_3) | instskip(NEXT) | instid1(VALU_DEP_4)
	v_add_co_u32 v5, vcc_lo, s8, v5
	v_add_co_ci_u32_e32 v6, vcc_lo, s9, v6, vcc_lo
	global_load_b32 v3, v[5:6], off
.LBB15_27:                              ;   Parent Loop BB15_25 Depth=1
                                        ; =>  This Inner Loop Header: Depth=2
	ds_load_b32 v5, v4
	v_add_nc_u32_e32 v4, 4, v4
	s_lshr_b32 s5, s4, s16
	s_add_i32 s4, s4, 1
	s_cmp_lg_u32 s5, 0
	s_waitcnt lgkmcnt(0)
	v_add_f32_e32 v1, v1, v5
	s_cbranch_scc0 .LBB15_27
; %bb.28:                               ;   in Loop: Header=BB15_25 Depth=1
	s_waitcnt vmcnt(0)
	v_ashrrev_i32_e32 v4, 31, v3
	s_and_b32 vcc_lo, exec_lo, s0
	s_delay_alu instid0(VALU_DEP_1)
	v_lshlrev_b64 v[3:4], 2, v[3:4]
	s_cbranch_vccz .LBB15_23
; %bb.29:                               ;   in Loop: Header=BB15_25 Depth=1
	s_delay_alu instid0(VALU_DEP_1) | instskip(NEXT) | instid1(VALU_DEP_2)
	v_add_co_u32 v5, vcc_lo, s10, v3
	v_add_co_ci_u32_e32 v6, vcc_lo, s11, v4, vcc_lo
	global_load_b32 v5, v[5:6], off
	s_waitcnt vmcnt(0)
	v_fmac_f32_e32 v1, s12, v5
	s_branch .LBB15_23
.LBB15_30:
	s_set_inst_prefetch_distance 0x2
	s_nop 0
	s_sendmsg sendmsg(MSG_DEALLOC_VGPRS)
	s_endpgm
	.section	.rodata,"a",@progbits
	.p2align	6, 0x0
	.amdhsa_kernel _ZN9rocsparseL30csrmvn_lrb_short_rows_2_kernelIliffffEEvbT_PT0_S3_jNS_24const_host_device_scalarIT4_EEPKS1_PKS2_PKT1_PKT2_S6_PT3_21rocsparse_index_base_b
		.amdhsa_group_segment_fixed_size 4096
		.amdhsa_private_segment_fixed_size 0
		.amdhsa_kernarg_size 104
		.amdhsa_user_sgpr_count 15
		.amdhsa_user_sgpr_dispatch_ptr 0
		.amdhsa_user_sgpr_queue_ptr 0
		.amdhsa_user_sgpr_kernarg_segment_ptr 1
		.amdhsa_user_sgpr_dispatch_id 0
		.amdhsa_user_sgpr_private_segment_size 0
		.amdhsa_wavefront_size32 1
		.amdhsa_uses_dynamic_stack 0
		.amdhsa_enable_private_segment 0
		.amdhsa_system_sgpr_workgroup_id_x 1
		.amdhsa_system_sgpr_workgroup_id_y 0
		.amdhsa_system_sgpr_workgroup_id_z 0
		.amdhsa_system_sgpr_workgroup_info 0
		.amdhsa_system_vgpr_workitem_id 0
		.amdhsa_next_free_vgpr 9
		.amdhsa_next_free_sgpr 22
		.amdhsa_reserve_vcc 1
		.amdhsa_float_round_mode_32 0
		.amdhsa_float_round_mode_16_64 0
		.amdhsa_float_denorm_mode_32 3
		.amdhsa_float_denorm_mode_16_64 3
		.amdhsa_dx10_clamp 1
		.amdhsa_ieee_mode 1
		.amdhsa_fp16_overflow 0
		.amdhsa_workgroup_processor_mode 1
		.amdhsa_memory_ordered 1
		.amdhsa_forward_progress 0
		.amdhsa_shared_vgpr_count 0
		.amdhsa_exception_fp_ieee_invalid_op 0
		.amdhsa_exception_fp_denorm_src 0
		.amdhsa_exception_fp_ieee_div_zero 0
		.amdhsa_exception_fp_ieee_overflow 0
		.amdhsa_exception_fp_ieee_underflow 0
		.amdhsa_exception_fp_ieee_inexact 0
		.amdhsa_exception_int_div_zero 0
	.end_amdhsa_kernel
	.section	.text._ZN9rocsparseL30csrmvn_lrb_short_rows_2_kernelIliffffEEvbT_PT0_S3_jNS_24const_host_device_scalarIT4_EEPKS1_PKS2_PKT1_PKT2_S6_PT3_21rocsparse_index_base_b,"axG",@progbits,_ZN9rocsparseL30csrmvn_lrb_short_rows_2_kernelIliffffEEvbT_PT0_S3_jNS_24const_host_device_scalarIT4_EEPKS1_PKS2_PKT1_PKT2_S6_PT3_21rocsparse_index_base_b,comdat
.Lfunc_end15:
	.size	_ZN9rocsparseL30csrmvn_lrb_short_rows_2_kernelIliffffEEvbT_PT0_S3_jNS_24const_host_device_scalarIT4_EEPKS1_PKS2_PKT1_PKT2_S6_PT3_21rocsparse_index_base_b, .Lfunc_end15-_ZN9rocsparseL30csrmvn_lrb_short_rows_2_kernelIliffffEEvbT_PT0_S3_jNS_24const_host_device_scalarIT4_EEPKS1_PKS2_PKT1_PKT2_S6_PT3_21rocsparse_index_base_b
                                        ; -- End function
	.section	.AMDGPU.csdata,"",@progbits
; Kernel info:
; codeLenInByte = 1876
; NumSgprs: 24
; NumVgprs: 9
; ScratchSize: 0
; MemoryBound: 0
; FloatMode: 240
; IeeeMode: 1
; LDSByteSize: 4096 bytes/workgroup (compile time only)
; SGPRBlocks: 2
; VGPRBlocks: 1
; NumSGPRsForWavesPerEU: 24
; NumVGPRsForWavesPerEU: 9
; Occupancy: 16
; WaveLimiterHint : 1
; COMPUTE_PGM_RSRC2:SCRATCH_EN: 0
; COMPUTE_PGM_RSRC2:USER_SGPR: 15
; COMPUTE_PGM_RSRC2:TRAP_HANDLER: 0
; COMPUTE_PGM_RSRC2:TGID_X_EN: 1
; COMPUTE_PGM_RSRC2:TGID_Y_EN: 0
; COMPUTE_PGM_RSRC2:TGID_Z_EN: 0
; COMPUTE_PGM_RSRC2:TIDIG_COMP_CNT: 0
	.section	.text._ZN9rocsparseL41csrmvn_lrb_medium_rows_warp_reduce_kernelILj256ELj32EliffffEEvbT1_lPT2_S3_jNS_24const_host_device_scalarIT6_EEPKS1_PKS2_PKT3_PKT4_S6_PT5_21rocsparse_index_base_b,"axG",@progbits,_ZN9rocsparseL41csrmvn_lrb_medium_rows_warp_reduce_kernelILj256ELj32EliffffEEvbT1_lPT2_S3_jNS_24const_host_device_scalarIT6_EEPKS1_PKS2_PKT3_PKT4_S6_PT5_21rocsparse_index_base_b,comdat
	.globl	_ZN9rocsparseL41csrmvn_lrb_medium_rows_warp_reduce_kernelILj256ELj32EliffffEEvbT1_lPT2_S3_jNS_24const_host_device_scalarIT6_EEPKS1_PKS2_PKT3_PKT4_S6_PT5_21rocsparse_index_base_b ; -- Begin function _ZN9rocsparseL41csrmvn_lrb_medium_rows_warp_reduce_kernelILj256ELj32EliffffEEvbT1_lPT2_S3_jNS_24const_host_device_scalarIT6_EEPKS1_PKS2_PKT3_PKT4_S6_PT5_21rocsparse_index_base_b
	.p2align	8
	.type	_ZN9rocsparseL41csrmvn_lrb_medium_rows_warp_reduce_kernelILj256ELj32EliffffEEvbT1_lPT2_S3_jNS_24const_host_device_scalarIT6_EEPKS1_PKS2_PKT3_PKT4_S6_PT5_21rocsparse_index_base_b,@function
_ZN9rocsparseL41csrmvn_lrb_medium_rows_warp_reduce_kernelILj256ELj32EliffffEEvbT1_lPT2_S3_jNS_24const_host_device_scalarIT6_EEPKS1_PKS2_PKT3_PKT4_S6_PT5_21rocsparse_index_base_b: ; @_ZN9rocsparseL41csrmvn_lrb_medium_rows_warp_reduce_kernelILj256ELj32EliffffEEvbT1_lPT2_S3_jNS_24const_host_device_scalarIT6_EEPKS1_PKS2_PKT3_PKT4_S6_PT5_21rocsparse_index_base_b
; %bb.0:
	s_clause 0x2
	s_load_b64 s[4:5], s[0:1], 0x68
	s_load_b64 s[6:7], s[0:1], 0x30
	;; [unrolled: 1-line block ×3, first 2 shown]
	s_waitcnt lgkmcnt(0)
	s_bitcmp1_b32 s5, 0
	s_cselect_b32 s5, -1, 0
	s_delay_alu instid0(SALU_CYCLE_1)
	s_and_b32 vcc_lo, exec_lo, s5
	s_xor_b32 s5, s5, -1
	s_cbranch_vccnz .LBB16_2
; %bb.1:
	s_load_b32 s6, s[6:7], 0x0
.LBB16_2:
	s_and_not1_b32 vcc_lo, exec_lo, s5
	s_cbranch_vccnz .LBB16_4
; %bb.3:
	s_load_b32 s2, s[2:3], 0x0
.LBB16_4:
	s_waitcnt lgkmcnt(0)
	v_cmp_neq_f32_e64 s3, s6, 0
	v_cmp_neq_f32_e64 s5, s2, 1.0
	s_delay_alu instid0(VALU_DEP_1) | instskip(NEXT) | instid1(SALU_CYCLE_1)
	s_or_b32 s3, s3, s5
	s_and_not1_b32 vcc_lo, exec_lo, s3
	s_cbranch_vccnz .LBB16_14
; %bb.5:
	s_load_b64 s[8:9], s[0:1], 0x10
	v_lshrrev_b32_e32 v1, 5, v0
	s_mov_b32 s3, exec_lo
	s_delay_alu instid0(VALU_DEP_1) | instskip(NEXT) | instid1(VALU_DEP_1)
	v_lshl_or_b32 v1, s15, 3, v1
	v_ashrrev_i32_e32 v2, 31, v1
	s_waitcnt lgkmcnt(0)
	s_delay_alu instid0(VALU_DEP_1)
	v_cmpx_gt_i64_e64 s[8:9], v[1:2]
	s_cbranch_execz .LBB16_14
; %bb.6:
	s_clause 0x1
	s_load_b32 s10, s[0:1], 0x28
	s_load_b128 s[12:15], s[0:1], 0x18
	s_mov_b32 s11, 0
	v_dual_mov_b32 v11, 0 :: v_dual_and_b32 v0, 31, v0
	s_waitcnt lgkmcnt(0)
	s_lshl_b64 s[8:9], s[10:11], 2
	s_delay_alu instid0(SALU_CYCLE_1)
	s_add_u32 s8, s14, s8
	s_addc_u32 s9, s15, s9
	s_load_b32 s3, s[8:9], 0x0
	s_load_b64 s[8:9], s[0:1], 0x38
	s_waitcnt lgkmcnt(0)
	v_add_nc_u32_e32 v1, s3, v1
	v_sub_co_u32 v9, s3, v0, s4
	s_delay_alu instid0(VALU_DEP_1) | instskip(NEXT) | instid1(VALU_DEP_3)
	v_sub_co_ci_u32_e64 v10, null, 0, 0, s3
	v_ashrrev_i32_e32 v2, 31, v1
	s_mov_b32 s3, exec_lo
	s_delay_alu instid0(VALU_DEP_1) | instskip(NEXT) | instid1(VALU_DEP_1)
	v_lshlrev_b64 v[1:2], 2, v[1:2]
	v_add_co_u32 v1, vcc_lo, s12, v1
	s_delay_alu instid0(VALU_DEP_2) | instskip(SKIP_3) | instid1(VALU_DEP_1)
	v_add_co_ci_u32_e32 v2, vcc_lo, s13, v2, vcc_lo
	global_load_b32 v1, v[1:2], off
	s_waitcnt vmcnt(0)
	v_ashrrev_i32_e32 v2, 31, v1
	v_lshlrev_b64 v[3:4], 3, v[1:2]
	s_delay_alu instid0(VALU_DEP_1) | instskip(NEXT) | instid1(VALU_DEP_2)
	v_add_co_u32 v3, vcc_lo, s8, v3
	v_add_co_ci_u32_e32 v4, vcc_lo, s9, v4, vcc_lo
	s_load_b64 s[8:9], s[0:1], 0x60
	global_load_b128 v[5:8], v[3:4], off
	s_waitcnt vmcnt(0)
	v_sub_co_u32 v3, vcc_lo, v7, s4
	v_subrev_co_ci_u32_e32 v4, vcc_lo, 0, v8, vcc_lo
	v_add_co_u32 v5, vcc_lo, v5, v9
	v_add_co_ci_u32_e32 v6, vcc_lo, v6, v10, vcc_lo
	s_delay_alu instid0(VALU_DEP_1)
	v_cmpx_lt_i64_e64 v[5:6], v[3:4]
	s_cbranch_execz .LBB16_10
; %bb.7:
	s_clause 0x1
	s_load_b128 s[16:19], s[0:1], 0x40
	s_load_b64 s[12:13], s[0:1], 0x50
	v_lshlrev_b64 v[9:10], 2, v[5:6]
	v_mov_b32_e32 v11, 0
	s_waitcnt lgkmcnt(0)
	s_delay_alu instid0(VALU_DEP_2) | instskip(NEXT) | instid1(VALU_DEP_3)
	v_add_co_u32 v7, vcc_lo, s18, v9
	v_add_co_ci_u32_e32 v8, vcc_lo, s19, v10, vcc_lo
	v_add_co_u32 v9, vcc_lo, s16, v9
	v_add_co_ci_u32_e32 v10, vcc_lo, s17, v10, vcc_lo
	.p2align	6
.LBB16_8:                               ; =>This Inner Loop Header: Depth=1
	global_load_b32 v12, v[9:10], off
	global_load_b32 v14, v[7:8], off
	v_add_co_u32 v9, s0, 0x80, v9
	s_delay_alu instid0(VALU_DEP_1) | instskip(SKIP_2) | instid1(VALU_DEP_1)
	v_add_co_ci_u32_e64 v10, s0, 0, v10, s0
	s_waitcnt vmcnt(1)
	v_subrev_nc_u32_e32 v12, s4, v12
	v_ashrrev_i32_e32 v13, 31, v12
	s_delay_alu instid0(VALU_DEP_1) | instskip(NEXT) | instid1(VALU_DEP_1)
	v_lshlrev_b64 v[12:13], 2, v[12:13]
	v_add_co_u32 v12, vcc_lo, s12, v12
	s_delay_alu instid0(VALU_DEP_2)
	v_add_co_ci_u32_e32 v13, vcc_lo, s13, v13, vcc_lo
	v_add_co_u32 v5, vcc_lo, v5, 32
	v_add_co_ci_u32_e32 v6, vcc_lo, 0, v6, vcc_lo
	global_load_b32 v12, v[12:13], off
	v_add_co_u32 v7, vcc_lo, 0x80, v7
	s_waitcnt vmcnt(1)
	v_mul_f32_e32 v13, s6, v14
	v_add_co_ci_u32_e32 v8, vcc_lo, 0, v8, vcc_lo
	v_cmp_ge_i64_e32 vcc_lo, v[5:6], v[3:4]
	s_or_b32 s11, vcc_lo, s11
	s_waitcnt vmcnt(0)
	v_fmac_f32_e32 v11, v13, v12
	s_and_not1_b32 exec_lo, exec_lo, s11
	s_cbranch_execnz .LBB16_8
; %bb.9:
	s_or_b32 exec_lo, exec_lo, s11
.LBB16_10:
	s_delay_alu instid0(SALU_CYCLE_1) | instskip(SKIP_1) | instid1(VALU_DEP_1)
	s_or_b32 exec_lo, exec_lo, s3
	v_mbcnt_lo_u32_b32 v3, -1, 0
	v_xor_b32_e32 v4, 16, v3
	v_xor_b32_e32 v5, 8, v3
	;; [unrolled: 1-line block ×3, first 2 shown]
	s_delay_alu instid0(VALU_DEP_3) | instskip(SKIP_1) | instid1(VALU_DEP_4)
	v_cmp_gt_i32_e32 vcc_lo, 32, v4
	v_cndmask_b32_e32 v4, v3, v4, vcc_lo
	v_cmp_gt_i32_e32 vcc_lo, 32, v5
	v_cndmask_b32_e32 v5, v3, v5, vcc_lo
	;; [unrolled: 2-line block ×3, first 2 shown]
	s_delay_alu instid0(VALU_DEP_1) | instskip(NEXT) | instid1(VALU_DEP_4)
	v_lshlrev_b32_e32 v6, 2, v6
	v_lshlrev_b32_e32 v5, 2, v5
	;; [unrolled: 1-line block ×3, first 2 shown]
	ds_bpermute_b32 v4, v4, v11
	s_waitcnt lgkmcnt(0)
	v_add_f32_e32 v4, v11, v4
	ds_bpermute_b32 v5, v5, v4
	s_waitcnt lgkmcnt(0)
	v_add_f32_e32 v4, v4, v5
	ds_bpermute_b32 v5, v6, v4
	v_xor_b32_e32 v6, 2, v3
	s_delay_alu instid0(VALU_DEP_1) | instskip(SKIP_1) | instid1(VALU_DEP_1)
	v_cmp_gt_i32_e32 vcc_lo, 32, v6
	v_cndmask_b32_e32 v6, v3, v6, vcc_lo
	v_lshlrev_b32_e32 v6, 2, v6
	s_waitcnt lgkmcnt(0)
	v_add_f32_e32 v4, v4, v5
	ds_bpermute_b32 v5, v6, v4
	v_xor_b32_e32 v6, 1, v3
	s_delay_alu instid0(VALU_DEP_1) | instskip(SKIP_3) | instid1(VALU_DEP_2)
	v_cmp_gt_i32_e32 vcc_lo, 32, v6
	v_cndmask_b32_e32 v6, v3, v6, vcc_lo
	v_cmp_eq_u32_e32 vcc_lo, 31, v0
	s_waitcnt lgkmcnt(0)
	v_dual_add_f32 v3, v4, v5 :: v_dual_lshlrev_b32 v4, 2, v6
	ds_bpermute_b32 v4, v4, v3
	s_and_b32 exec_lo, exec_lo, vcc_lo
	s_cbranch_execz .LBB16_14
; %bb.11:
	v_cmp_eq_f32_e64 s0, s2, 0
	v_lshlrev_b64 v[0:1], 2, v[1:2]
	s_waitcnt lgkmcnt(0)
	v_add_f32_e32 v3, v3, v4
	s_delay_alu instid0(VALU_DEP_3)
	s_and_b32 vcc_lo, exec_lo, s0
	s_cbranch_vccnz .LBB16_13
; %bb.12:
	s_delay_alu instid0(VALU_DEP_2)
	v_add_co_u32 v4, vcc_lo, s8, v0
	v_add_co_ci_u32_e32 v5, vcc_lo, s9, v1, vcc_lo
	global_load_b32 v2, v[4:5], off
	s_waitcnt vmcnt(0)
	v_fmac_f32_e32 v3, s2, v2
.LBB16_13:
	s_delay_alu instid0(VALU_DEP_2)
	v_add_co_u32 v0, vcc_lo, s8, v0
	v_add_co_ci_u32_e32 v1, vcc_lo, s9, v1, vcc_lo
	global_store_b32 v[0:1], v3, off
.LBB16_14:
	s_nop 0
	s_sendmsg sendmsg(MSG_DEALLOC_VGPRS)
	s_endpgm
	.section	.rodata,"a",@progbits
	.p2align	6, 0x0
	.amdhsa_kernel _ZN9rocsparseL41csrmvn_lrb_medium_rows_warp_reduce_kernelILj256ELj32EliffffEEvbT1_lPT2_S3_jNS_24const_host_device_scalarIT6_EEPKS1_PKS2_PKT3_PKT4_S6_PT5_21rocsparse_index_base_b
		.amdhsa_group_segment_fixed_size 0
		.amdhsa_private_segment_fixed_size 0
		.amdhsa_kernarg_size 112
		.amdhsa_user_sgpr_count 15
		.amdhsa_user_sgpr_dispatch_ptr 0
		.amdhsa_user_sgpr_queue_ptr 0
		.amdhsa_user_sgpr_kernarg_segment_ptr 1
		.amdhsa_user_sgpr_dispatch_id 0
		.amdhsa_user_sgpr_private_segment_size 0
		.amdhsa_wavefront_size32 1
		.amdhsa_uses_dynamic_stack 0
		.amdhsa_enable_private_segment 0
		.amdhsa_system_sgpr_workgroup_id_x 1
		.amdhsa_system_sgpr_workgroup_id_y 0
		.amdhsa_system_sgpr_workgroup_id_z 0
		.amdhsa_system_sgpr_workgroup_info 0
		.amdhsa_system_vgpr_workitem_id 0
		.amdhsa_next_free_vgpr 15
		.amdhsa_next_free_sgpr 20
		.amdhsa_reserve_vcc 1
		.amdhsa_float_round_mode_32 0
		.amdhsa_float_round_mode_16_64 0
		.amdhsa_float_denorm_mode_32 3
		.amdhsa_float_denorm_mode_16_64 3
		.amdhsa_dx10_clamp 1
		.amdhsa_ieee_mode 1
		.amdhsa_fp16_overflow 0
		.amdhsa_workgroup_processor_mode 1
		.amdhsa_memory_ordered 1
		.amdhsa_forward_progress 0
		.amdhsa_shared_vgpr_count 0
		.amdhsa_exception_fp_ieee_invalid_op 0
		.amdhsa_exception_fp_denorm_src 0
		.amdhsa_exception_fp_ieee_div_zero 0
		.amdhsa_exception_fp_ieee_overflow 0
		.amdhsa_exception_fp_ieee_underflow 0
		.amdhsa_exception_fp_ieee_inexact 0
		.amdhsa_exception_int_div_zero 0
	.end_amdhsa_kernel
	.section	.text._ZN9rocsparseL41csrmvn_lrb_medium_rows_warp_reduce_kernelILj256ELj32EliffffEEvbT1_lPT2_S3_jNS_24const_host_device_scalarIT6_EEPKS1_PKS2_PKT3_PKT4_S6_PT5_21rocsparse_index_base_b,"axG",@progbits,_ZN9rocsparseL41csrmvn_lrb_medium_rows_warp_reduce_kernelILj256ELj32EliffffEEvbT1_lPT2_S3_jNS_24const_host_device_scalarIT6_EEPKS1_PKS2_PKT3_PKT4_S6_PT5_21rocsparse_index_base_b,comdat
.Lfunc_end16:
	.size	_ZN9rocsparseL41csrmvn_lrb_medium_rows_warp_reduce_kernelILj256ELj32EliffffEEvbT1_lPT2_S3_jNS_24const_host_device_scalarIT6_EEPKS1_PKS2_PKT3_PKT4_S6_PT5_21rocsparse_index_base_b, .Lfunc_end16-_ZN9rocsparseL41csrmvn_lrb_medium_rows_warp_reduce_kernelILj256ELj32EliffffEEvbT1_lPT2_S3_jNS_24const_host_device_scalarIT6_EEPKS1_PKS2_PKT3_PKT4_S6_PT5_21rocsparse_index_base_b
                                        ; -- End function
	.section	.AMDGPU.csdata,"",@progbits
; Kernel info:
; codeLenInByte = 916
; NumSgprs: 22
; NumVgprs: 15
; ScratchSize: 0
; MemoryBound: 0
; FloatMode: 240
; IeeeMode: 1
; LDSByteSize: 0 bytes/workgroup (compile time only)
; SGPRBlocks: 2
; VGPRBlocks: 1
; NumSGPRsForWavesPerEU: 22
; NumVGPRsForWavesPerEU: 15
; Occupancy: 16
; WaveLimiterHint : 1
; COMPUTE_PGM_RSRC2:SCRATCH_EN: 0
; COMPUTE_PGM_RSRC2:USER_SGPR: 15
; COMPUTE_PGM_RSRC2:TRAP_HANDLER: 0
; COMPUTE_PGM_RSRC2:TGID_X_EN: 1
; COMPUTE_PGM_RSRC2:TGID_Y_EN: 0
; COMPUTE_PGM_RSRC2:TGID_Z_EN: 0
; COMPUTE_PGM_RSRC2:TIDIG_COMP_CNT: 0
	.section	.text._ZN9rocsparseL41csrmvn_lrb_medium_rows_warp_reduce_kernelILj256ELj64EliffffEEvbT1_lPT2_S3_jNS_24const_host_device_scalarIT6_EEPKS1_PKS2_PKT3_PKT4_S6_PT5_21rocsparse_index_base_b,"axG",@progbits,_ZN9rocsparseL41csrmvn_lrb_medium_rows_warp_reduce_kernelILj256ELj64EliffffEEvbT1_lPT2_S3_jNS_24const_host_device_scalarIT6_EEPKS1_PKS2_PKT3_PKT4_S6_PT5_21rocsparse_index_base_b,comdat
	.globl	_ZN9rocsparseL41csrmvn_lrb_medium_rows_warp_reduce_kernelILj256ELj64EliffffEEvbT1_lPT2_S3_jNS_24const_host_device_scalarIT6_EEPKS1_PKS2_PKT3_PKT4_S6_PT5_21rocsparse_index_base_b ; -- Begin function _ZN9rocsparseL41csrmvn_lrb_medium_rows_warp_reduce_kernelILj256ELj64EliffffEEvbT1_lPT2_S3_jNS_24const_host_device_scalarIT6_EEPKS1_PKS2_PKT3_PKT4_S6_PT5_21rocsparse_index_base_b
	.p2align	8
	.type	_ZN9rocsparseL41csrmvn_lrb_medium_rows_warp_reduce_kernelILj256ELj64EliffffEEvbT1_lPT2_S3_jNS_24const_host_device_scalarIT6_EEPKS1_PKS2_PKT3_PKT4_S6_PT5_21rocsparse_index_base_b,@function
_ZN9rocsparseL41csrmvn_lrb_medium_rows_warp_reduce_kernelILj256ELj64EliffffEEvbT1_lPT2_S3_jNS_24const_host_device_scalarIT6_EEPKS1_PKS2_PKT3_PKT4_S6_PT5_21rocsparse_index_base_b: ; @_ZN9rocsparseL41csrmvn_lrb_medium_rows_warp_reduce_kernelILj256ELj64EliffffEEvbT1_lPT2_S3_jNS_24const_host_device_scalarIT6_EEPKS1_PKS2_PKT3_PKT4_S6_PT5_21rocsparse_index_base_b
; %bb.0:
	s_clause 0x2
	s_load_b64 s[4:5], s[0:1], 0x68
	s_load_b64 s[6:7], s[0:1], 0x30
	;; [unrolled: 1-line block ×3, first 2 shown]
	s_waitcnt lgkmcnt(0)
	s_bitcmp1_b32 s5, 0
	s_cselect_b32 s5, -1, 0
	s_delay_alu instid0(SALU_CYCLE_1)
	s_and_b32 vcc_lo, exec_lo, s5
	s_xor_b32 s5, s5, -1
	s_cbranch_vccnz .LBB17_2
; %bb.1:
	s_load_b32 s6, s[6:7], 0x0
.LBB17_2:
	s_and_not1_b32 vcc_lo, exec_lo, s5
	s_cbranch_vccnz .LBB17_4
; %bb.3:
	s_load_b32 s2, s[2:3], 0x0
.LBB17_4:
	s_waitcnt lgkmcnt(0)
	v_cmp_neq_f32_e64 s3, s6, 0
	v_cmp_neq_f32_e64 s5, s2, 1.0
	s_delay_alu instid0(VALU_DEP_1) | instskip(NEXT) | instid1(SALU_CYCLE_1)
	s_or_b32 s3, s3, s5
	s_and_not1_b32 vcc_lo, exec_lo, s3
	s_cbranch_vccnz .LBB17_14
; %bb.5:
	s_load_b64 s[8:9], s[0:1], 0x10
	v_lshrrev_b32_e32 v1, 6, v0
	s_mov_b32 s3, exec_lo
	s_delay_alu instid0(VALU_DEP_1) | instskip(NEXT) | instid1(VALU_DEP_1)
	v_lshl_or_b32 v1, s15, 2, v1
	v_ashrrev_i32_e32 v2, 31, v1
	s_waitcnt lgkmcnt(0)
	s_delay_alu instid0(VALU_DEP_1)
	v_cmpx_gt_i64_e64 s[8:9], v[1:2]
	s_cbranch_execz .LBB17_14
; %bb.6:
	s_clause 0x1
	s_load_b32 s10, s[0:1], 0x28
	s_load_b128 s[12:15], s[0:1], 0x18
	s_mov_b32 s11, 0
	v_dual_mov_b32 v11, 0 :: v_dual_and_b32 v0, 63, v0
	s_waitcnt lgkmcnt(0)
	s_lshl_b64 s[8:9], s[10:11], 2
	s_delay_alu instid0(SALU_CYCLE_1)
	s_add_u32 s8, s14, s8
	s_addc_u32 s9, s15, s9
	s_load_b32 s3, s[8:9], 0x0
	s_load_b64 s[8:9], s[0:1], 0x38
	s_waitcnt lgkmcnt(0)
	v_add_nc_u32_e32 v1, s3, v1
	v_sub_co_u32 v9, s3, v0, s4
	s_delay_alu instid0(VALU_DEP_1) | instskip(NEXT) | instid1(VALU_DEP_3)
	v_sub_co_ci_u32_e64 v10, null, 0, 0, s3
	v_ashrrev_i32_e32 v2, 31, v1
	s_mov_b32 s3, exec_lo
	s_delay_alu instid0(VALU_DEP_1) | instskip(NEXT) | instid1(VALU_DEP_1)
	v_lshlrev_b64 v[1:2], 2, v[1:2]
	v_add_co_u32 v1, vcc_lo, s12, v1
	s_delay_alu instid0(VALU_DEP_2) | instskip(SKIP_3) | instid1(VALU_DEP_1)
	v_add_co_ci_u32_e32 v2, vcc_lo, s13, v2, vcc_lo
	global_load_b32 v1, v[1:2], off
	s_waitcnt vmcnt(0)
	v_ashrrev_i32_e32 v2, 31, v1
	v_lshlrev_b64 v[3:4], 3, v[1:2]
	s_delay_alu instid0(VALU_DEP_1) | instskip(NEXT) | instid1(VALU_DEP_2)
	v_add_co_u32 v3, vcc_lo, s8, v3
	v_add_co_ci_u32_e32 v4, vcc_lo, s9, v4, vcc_lo
	s_load_b64 s[8:9], s[0:1], 0x60
	global_load_b128 v[5:8], v[3:4], off
	s_waitcnt vmcnt(0)
	v_sub_co_u32 v3, vcc_lo, v7, s4
	v_subrev_co_ci_u32_e32 v4, vcc_lo, 0, v8, vcc_lo
	v_add_co_u32 v5, vcc_lo, v5, v9
	v_add_co_ci_u32_e32 v6, vcc_lo, v6, v10, vcc_lo
	s_delay_alu instid0(VALU_DEP_1)
	v_cmpx_lt_i64_e64 v[5:6], v[3:4]
	s_cbranch_execz .LBB17_10
; %bb.7:
	s_clause 0x1
	s_load_b128 s[16:19], s[0:1], 0x40
	s_load_b64 s[12:13], s[0:1], 0x50
	v_lshlrev_b64 v[9:10], 2, v[5:6]
	v_mov_b32_e32 v11, 0
	s_waitcnt lgkmcnt(0)
	s_delay_alu instid0(VALU_DEP_2) | instskip(NEXT) | instid1(VALU_DEP_3)
	v_add_co_u32 v7, vcc_lo, s18, v9
	v_add_co_ci_u32_e32 v8, vcc_lo, s19, v10, vcc_lo
	v_add_co_u32 v9, vcc_lo, s16, v9
	v_add_co_ci_u32_e32 v10, vcc_lo, s17, v10, vcc_lo
	.p2align	6
.LBB17_8:                               ; =>This Inner Loop Header: Depth=1
	global_load_b32 v12, v[9:10], off
	global_load_b32 v14, v[7:8], off
	v_add_co_u32 v9, s0, 0x100, v9
	s_delay_alu instid0(VALU_DEP_1) | instskip(SKIP_2) | instid1(VALU_DEP_1)
	v_add_co_ci_u32_e64 v10, s0, 0, v10, s0
	s_waitcnt vmcnt(1)
	v_subrev_nc_u32_e32 v12, s4, v12
	v_ashrrev_i32_e32 v13, 31, v12
	s_delay_alu instid0(VALU_DEP_1) | instskip(NEXT) | instid1(VALU_DEP_1)
	v_lshlrev_b64 v[12:13], 2, v[12:13]
	v_add_co_u32 v12, vcc_lo, s12, v12
	s_delay_alu instid0(VALU_DEP_2)
	v_add_co_ci_u32_e32 v13, vcc_lo, s13, v13, vcc_lo
	v_add_co_u32 v5, vcc_lo, v5, 64
	v_add_co_ci_u32_e32 v6, vcc_lo, 0, v6, vcc_lo
	global_load_b32 v12, v[12:13], off
	v_add_co_u32 v7, vcc_lo, 0x100, v7
	s_waitcnt vmcnt(1)
	v_mul_f32_e32 v13, s6, v14
	v_add_co_ci_u32_e32 v8, vcc_lo, 0, v8, vcc_lo
	v_cmp_ge_i64_e32 vcc_lo, v[5:6], v[3:4]
	s_or_b32 s11, vcc_lo, s11
	s_waitcnt vmcnt(0)
	v_fmac_f32_e32 v11, v13, v12
	s_and_not1_b32 exec_lo, exec_lo, s11
	s_cbranch_execnz .LBB17_8
; %bb.9:
	s_or_b32 exec_lo, exec_lo, s11
.LBB17_10:
	s_delay_alu instid0(SALU_CYCLE_1) | instskip(SKIP_1) | instid1(VALU_DEP_1)
	s_or_b32 exec_lo, exec_lo, s3
	v_mbcnt_lo_u32_b32 v3, -1, 0
	v_or_b32_e32 v4, 32, v3
	v_xor_b32_e32 v5, 16, v3
	v_xor_b32_e32 v6, 8, v3
	s_delay_alu instid0(VALU_DEP_3) | instskip(SKIP_1) | instid1(VALU_DEP_4)
	v_cmp_gt_i32_e32 vcc_lo, 32, v4
	v_cndmask_b32_e32 v4, v3, v4, vcc_lo
	v_cmp_gt_i32_e32 vcc_lo, 32, v5
	v_cndmask_b32_e32 v5, v3, v5, vcc_lo
	;; [unrolled: 2-line block ×3, first 2 shown]
	s_delay_alu instid0(VALU_DEP_1) | instskip(NEXT) | instid1(VALU_DEP_4)
	v_lshlrev_b32_e32 v6, 2, v6
	v_lshlrev_b32_e32 v5, 2, v5
	;; [unrolled: 1-line block ×3, first 2 shown]
	ds_bpermute_b32 v4, v4, v11
	s_waitcnt lgkmcnt(0)
	v_add_f32_e32 v4, v11, v4
	ds_bpermute_b32 v5, v5, v4
	s_waitcnt lgkmcnt(0)
	v_add_f32_e32 v4, v4, v5
	ds_bpermute_b32 v5, v6, v4
	v_xor_b32_e32 v6, 4, v3
	s_delay_alu instid0(VALU_DEP_1) | instskip(SKIP_1) | instid1(VALU_DEP_1)
	v_cmp_gt_i32_e32 vcc_lo, 32, v6
	v_cndmask_b32_e32 v6, v3, v6, vcc_lo
	v_lshlrev_b32_e32 v6, 2, v6
	s_waitcnt lgkmcnt(0)
	v_add_f32_e32 v4, v4, v5
	ds_bpermute_b32 v5, v6, v4
	v_xor_b32_e32 v6, 2, v3
	s_delay_alu instid0(VALU_DEP_1) | instskip(SKIP_1) | instid1(VALU_DEP_1)
	v_cmp_gt_i32_e32 vcc_lo, 32, v6
	v_cndmask_b32_e32 v6, v3, v6, vcc_lo
	v_lshlrev_b32_e32 v6, 2, v6
	s_waitcnt lgkmcnt(0)
	v_add_f32_e32 v4, v4, v5
	ds_bpermute_b32 v5, v6, v4
	v_xor_b32_e32 v6, 1, v3
	s_delay_alu instid0(VALU_DEP_1) | instskip(SKIP_3) | instid1(VALU_DEP_2)
	v_cmp_gt_i32_e32 vcc_lo, 32, v6
	v_cndmask_b32_e32 v6, v3, v6, vcc_lo
	v_cmp_eq_u32_e32 vcc_lo, 63, v0
	s_waitcnt lgkmcnt(0)
	v_dual_add_f32 v3, v4, v5 :: v_dual_lshlrev_b32 v4, 2, v6
	ds_bpermute_b32 v4, v4, v3
	s_and_b32 exec_lo, exec_lo, vcc_lo
	s_cbranch_execz .LBB17_14
; %bb.11:
	v_cmp_eq_f32_e64 s0, s2, 0
	v_lshlrev_b64 v[0:1], 2, v[1:2]
	s_waitcnt lgkmcnt(0)
	v_add_f32_e32 v3, v3, v4
	s_delay_alu instid0(VALU_DEP_3)
	s_and_b32 vcc_lo, exec_lo, s0
	s_cbranch_vccnz .LBB17_13
; %bb.12:
	s_delay_alu instid0(VALU_DEP_2)
	v_add_co_u32 v4, vcc_lo, s8, v0
	v_add_co_ci_u32_e32 v5, vcc_lo, s9, v1, vcc_lo
	global_load_b32 v2, v[4:5], off
	s_waitcnt vmcnt(0)
	v_fmac_f32_e32 v3, s2, v2
.LBB17_13:
	s_delay_alu instid0(VALU_DEP_2)
	v_add_co_u32 v0, vcc_lo, s8, v0
	v_add_co_ci_u32_e32 v1, vcc_lo, s9, v1, vcc_lo
	global_store_b32 v[0:1], v3, off
.LBB17_14:
	s_nop 0
	s_sendmsg sendmsg(MSG_DEALLOC_VGPRS)
	s_endpgm
	.section	.rodata,"a",@progbits
	.p2align	6, 0x0
	.amdhsa_kernel _ZN9rocsparseL41csrmvn_lrb_medium_rows_warp_reduce_kernelILj256ELj64EliffffEEvbT1_lPT2_S3_jNS_24const_host_device_scalarIT6_EEPKS1_PKS2_PKT3_PKT4_S6_PT5_21rocsparse_index_base_b
		.amdhsa_group_segment_fixed_size 0
		.amdhsa_private_segment_fixed_size 0
		.amdhsa_kernarg_size 112
		.amdhsa_user_sgpr_count 15
		.amdhsa_user_sgpr_dispatch_ptr 0
		.amdhsa_user_sgpr_queue_ptr 0
		.amdhsa_user_sgpr_kernarg_segment_ptr 1
		.amdhsa_user_sgpr_dispatch_id 0
		.amdhsa_user_sgpr_private_segment_size 0
		.amdhsa_wavefront_size32 1
		.amdhsa_uses_dynamic_stack 0
		.amdhsa_enable_private_segment 0
		.amdhsa_system_sgpr_workgroup_id_x 1
		.amdhsa_system_sgpr_workgroup_id_y 0
		.amdhsa_system_sgpr_workgroup_id_z 0
		.amdhsa_system_sgpr_workgroup_info 0
		.amdhsa_system_vgpr_workitem_id 0
		.amdhsa_next_free_vgpr 15
		.amdhsa_next_free_sgpr 20
		.amdhsa_reserve_vcc 1
		.amdhsa_float_round_mode_32 0
		.amdhsa_float_round_mode_16_64 0
		.amdhsa_float_denorm_mode_32 3
		.amdhsa_float_denorm_mode_16_64 3
		.amdhsa_dx10_clamp 1
		.amdhsa_ieee_mode 1
		.amdhsa_fp16_overflow 0
		.amdhsa_workgroup_processor_mode 1
		.amdhsa_memory_ordered 1
		.amdhsa_forward_progress 0
		.amdhsa_shared_vgpr_count 0
		.amdhsa_exception_fp_ieee_invalid_op 0
		.amdhsa_exception_fp_denorm_src 0
		.amdhsa_exception_fp_ieee_div_zero 0
		.amdhsa_exception_fp_ieee_overflow 0
		.amdhsa_exception_fp_ieee_underflow 0
		.amdhsa_exception_fp_ieee_inexact 0
		.amdhsa_exception_int_div_zero 0
	.end_amdhsa_kernel
	.section	.text._ZN9rocsparseL41csrmvn_lrb_medium_rows_warp_reduce_kernelILj256ELj64EliffffEEvbT1_lPT2_S3_jNS_24const_host_device_scalarIT6_EEPKS1_PKS2_PKT3_PKT4_S6_PT5_21rocsparse_index_base_b,"axG",@progbits,_ZN9rocsparseL41csrmvn_lrb_medium_rows_warp_reduce_kernelILj256ELj64EliffffEEvbT1_lPT2_S3_jNS_24const_host_device_scalarIT6_EEPKS1_PKS2_PKT3_PKT4_S6_PT5_21rocsparse_index_base_b,comdat
.Lfunc_end17:
	.size	_ZN9rocsparseL41csrmvn_lrb_medium_rows_warp_reduce_kernelILj256ELj64EliffffEEvbT1_lPT2_S3_jNS_24const_host_device_scalarIT6_EEPKS1_PKS2_PKT3_PKT4_S6_PT5_21rocsparse_index_base_b, .Lfunc_end17-_ZN9rocsparseL41csrmvn_lrb_medium_rows_warp_reduce_kernelILj256ELj64EliffffEEvbT1_lPT2_S3_jNS_24const_host_device_scalarIT6_EEPKS1_PKS2_PKT3_PKT4_S6_PT5_21rocsparse_index_base_b
                                        ; -- End function
	.section	.AMDGPU.csdata,"",@progbits
; Kernel info:
; codeLenInByte = 952
; NumSgprs: 22
; NumVgprs: 15
; ScratchSize: 0
; MemoryBound: 0
; FloatMode: 240
; IeeeMode: 1
; LDSByteSize: 0 bytes/workgroup (compile time only)
; SGPRBlocks: 2
; VGPRBlocks: 1
; NumSGPRsForWavesPerEU: 22
; NumVGPRsForWavesPerEU: 15
; Occupancy: 16
; WaveLimiterHint : 1
; COMPUTE_PGM_RSRC2:SCRATCH_EN: 0
; COMPUTE_PGM_RSRC2:USER_SGPR: 15
; COMPUTE_PGM_RSRC2:TRAP_HANDLER: 0
; COMPUTE_PGM_RSRC2:TGID_X_EN: 1
; COMPUTE_PGM_RSRC2:TGID_Y_EN: 0
; COMPUTE_PGM_RSRC2:TGID_Z_EN: 0
; COMPUTE_PGM_RSRC2:TIDIG_COMP_CNT: 0
	.section	.text._ZN9rocsparseL29csrmvn_lrb_medium_rows_kernelILj256EliffffEEvbT0_PT1_S3_jNS_24const_host_device_scalarIT5_EEPKS1_PKS2_PKT2_PKT3_S6_PT4_21rocsparse_index_base_b,"axG",@progbits,_ZN9rocsparseL29csrmvn_lrb_medium_rows_kernelILj256EliffffEEvbT0_PT1_S3_jNS_24const_host_device_scalarIT5_EEPKS1_PKS2_PKT2_PKT3_S6_PT4_21rocsparse_index_base_b,comdat
	.globl	_ZN9rocsparseL29csrmvn_lrb_medium_rows_kernelILj256EliffffEEvbT0_PT1_S3_jNS_24const_host_device_scalarIT5_EEPKS1_PKS2_PKT2_PKT3_S6_PT4_21rocsparse_index_base_b ; -- Begin function _ZN9rocsparseL29csrmvn_lrb_medium_rows_kernelILj256EliffffEEvbT0_PT1_S3_jNS_24const_host_device_scalarIT5_EEPKS1_PKS2_PKT2_PKT3_S6_PT4_21rocsparse_index_base_b
	.p2align	8
	.type	_ZN9rocsparseL29csrmvn_lrb_medium_rows_kernelILj256EliffffEEvbT0_PT1_S3_jNS_24const_host_device_scalarIT5_EEPKS1_PKS2_PKT2_PKT3_S6_PT4_21rocsparse_index_base_b,@function
_ZN9rocsparseL29csrmvn_lrb_medium_rows_kernelILj256EliffffEEvbT0_PT1_S3_jNS_24const_host_device_scalarIT5_EEPKS1_PKS2_PKT2_PKT3_S6_PT4_21rocsparse_index_base_b: ; @_ZN9rocsparseL29csrmvn_lrb_medium_rows_kernelILj256EliffffEEvbT0_PT1_S3_jNS_24const_host_device_scalarIT5_EEPKS1_PKS2_PKT2_PKT3_S6_PT4_21rocsparse_index_base_b
; %bb.0:
	s_clause 0x2
	s_load_b64 s[8:9], s[0:1], 0x60
	s_load_b64 s[10:11], s[0:1], 0x28
	;; [unrolled: 1-line block ×3, first 2 shown]
	s_waitcnt lgkmcnt(0)
	s_bitcmp1_b32 s9, 0
	s_cselect_b32 s4, -1, 0
	s_delay_alu instid0(SALU_CYCLE_1)
	s_and_b32 vcc_lo, exec_lo, s4
	s_xor_b32 s4, s4, -1
	s_cbranch_vccnz .LBB18_2
; %bb.1:
	s_load_b32 s10, s[10:11], 0x0
.LBB18_2:
	s_and_not1_b32 vcc_lo, exec_lo, s4
	s_cbranch_vccnz .LBB18_4
; %bb.3:
	s_load_b32 s2, s[2:3], 0x0
.LBB18_4:
	s_waitcnt lgkmcnt(0)
	v_cmp_neq_f32_e64 s3, s10, 0
	v_cmp_neq_f32_e64 s4, s2, 1.0
	s_mov_b32 s5, 0
	s_delay_alu instid0(VALU_DEP_1) | instskip(NEXT) | instid1(SALU_CYCLE_1)
	s_or_b32 s3, s3, s4
	s_and_not1_b32 vcc_lo, exec_lo, s3
	s_cbranch_vccnz .LBB18_29
; %bb.5:
	s_clause 0x1
	s_load_b32 s4, s[0:1], 0x20
	s_load_b128 s[16:19], s[0:1], 0x10
	v_mov_b32_e32 v7, 0
	s_waitcnt lgkmcnt(0)
	s_lshl_b64 s[4:5], s[4:5], 2
	s_delay_alu instid0(SALU_CYCLE_1)
	s_add_u32 s4, s18, s4
	s_addc_u32 s5, s19, s5
	s_load_b32 s3, s[4:5], 0x0
	s_waitcnt lgkmcnt(0)
	s_add_i32 s4, s3, s15
	v_sub_co_u32 v1, s3, v0, s8
	s_ashr_i32 s5, s4, 31
	v_sub_co_ci_u32_e64 v2, null, 0, 0, s3
	s_lshl_b64 s[4:5], s[4:5], 2
	s_mov_b32 s3, exec_lo
	s_add_u32 s4, s16, s4
	s_addc_u32 s5, s17, s5
	s_load_b32 s4, s[4:5], 0x0
	s_load_b64 s[6:7], s[0:1], 0x30
	s_waitcnt lgkmcnt(0)
	s_ashr_i32 s5, s4, 31
	s_delay_alu instid0(SALU_CYCLE_1) | instskip(NEXT) | instid1(SALU_CYCLE_1)
	s_lshl_b64 s[12:13], s[4:5], 3
	s_add_u32 s6, s6, s12
	s_addc_u32 s7, s7, s13
	s_load_b128 s[12:15], s[6:7], 0x0
	s_load_b64 s[6:7], s[0:1], 0x58
	s_waitcnt lgkmcnt(0)
	v_add_co_u32 v1, vcc_lo, s12, v1
	v_add_co_ci_u32_e32 v2, vcc_lo, s13, v2, vcc_lo
	s_sub_u32 s12, s14, s8
	s_subb_u32 s13, s15, 0
	s_delay_alu instid0(VALU_DEP_1) | instid1(SALU_CYCLE_1)
	v_cmpx_gt_i64_e64 s[12:13], v[1:2]
	s_cbranch_execz .LBB18_9
; %bb.6:
	s_clause 0x1
	s_load_b128 s[16:19], s[0:1], 0x38
	s_load_b64 s[14:15], s[0:1], 0x48
	v_lshlrev_b64 v[5:6], 2, v[1:2]
	v_mov_b32_e32 v7, 0
	s_mov_b32 s1, 0
	s_waitcnt lgkmcnt(0)
	s_delay_alu instid0(VALU_DEP_2) | instskip(NEXT) | instid1(VALU_DEP_3)
	v_add_co_u32 v3, vcc_lo, s18, v5
	v_add_co_ci_u32_e32 v4, vcc_lo, s19, v6, vcc_lo
	v_add_co_u32 v5, vcc_lo, s16, v5
	v_add_co_ci_u32_e32 v6, vcc_lo, s17, v6, vcc_lo
	.p2align	6
.LBB18_7:                               ; =>This Inner Loop Header: Depth=1
	global_load_b32 v8, v[5:6], off
	global_load_b32 v10, v[3:4], off
	v_add_co_u32 v5, s0, 0x400, v5
	s_delay_alu instid0(VALU_DEP_1) | instskip(SKIP_2) | instid1(VALU_DEP_1)
	v_add_co_ci_u32_e64 v6, s0, 0, v6, s0
	s_waitcnt vmcnt(1)
	v_subrev_nc_u32_e32 v8, s8, v8
	v_ashrrev_i32_e32 v9, 31, v8
	s_delay_alu instid0(VALU_DEP_1) | instskip(NEXT) | instid1(VALU_DEP_1)
	v_lshlrev_b64 v[8:9], 2, v[8:9]
	v_add_co_u32 v8, vcc_lo, s14, v8
	s_delay_alu instid0(VALU_DEP_2)
	v_add_co_ci_u32_e32 v9, vcc_lo, s15, v9, vcc_lo
	v_add_co_u32 v1, vcc_lo, 0x100, v1
	v_add_co_ci_u32_e32 v2, vcc_lo, 0, v2, vcc_lo
	global_load_b32 v8, v[8:9], off
	v_add_co_u32 v3, vcc_lo, 0x400, v3
	s_waitcnt vmcnt(1)
	v_mul_f32_e32 v9, s10, v10
	v_add_co_ci_u32_e32 v4, vcc_lo, 0, v4, vcc_lo
	v_cmp_le_i64_e32 vcc_lo, s[12:13], v[1:2]
	s_or_b32 s1, vcc_lo, s1
	s_waitcnt vmcnt(0)
	v_fmac_f32_e32 v7, v9, v8
	s_and_not1_b32 exec_lo, exec_lo, s1
	s_cbranch_execnz .LBB18_7
; %bb.8:
	s_or_b32 exec_lo, exec_lo, s1
.LBB18_9:
	s_delay_alu instid0(SALU_CYCLE_1)
	s_or_b32 exec_lo, exec_lo, s3
	v_lshlrev_b32_e32 v1, 2, v0
	s_mov_b32 s0, exec_lo
	ds_store_b32 v1, v7
	s_waitcnt lgkmcnt(0)
	s_barrier
	buffer_gl0_inv
	v_cmpx_gt_u32_e32 0x80, v0
	s_cbranch_execz .LBB18_11
; %bb.10:
	ds_load_2addr_stride64_b32 v[2:3], v1 offset1:2
	s_waitcnt lgkmcnt(0)
	v_add_f32_e32 v2, v2, v3
	ds_store_b32 v1, v2
.LBB18_11:
	s_or_b32 exec_lo, exec_lo, s0
	s_delay_alu instid0(SALU_CYCLE_1)
	s_mov_b32 s0, exec_lo
	s_waitcnt lgkmcnt(0)
	s_barrier
	buffer_gl0_inv
	v_cmpx_gt_u32_e32 64, v0
	s_cbranch_execz .LBB18_13
; %bb.12:
	ds_load_2addr_stride64_b32 v[2:3], v1 offset1:1
	s_waitcnt lgkmcnt(0)
	v_add_f32_e32 v2, v2, v3
	ds_store_b32 v1, v2
.LBB18_13:
	s_or_b32 exec_lo, exec_lo, s0
	s_delay_alu instid0(SALU_CYCLE_1)
	s_mov_b32 s0, exec_lo
	s_waitcnt lgkmcnt(0)
	s_barrier
	buffer_gl0_inv
	v_cmpx_gt_u32_e32 32, v0
	s_cbranch_execz .LBB18_15
; %bb.14:
	ds_load_2addr_b32 v[2:3], v1 offset1:32
	s_waitcnt lgkmcnt(0)
	v_add_f32_e32 v2, v2, v3
	ds_store_b32 v1, v2
.LBB18_15:
	s_or_b32 exec_lo, exec_lo, s0
	s_delay_alu instid0(SALU_CYCLE_1)
	s_mov_b32 s0, exec_lo
	s_waitcnt lgkmcnt(0)
	s_barrier
	buffer_gl0_inv
	v_cmpx_gt_u32_e32 16, v0
	s_cbranch_execz .LBB18_17
; %bb.16:
	ds_load_2addr_b32 v[2:3], v1 offset1:16
	s_waitcnt lgkmcnt(0)
	v_add_f32_e32 v2, v2, v3
	ds_store_b32 v1, v2
.LBB18_17:
	;; [unrolled: 14-line block ×5, first 2 shown]
	s_or_b32 exec_lo, exec_lo, s0
	v_cmp_eq_u32_e32 vcc_lo, 0, v0
	s_waitcnt lgkmcnt(0)
	s_barrier
	buffer_gl0_inv
	s_and_saveexec_b32 s0, vcc_lo
	s_cbranch_execz .LBB18_25
; %bb.24:
	v_mov_b32_e32 v2, 0
	ds_load_b64 v[0:1], v2
	s_waitcnt lgkmcnt(0)
	v_add_f32_e32 v0, v0, v1
	ds_store_b32 v2, v0
.LBB18_25:
	s_or_b32 exec_lo, exec_lo, s0
	s_waitcnt lgkmcnt(0)
	s_barrier
	buffer_gl0_inv
	s_and_saveexec_b32 s0, vcc_lo
	s_cbranch_execz .LBB18_29
; %bb.26:
	v_mov_b32_e32 v0, 0
	v_cmp_eq_f32_e64 s0, s2, 0
	ds_load_b32 v1, v0
	s_and_b32 vcc_lo, exec_lo, s0
	s_cbranch_vccnz .LBB18_28
; %bb.27:
	s_lshl_b64 s[0:1], s[4:5], 2
	s_delay_alu instid0(SALU_CYCLE_1)
	s_add_u32 s0, s6, s0
	s_addc_u32 s1, s7, s1
	s_load_b32 s0, s[0:1], 0x0
	s_waitcnt lgkmcnt(0)
	v_fmac_f32_e64 v1, s2, s0
.LBB18_28:
	s_lshl_b64 s[0:1], s[4:5], 2
	s_delay_alu instid0(SALU_CYCLE_1)
	s_add_u32 s0, s6, s0
	s_addc_u32 s1, s7, s1
	s_waitcnt lgkmcnt(0)
	global_store_b32 v0, v1, s[0:1]
.LBB18_29:
	s_nop 0
	s_sendmsg sendmsg(MSG_DEALLOC_VGPRS)
	s_endpgm
	.section	.rodata,"a",@progbits
	.p2align	6, 0x0
	.amdhsa_kernel _ZN9rocsparseL29csrmvn_lrb_medium_rows_kernelILj256EliffffEEvbT0_PT1_S3_jNS_24const_host_device_scalarIT5_EEPKS1_PKS2_PKT2_PKT3_S6_PT4_21rocsparse_index_base_b
		.amdhsa_group_segment_fixed_size 1024
		.amdhsa_private_segment_fixed_size 0
		.amdhsa_kernarg_size 104
		.amdhsa_user_sgpr_count 15
		.amdhsa_user_sgpr_dispatch_ptr 0
		.amdhsa_user_sgpr_queue_ptr 0
		.amdhsa_user_sgpr_kernarg_segment_ptr 1
		.amdhsa_user_sgpr_dispatch_id 0
		.amdhsa_user_sgpr_private_segment_size 0
		.amdhsa_wavefront_size32 1
		.amdhsa_uses_dynamic_stack 0
		.amdhsa_enable_private_segment 0
		.amdhsa_system_sgpr_workgroup_id_x 1
		.amdhsa_system_sgpr_workgroup_id_y 0
		.amdhsa_system_sgpr_workgroup_id_z 0
		.amdhsa_system_sgpr_workgroup_info 0
		.amdhsa_system_vgpr_workitem_id 0
		.amdhsa_next_free_vgpr 11
		.amdhsa_next_free_sgpr 20
		.amdhsa_reserve_vcc 1
		.amdhsa_float_round_mode_32 0
		.amdhsa_float_round_mode_16_64 0
		.amdhsa_float_denorm_mode_32 3
		.amdhsa_float_denorm_mode_16_64 3
		.amdhsa_dx10_clamp 1
		.amdhsa_ieee_mode 1
		.amdhsa_fp16_overflow 0
		.amdhsa_workgroup_processor_mode 1
		.amdhsa_memory_ordered 1
		.amdhsa_forward_progress 0
		.amdhsa_shared_vgpr_count 0
		.amdhsa_exception_fp_ieee_invalid_op 0
		.amdhsa_exception_fp_denorm_src 0
		.amdhsa_exception_fp_ieee_div_zero 0
		.amdhsa_exception_fp_ieee_overflow 0
		.amdhsa_exception_fp_ieee_underflow 0
		.amdhsa_exception_fp_ieee_inexact 0
		.amdhsa_exception_int_div_zero 0
	.end_amdhsa_kernel
	.section	.text._ZN9rocsparseL29csrmvn_lrb_medium_rows_kernelILj256EliffffEEvbT0_PT1_S3_jNS_24const_host_device_scalarIT5_EEPKS1_PKS2_PKT2_PKT3_S6_PT4_21rocsparse_index_base_b,"axG",@progbits,_ZN9rocsparseL29csrmvn_lrb_medium_rows_kernelILj256EliffffEEvbT0_PT1_S3_jNS_24const_host_device_scalarIT5_EEPKS1_PKS2_PKT2_PKT3_S6_PT4_21rocsparse_index_base_b,comdat
.Lfunc_end18:
	.size	_ZN9rocsparseL29csrmvn_lrb_medium_rows_kernelILj256EliffffEEvbT0_PT1_S3_jNS_24const_host_device_scalarIT5_EEPKS1_PKS2_PKT2_PKT3_S6_PT4_21rocsparse_index_base_b, .Lfunc_end18-_ZN9rocsparseL29csrmvn_lrb_medium_rows_kernelILj256EliffffEEvbT0_PT1_S3_jNS_24const_host_device_scalarIT5_EEPKS1_PKS2_PKT2_PKT3_S6_PT4_21rocsparse_index_base_b
                                        ; -- End function
	.section	.AMDGPU.csdata,"",@progbits
; Kernel info:
; codeLenInByte = 1164
; NumSgprs: 22
; NumVgprs: 11
; ScratchSize: 0
; MemoryBound: 0
; FloatMode: 240
; IeeeMode: 1
; LDSByteSize: 1024 bytes/workgroup (compile time only)
; SGPRBlocks: 2
; VGPRBlocks: 1
; NumSGPRsForWavesPerEU: 22
; NumVGPRsForWavesPerEU: 11
; Occupancy: 16
; WaveLimiterHint : 1
; COMPUTE_PGM_RSRC2:SCRATCH_EN: 0
; COMPUTE_PGM_RSRC2:USER_SGPR: 15
; COMPUTE_PGM_RSRC2:TRAP_HANDLER: 0
; COMPUTE_PGM_RSRC2:TGID_X_EN: 1
; COMPUTE_PGM_RSRC2:TGID_Y_EN: 0
; COMPUTE_PGM_RSRC2:TGID_Z_EN: 0
; COMPUTE_PGM_RSRC2:TIDIG_COMP_CNT: 0
	.section	.text._ZN9rocsparseL27csrmvn_lrb_long_rows_kernelIliffffEEvbT_PjPT0_S4_jNS_24const_host_device_scalarIT4_EEPKS1_PKS3_PKT1_PKT2_S7_PT3_21rocsparse_index_base_b,"axG",@progbits,_ZN9rocsparseL27csrmvn_lrb_long_rows_kernelIliffffEEvbT_PjPT0_S4_jNS_24const_host_device_scalarIT4_EEPKS1_PKS3_PKT1_PKT2_S7_PT3_21rocsparse_index_base_b,comdat
	.globl	_ZN9rocsparseL27csrmvn_lrb_long_rows_kernelIliffffEEvbT_PjPT0_S4_jNS_24const_host_device_scalarIT4_EEPKS1_PKS3_PKT1_PKT2_S7_PT3_21rocsparse_index_base_b ; -- Begin function _ZN9rocsparseL27csrmvn_lrb_long_rows_kernelIliffffEEvbT_PjPT0_S4_jNS_24const_host_device_scalarIT4_EEPKS1_PKS3_PKT1_PKT2_S7_PT3_21rocsparse_index_base_b
	.p2align	8
	.type	_ZN9rocsparseL27csrmvn_lrb_long_rows_kernelIliffffEEvbT_PjPT0_S4_jNS_24const_host_device_scalarIT4_EEPKS1_PKS3_PKT1_PKT2_S7_PT3_21rocsparse_index_base_b,@function
_ZN9rocsparseL27csrmvn_lrb_long_rows_kernelIliffffEEvbT_PjPT0_S4_jNS_24const_host_device_scalarIT4_EEPKS1_PKS3_PKT1_PKT2_S7_PT3_21rocsparse_index_base_b: ; @_ZN9rocsparseL27csrmvn_lrb_long_rows_kernelIliffffEEvbT_PjPT0_S4_jNS_24const_host_device_scalarIT4_EEPKS1_PKS3_PKT1_PKT2_S7_PT3_21rocsparse_index_base_b
; %bb.0:
	s_clause 0x2
	s_load_b64 s[16:17], s[0:1], 0x68
	s_load_b64 s[18:19], s[0:1], 0x30
	;; [unrolled: 1-line block ×3, first 2 shown]
	s_mov_b32 s8, s15
	s_waitcnt lgkmcnt(0)
	s_bitcmp1_b32 s17, 0
	s_cselect_b32 s2, -1, 0
	s_delay_alu instid0(SALU_CYCLE_1)
	s_and_b32 vcc_lo, exec_lo, s2
	s_xor_b32 s2, s2, -1
	s_cbranch_vccnz .LBB19_2
; %bb.1:
	s_load_b32 s18, s[18:19], 0x0
.LBB19_2:
	s_and_not1_b32 vcc_lo, exec_lo, s2
	s_cbranch_vccnz .LBB19_4
; %bb.3:
	s_load_b32 s20, s[20:21], 0x0
.LBB19_4:
	s_waitcnt lgkmcnt(0)
	v_cmp_neq_f32_e64 s2, s18, 0
	v_cmp_neq_f32_e64 s3, s20, 1.0
	s_delay_alu instid0(VALU_DEP_1)
	s_or_b32 s2, s2, s3
	s_mov_b32 s3, 0
	s_and_not1_b32 vcc_lo, exec_lo, s2
	s_cbranch_vccnz .LBB19_39
; %bb.5:
	s_clause 0x1
	s_load_b32 s2, s[0:1], 0x28
	s_load_b64 s[4:5], s[0:1], 0x20
	v_mov_b32_e32 v7, 0
	s_mov_b32 s21, exec_lo
	s_waitcnt lgkmcnt(0)
	s_lshl_b64 s[6:7], s[2:3], 2
	s_delay_alu instid0(SALU_CYCLE_1)
	s_add_u32 s4, s4, s6
	s_addc_u32 s5, s5, s7
	s_lshl_b32 s2, -1, s2
	s_load_b32 s10, s[4:5], 0x0
	s_not_b32 s2, s2
	s_load_b128 s[4:7], s[0:1], 0x10
	s_mul_hi_u32 s2, s2, 0x2aaaaaab
	s_delay_alu instid0(SALU_CYCLE_1) | instskip(NEXT) | instid1(SALU_CYCLE_1)
	s_lshr_b32 s2, s2, 7
	s_add_i32 s9, s2, 1
	s_not_b32 s2, s2
	v_cvt_f32_u32_e32 v1, s9
	s_delay_alu instid0(VALU_DEP_1) | instskip(SKIP_2) | instid1(VALU_DEP_1)
	v_rcp_iflag_f32_e32 v1, v1
	s_waitcnt_depctr 0xfff
	v_mul_f32_e32 v1, 0x4f7ffffe, v1
	v_cvt_u32_f32_e32 v1, v1
	s_delay_alu instid0(VALU_DEP_1) | instskip(NEXT) | instid1(VALU_DEP_1)
	v_readfirstlane_b32 s3, v1
	s_mul_i32 s2, s2, s3
	s_delay_alu instid0(SALU_CYCLE_1) | instskip(NEXT) | instid1(SALU_CYCLE_1)
	s_mul_hi_u32 s2, s3, s2
	s_add_i32 s3, s3, s2
	s_delay_alu instid0(SALU_CYCLE_1) | instskip(NEXT) | instid1(SALU_CYCLE_1)
	s_mul_hi_u32 s2, s8, s3
	s_mul_i32 s3, s2, s9
	s_add_i32 s11, s2, 1
	s_sub_i32 s3, s8, s3
	s_delay_alu instid0(SALU_CYCLE_1)
	s_sub_i32 s12, s3, s9
	s_cmp_ge_u32 s3, s9
	s_cselect_b32 s2, s11, s2
	s_cselect_b32 s3, s12, s3
	s_add_i32 s11, s2, 1
	s_cmp_ge_u32 s3, s9
	s_cselect_b32 s11, s11, s2
	s_waitcnt lgkmcnt(0)
	s_add_i32 s2, s11, s10
	s_mul_i32 s14, s11, s9
	s_ashr_i32 s3, s2, 31
	s_sub_i32 s19, s8, s14
	s_lshl_b64 s[2:3], s[2:3], 2
	v_or_b32_e32 v1, s19, v0
	s_add_u32 s2, s6, s2
	s_addc_u32 s3, s7, s3
	s_load_b32 s2, s[2:3], 0x0
	s_load_b64 s[6:7], s[0:1], 0x38
	s_waitcnt lgkmcnt(0)
	s_ashr_i32 s3, s2, 31
	s_delay_alu instid0(SALU_CYCLE_1) | instskip(NEXT) | instid1(SALU_CYCLE_1)
	s_lshl_b64 s[10:11], s[2:3], 3
	s_add_u32 s10, s6, s10
	s_addc_u32 s11, s7, s11
	s_ashr_i32 s9, s8, 31
	s_load_b64 s[6:7], s[0:1], 0x60
	s_lshl_b64 s[8:9], s[8:9], 2
	s_delay_alu instid0(SALU_CYCLE_1)
	s_add_u32 s12, s4, s8
	s_addc_u32 s13, s5, s9
	s_load_b128 s[8:11], s[10:11], 0x0
	s_load_b32 s17, s[12:13], 0x0
	v_cmpx_eq_u32_e32 0, v1
	s_cbranch_execz .LBB19_9
; %bb.6:
	s_lshl_b64 s[24:25], s[2:3], 2
	s_mov_b32 s23, exec_lo
	s_waitcnt lgkmcnt(0)
	s_add_u32 s24, s6, s24
	s_addc_u32 s25, s7, s25
	v_mbcnt_lo_u32_b32 v2, s23, 0
	s_load_b32 s22, s[24:25], 0x0
	v_add_f32_e64 v1, s20, -1.0
	s_mov_b32 s20, exec_lo
	s_waitcnt vmcnt(0) expcnt(0) lgkmcnt(0)
	v_cmpx_eq_u32_e32 0, v2
	s_cbranch_execz .LBB19_8
; %bb.7:
	s_ashr_i32 s15, s14, 31
	s_delay_alu instid0(SALU_CYCLE_1) | instskip(NEXT) | instid1(SALU_CYCLE_1)
	s_lshl_b64 s[24:25], s[14:15], 2
	s_add_u32 s24, s4, s24
	s_addc_u32 s25, s5, s25
	s_bcnt1_i32_b32 s15, s23
	s_delay_alu instid0(SALU_CYCLE_1) | instskip(NEXT) | instid1(SALU_CYCLE_1)
	s_and_b32 s15, s15, 1
	v_dual_mov_b32 v2, 0 :: v_dual_mov_b32 v3, s15
	global_atomic_xor_b32 v2, v3, s[24:25]
.LBB19_8:
	s_or_b32 exec_lo, exec_lo, s20
	v_mul_f32_e32 v7, s22, v1
.LBB19_9:
	s_or_b32 exec_lo, exec_lo, s21
	s_mul_i32 s20, s19, 3
	s_mov_b32 s21, 0
	s_delay_alu instid0(SALU_CYCLE_1)
	s_lshl_b64 s[22:23], s[20:21], 8
	s_waitcnt lgkmcnt(0)
	s_sub_u32 s8, s8, s16
	s_subb_u32 s9, s9, 0
	s_add_u32 s15, s8, s22
	s_addc_u32 s20, s9, s23
	s_sub_u32 s8, s10, s16
	s_subb_u32 s9, s11, 0
	s_add_u32 s10, s15, 0x300
	s_addc_u32 s11, s20, 0
	v_add_co_u32 v1, s15, s15, v0
	v_cmp_lt_i64_e64 s22, s[10:11], s[8:9]
	v_add_co_ci_u32_e64 v2, null, s20, 0, s15
	s_delay_alu instid0(VALU_DEP_2)
	s_and_b32 s15, s22, exec_lo
	s_cselect_b32 s9, s11, s9
	s_cselect_b32 s8, s10, s8
	s_mov_b32 s15, exec_lo
	v_cmpx_gt_i64_e64 s[8:9], v[1:2]
	s_cbranch_execz .LBB19_13
; %bb.10:
	s_clause 0x1
	s_load_b128 s[24:27], s[0:1], 0x40
	s_load_b64 s[10:11], s[0:1], 0x50
	v_lshlrev_b64 v[5:6], 2, v[1:2]
	s_waitcnt lgkmcnt(0)
	s_delay_alu instid0(VALU_DEP_1) | instskip(NEXT) | instid1(VALU_DEP_2)
	v_add_co_u32 v3, vcc_lo, s26, v5
	v_add_co_ci_u32_e32 v4, vcc_lo, s27, v6, vcc_lo
	v_add_co_u32 v5, vcc_lo, s24, v5
	v_add_co_ci_u32_e32 v6, vcc_lo, s25, v6, vcc_lo
	.p2align	6
.LBB19_11:                              ; =>This Inner Loop Header: Depth=1
	global_load_b32 v8, v[5:6], off
	global_load_b32 v10, v[3:4], off
	v_add_co_u32 v5, s0, 0x400, v5
	s_delay_alu instid0(VALU_DEP_1) | instskip(SKIP_2) | instid1(VALU_DEP_1)
	v_add_co_ci_u32_e64 v6, s0, 0, v6, s0
	s_waitcnt vmcnt(1)
	v_subrev_nc_u32_e32 v8, s16, v8
	v_ashrrev_i32_e32 v9, 31, v8
	s_delay_alu instid0(VALU_DEP_1) | instskip(NEXT) | instid1(VALU_DEP_1)
	v_lshlrev_b64 v[8:9], 2, v[8:9]
	v_add_co_u32 v8, vcc_lo, s10, v8
	s_delay_alu instid0(VALU_DEP_2)
	v_add_co_ci_u32_e32 v9, vcc_lo, s11, v9, vcc_lo
	v_add_co_u32 v1, vcc_lo, 0x100, v1
	v_add_co_ci_u32_e32 v2, vcc_lo, 0, v2, vcc_lo
	global_load_b32 v8, v[8:9], off
	v_add_co_u32 v3, vcc_lo, 0x400, v3
	s_waitcnt vmcnt(1)
	v_mul_f32_e32 v9, s18, v10
	v_add_co_ci_u32_e32 v4, vcc_lo, 0, v4, vcc_lo
	v_cmp_le_i64_e32 vcc_lo, s[8:9], v[1:2]
	s_or_b32 s21, vcc_lo, s21
	s_waitcnt vmcnt(0)
	v_fmac_f32_e32 v7, v9, v8
	s_and_not1_b32 exec_lo, exec_lo, s21
	s_cbranch_execnz .LBB19_11
; %bb.12:
	s_or_b32 exec_lo, exec_lo, s21
.LBB19_13:
	s_delay_alu instid0(SALU_CYCLE_1)
	s_or_b32 exec_lo, exec_lo, s15
	v_lshlrev_b32_e32 v1, 2, v0
	s_mov_b32 s0, exec_lo
	ds_store_b32 v1, v7
	s_waitcnt lgkmcnt(0)
	s_waitcnt_vscnt null, 0x0
	s_barrier
	buffer_gl0_inv
	v_cmpx_gt_u32_e32 0x80, v0
	s_cbranch_execz .LBB19_15
; %bb.14:
	ds_load_2addr_stride64_b32 v[2:3], v1 offset1:2
	s_waitcnt lgkmcnt(0)
	v_add_f32_e32 v2, v2, v3
	ds_store_b32 v1, v2
.LBB19_15:
	s_or_b32 exec_lo, exec_lo, s0
	s_delay_alu instid0(SALU_CYCLE_1)
	s_mov_b32 s0, exec_lo
	s_waitcnt lgkmcnt(0)
	s_barrier
	buffer_gl0_inv
	v_cmpx_gt_u32_e32 64, v0
	s_cbranch_execz .LBB19_17
; %bb.16:
	ds_load_2addr_stride64_b32 v[2:3], v1 offset1:1
	s_waitcnt lgkmcnt(0)
	v_add_f32_e32 v2, v2, v3
	ds_store_b32 v1, v2
.LBB19_17:
	s_or_b32 exec_lo, exec_lo, s0
	s_delay_alu instid0(SALU_CYCLE_1)
	s_mov_b32 s0, exec_lo
	s_waitcnt lgkmcnt(0)
	s_barrier
	buffer_gl0_inv
	v_cmpx_gt_u32_e32 32, v0
	s_cbranch_execz .LBB19_19
; %bb.18:
	ds_load_2addr_b32 v[2:3], v1 offset1:32
	s_waitcnt lgkmcnt(0)
	v_add_f32_e32 v2, v2, v3
	ds_store_b32 v1, v2
.LBB19_19:
	s_or_b32 exec_lo, exec_lo, s0
	s_delay_alu instid0(SALU_CYCLE_1)
	s_mov_b32 s0, exec_lo
	s_waitcnt lgkmcnt(0)
	s_barrier
	buffer_gl0_inv
	v_cmpx_gt_u32_e32 16, v0
	s_cbranch_execz .LBB19_21
; %bb.20:
	ds_load_2addr_b32 v[2:3], v1 offset1:16
	s_waitcnt lgkmcnt(0)
	v_add_f32_e32 v2, v2, v3
	ds_store_b32 v1, v2
.LBB19_21:
	;; [unrolled: 14-line block ×5, first 2 shown]
	s_or_b32 exec_lo, exec_lo, s0
	v_cmp_eq_u32_e32 vcc_lo, 0, v0
	s_waitcnt lgkmcnt(0)
	s_barrier
	buffer_gl0_inv
	s_and_saveexec_b32 s0, vcc_lo
	s_cbranch_execz .LBB19_29
; %bb.28:
	v_mov_b32_e32 v2, 0
	ds_load_b64 v[0:1], v2
	s_waitcnt lgkmcnt(0)
	v_add_f32_e32 v0, v0, v1
	ds_store_b32 v2, v0
.LBB19_29:
	s_or_b32 exec_lo, exec_lo, s0
	s_waitcnt lgkmcnt(0)
	s_barrier
	buffer_gl0_inv
	s_and_saveexec_b32 s0, vcc_lo
	s_cbranch_execz .LBB19_39
; %bb.30:
	s_cmp_eq_u32 s19, 0
	s_cbranch_scc1 .LBB19_36
; %bb.31:
	s_ashr_i32 s15, s14, 31
	v_mov_b32_e32 v0, 0
	s_lshl_b64 s[0:1], s[14:15], 2
	s_delay_alu instid0(SALU_CYCLE_1)
	s_add_u32 s0, s4, s0
	s_addc_u32 s1, s5, s1
	s_branch .LBB19_33
.LBB19_32:                              ;   in Loop: Header=BB19_33 Depth=1
	s_or_b32 exec_lo, exec_lo, s4
	s_waitcnt vmcnt(0)
	v_readfirstlane_b32 s4, v1
	s_delay_alu instid0(VALU_DEP_1)
	s_cmp_eq_u32 s4, s17
	s_cbranch_scc0 .LBB19_35
.LBB19_33:                              ; =>This Inner Loop Header: Depth=1
	v_mbcnt_lo_u32_b32 v1, exec_lo, 0
	s_delay_alu instid0(VALU_DEP_1)
	v_cmp_eq_u32_e32 vcc_lo, 0, v1
                                        ; implicit-def: $vgpr1
	s_and_saveexec_b32 s4, vcc_lo
	s_cbranch_execz .LBB19_32
; %bb.34:                               ;   in Loop: Header=BB19_33 Depth=1
	global_load_b32 v1, v0, s[0:1] glc
	s_branch .LBB19_32
.LBB19_35:
	v_mov_b32_e32 v0, 0
	global_load_b32 v1, v0, s[12:13]
	s_waitcnt vmcnt(0)
	v_xor_b32_e32 v1, 1, v1
	global_store_b32 v0, v1, s[12:13]
.LBB19_36:
	s_mov_b32 s4, exec_lo
	s_delay_alu instid0(SALU_CYCLE_1) | instskip(NEXT) | instid1(VALU_DEP_1)
	v_mbcnt_lo_u32_b32 v0, s4, 0
	v_cmp_eq_u32_e32 vcc_lo, 0, v0
	s_and_b32 s0, exec_lo, vcc_lo
	s_delay_alu instid0(SALU_CYCLE_1)
	s_mov_b32 exec_lo, s0
	s_cbranch_execz .LBB19_39
; %bb.37:
	s_lshl_b64 s[0:1], s[2:3], 2
	s_delay_alu instid0(SALU_CYCLE_1) | instskip(SKIP_2) | instid1(SALU_CYCLE_1)
	s_add_u32 s0, s6, s0
	s_addc_u32 s1, s7, s1
	s_bcnt1_i32_b32 s2, s4
	v_cvt_f32_ubyte0_e32 v3, s2
	v_mov_b32_e32 v2, 0
	s_mov_b32 s2, 0
	global_load_b32 v1, v2, s[0:1]
	ds_load_b32 v0, v2
	s_waitcnt lgkmcnt(0)
	v_mul_f32_e32 v3, v0, v3
.LBB19_38:                              ; =>This Inner Loop Header: Depth=1
	s_waitcnt vmcnt(0)
	s_delay_alu instid0(VALU_DEP_1)
	v_add_f32_e32 v0, v1, v3
	global_atomic_cmpswap_b32 v0, v2, v[0:1], s[0:1] glc
	s_waitcnt vmcnt(0)
	v_cmp_eq_u32_e32 vcc_lo, v0, v1
	v_mov_b32_e32 v1, v0
	s_or_b32 s2, vcc_lo, s2
	s_delay_alu instid0(SALU_CYCLE_1)
	s_and_not1_b32 exec_lo, exec_lo, s2
	s_cbranch_execnz .LBB19_38
.LBB19_39:
	s_nop 0
	s_sendmsg sendmsg(MSG_DEALLOC_VGPRS)
	s_endpgm
	.section	.rodata,"a",@progbits
	.p2align	6, 0x0
	.amdhsa_kernel _ZN9rocsparseL27csrmvn_lrb_long_rows_kernelIliffffEEvbT_PjPT0_S4_jNS_24const_host_device_scalarIT4_EEPKS1_PKS3_PKT1_PKT2_S7_PT3_21rocsparse_index_base_b
		.amdhsa_group_segment_fixed_size 1024
		.amdhsa_private_segment_fixed_size 0
		.amdhsa_kernarg_size 112
		.amdhsa_user_sgpr_count 15
		.amdhsa_user_sgpr_dispatch_ptr 0
		.amdhsa_user_sgpr_queue_ptr 0
		.amdhsa_user_sgpr_kernarg_segment_ptr 1
		.amdhsa_user_sgpr_dispatch_id 0
		.amdhsa_user_sgpr_private_segment_size 0
		.amdhsa_wavefront_size32 1
		.amdhsa_uses_dynamic_stack 0
		.amdhsa_enable_private_segment 0
		.amdhsa_system_sgpr_workgroup_id_x 1
		.amdhsa_system_sgpr_workgroup_id_y 0
		.amdhsa_system_sgpr_workgroup_id_z 0
		.amdhsa_system_sgpr_workgroup_info 0
		.amdhsa_system_vgpr_workitem_id 0
		.amdhsa_next_free_vgpr 11
		.amdhsa_next_free_sgpr 28
		.amdhsa_reserve_vcc 1
		.amdhsa_float_round_mode_32 0
		.amdhsa_float_round_mode_16_64 0
		.amdhsa_float_denorm_mode_32 3
		.amdhsa_float_denorm_mode_16_64 3
		.amdhsa_dx10_clamp 1
		.amdhsa_ieee_mode 1
		.amdhsa_fp16_overflow 0
		.amdhsa_workgroup_processor_mode 1
		.amdhsa_memory_ordered 1
		.amdhsa_forward_progress 0
		.amdhsa_shared_vgpr_count 0
		.amdhsa_exception_fp_ieee_invalid_op 0
		.amdhsa_exception_fp_denorm_src 0
		.amdhsa_exception_fp_ieee_div_zero 0
		.amdhsa_exception_fp_ieee_overflow 0
		.amdhsa_exception_fp_ieee_underflow 0
		.amdhsa_exception_fp_ieee_inexact 0
		.amdhsa_exception_int_div_zero 0
	.end_amdhsa_kernel
	.section	.text._ZN9rocsparseL27csrmvn_lrb_long_rows_kernelIliffffEEvbT_PjPT0_S4_jNS_24const_host_device_scalarIT4_EEPKS1_PKS3_PKT1_PKT2_S7_PT3_21rocsparse_index_base_b,"axG",@progbits,_ZN9rocsparseL27csrmvn_lrb_long_rows_kernelIliffffEEvbT_PjPT0_S4_jNS_24const_host_device_scalarIT4_EEPKS1_PKS3_PKT1_PKT2_S7_PT3_21rocsparse_index_base_b,comdat
.Lfunc_end19:
	.size	_ZN9rocsparseL27csrmvn_lrb_long_rows_kernelIliffffEEvbT_PjPT0_S4_jNS_24const_host_device_scalarIT4_EEPKS1_PKS3_PKT1_PKT2_S7_PT3_21rocsparse_index_base_b, .Lfunc_end19-_ZN9rocsparseL27csrmvn_lrb_long_rows_kernelIliffffEEvbT_PjPT0_S4_jNS_24const_host_device_scalarIT4_EEPKS1_PKS3_PKT1_PKT2_S7_PT3_21rocsparse_index_base_b
                                        ; -- End function
	.section	.AMDGPU.csdata,"",@progbits
; Kernel info:
; codeLenInByte = 1704
; NumSgprs: 30
; NumVgprs: 11
; ScratchSize: 0
; MemoryBound: 0
; FloatMode: 240
; IeeeMode: 1
; LDSByteSize: 1024 bytes/workgroup (compile time only)
; SGPRBlocks: 3
; VGPRBlocks: 1
; NumSGPRsForWavesPerEU: 30
; NumVGPRsForWavesPerEU: 11
; Occupancy: 16
; WaveLimiterHint : 1
; COMPUTE_PGM_RSRC2:SCRATCH_EN: 0
; COMPUTE_PGM_RSRC2:USER_SGPR: 15
; COMPUTE_PGM_RSRC2:TRAP_HANDLER: 0
; COMPUTE_PGM_RSRC2:TGID_X_EN: 1
; COMPUTE_PGM_RSRC2:TGID_Y_EN: 0
; COMPUTE_PGM_RSRC2:TGID_Z_EN: 0
; COMPUTE_PGM_RSRC2:TIDIG_COMP_CNT: 0
	.section	.text._ZN9rocsparseL28csrmvn_lrb_short_rows_kernelIllffffEEvbT_PT0_S3_jNS_24const_host_device_scalarIT4_EEPKS1_PKS2_PKT1_PKT2_S6_PT3_21rocsparse_index_base_b,"axG",@progbits,_ZN9rocsparseL28csrmvn_lrb_short_rows_kernelIllffffEEvbT_PT0_S3_jNS_24const_host_device_scalarIT4_EEPKS1_PKS2_PKT1_PKT2_S6_PT3_21rocsparse_index_base_b,comdat
	.globl	_ZN9rocsparseL28csrmvn_lrb_short_rows_kernelIllffffEEvbT_PT0_S3_jNS_24const_host_device_scalarIT4_EEPKS1_PKS2_PKT1_PKT2_S6_PT3_21rocsparse_index_base_b ; -- Begin function _ZN9rocsparseL28csrmvn_lrb_short_rows_kernelIllffffEEvbT_PT0_S3_jNS_24const_host_device_scalarIT4_EEPKS1_PKS2_PKT1_PKT2_S6_PT3_21rocsparse_index_base_b
	.p2align	8
	.type	_ZN9rocsparseL28csrmvn_lrb_short_rows_kernelIllffffEEvbT_PT0_S3_jNS_24const_host_device_scalarIT4_EEPKS1_PKS2_PKT1_PKT2_S6_PT3_21rocsparse_index_base_b,@function
_ZN9rocsparseL28csrmvn_lrb_short_rows_kernelIllffffEEvbT_PT0_S3_jNS_24const_host_device_scalarIT4_EEPKS1_PKS2_PKT1_PKT2_S6_PT3_21rocsparse_index_base_b: ; @_ZN9rocsparseL28csrmvn_lrb_short_rows_kernelIllffffEEvbT_PT0_S3_jNS_24const_host_device_scalarIT4_EEPKS1_PKS2_PKT1_PKT2_S6_PT3_21rocsparse_index_base_b
; %bb.0:
	s_clause 0x2
	s_load_b64 s[20:21], s[0:1], 0x60
	s_load_b64 s[22:23], s[0:1], 0x28
	s_load_b64 s[2:3], s[0:1], 0x50
	s_waitcnt lgkmcnt(0)
	s_bitcmp1_b32 s21, 0
	s_cselect_b32 s4, -1, 0
	s_delay_alu instid0(SALU_CYCLE_1)
	s_and_b32 vcc_lo, exec_lo, s4
	s_xor_b32 s4, s4, -1
	s_cbranch_vccnz .LBB20_2
; %bb.1:
	s_load_b32 s22, s[22:23], 0x0
.LBB20_2:
	s_and_not1_b32 vcc_lo, exec_lo, s4
	s_cbranch_vccnz .LBB20_4
; %bb.3:
	s_load_b32 s2, s[2:3], 0x0
.LBB20_4:
	s_waitcnt lgkmcnt(0)
	v_cmp_neq_f32_e64 s3, s22, 0
	v_cmp_neq_f32_e64 s4, s2, 1.0
	s_mov_b32 s13, 0
	s_delay_alu instid0(VALU_DEP_1) | instskip(NEXT) | instid1(SALU_CYCLE_1)
	s_or_b32 s3, s3, s4
	s_and_not1_b32 vcc_lo, exec_lo, s3
	s_cbranch_vccnz .LBB20_18
; %bb.5:
	s_clause 0x1
	s_load_b32 s12, s[0:1], 0x20
	s_load_b128 s[16:19], s[0:1], 0x10
	s_mov_b32 s7, s13
	s_waitcnt lgkmcnt(0)
	s_lshl_b64 s[4:5], s[12:13], 3
	s_delay_alu instid0(SALU_CYCLE_1) | instskip(SKIP_2) | instid1(SALU_CYCLE_1)
	s_add_u32 s4, s18, s4
	s_addc_u32 s5, s19, s5
	s_add_i32 s6, s12, 1
	s_lshl_b64 s[6:7], s[6:7], 3
	s_delay_alu instid0(SALU_CYCLE_1)
	s_add_u32 s6, s18, s6
	s_addc_u32 s7, s19, s7
	s_clause 0x1
	s_load_b64 s[18:19], s[4:5], 0x0
	s_load_b32 s3, s[6:7], 0x0
	s_lshl_b32 s14, s15, 8
	s_delay_alu instid0(SALU_CYCLE_1) | instskip(SKIP_2) | instid1(SALU_CYCLE_1)
	s_add_i32 s4, s14, 0x100
	s_waitcnt lgkmcnt(0)
	s_sub_i32 s3, s3, s18
	s_min_u32 s3, s3, s4
	s_cmp_gt_u32 s12, 23
	s_cbranch_scc1 .LBB20_12
; %bb.6:
	s_load_b256 s[4:11], s[0:1], 0x30
	v_mov_b32_e32 v5, 0
	s_lshl_b64 s[24:25], s[18:19], 3
	v_bfe_u32 v6, v0, 0, s12
	v_lshl_add_u32 v8, v0, 2, 0
	s_lshl_b32 s13, 0x100, s12
	v_mov_b32_e32 v7, v5
	s_add_u32 s15, s16, s24
	s_addc_u32 s21, s17, s25
	s_mov_b32 s23, 0
	s_branch .LBB20_9
.LBB20_7:                               ;   in Loop: Header=BB20_9 Depth=1
	s_or_b32 exec_lo, exec_lo, s25
	ds_store_b32 v8, v3
.LBB20_8:                               ;   in Loop: Header=BB20_9 Depth=1
	s_or_b32 exec_lo, exec_lo, s24
	v_add_nc_u32_e32 v8, 0x400, v8
	s_addk_i32 s23, 0x100
	s_delay_alu instid0(SALU_CYCLE_1)
	s_cmp_ge_u32 s23, s13
	s_cbranch_scc1 .LBB20_12
.LBB20_9:                               ; =>This Inner Loop Header: Depth=1
	v_add_nc_u32_e32 v1, s23, v0
	s_mov_b32 s24, exec_lo
	s_delay_alu instid0(VALU_DEP_1) | instskip(NEXT) | instid1(VALU_DEP_1)
	v_lshrrev_b32_e32 v1, s12, v1
	v_add_nc_u32_e32 v4, s14, v1
	s_delay_alu instid0(VALU_DEP_1)
	v_cmpx_gt_u32_e64 s3, v4
	s_cbranch_execz .LBB20_8
; %bb.10:                               ;   in Loop: Header=BB20_9 Depth=1
	v_lshlrev_b64 v[1:2], 3, v[4:5]
	s_delay_alu instid0(VALU_DEP_1) | instskip(NEXT) | instid1(VALU_DEP_2)
	v_add_co_u32 v1, vcc_lo, s15, v1
	v_add_co_ci_u32_e32 v2, vcc_lo, s21, v2, vcc_lo
	global_load_b64 v[1:2], v[1:2], off
	s_waitcnt vmcnt(0)
	v_lshlrev_b64 v[1:2], 3, v[1:2]
	s_waitcnt lgkmcnt(0)
	s_delay_alu instid0(VALU_DEP_1) | instskip(NEXT) | instid1(VALU_DEP_2)
	v_add_co_u32 v1, vcc_lo, s4, v1
	v_add_co_ci_u32_e32 v2, vcc_lo, s5, v2, vcc_lo
	global_load_b128 v[1:4], v[1:2], off
	s_waitcnt vmcnt(0)
	v_sub_co_u32 v3, vcc_lo, v3, v1
	v_sub_co_ci_u32_e32 v4, vcc_lo, v4, v2, vcc_lo
	s_delay_alu instid0(VALU_DEP_1)
	v_cmp_gt_i64_e32 vcc_lo, v[3:4], v[6:7]
	v_mov_b32_e32 v3, 0
	s_and_saveexec_b32 s25, vcc_lo
	s_cbranch_execz .LBB20_7
; %bb.11:                               ;   in Loop: Header=BB20_9 Depth=1
	v_sub_co_u32 v1, vcc_lo, v1, s20
	v_subrev_co_ci_u32_e32 v2, vcc_lo, 0, v2, vcc_lo
	s_delay_alu instid0(VALU_DEP_2) | instskip(NEXT) | instid1(VALU_DEP_2)
	v_add_co_u32 v1, vcc_lo, v1, v6
	v_add_co_ci_u32_e32 v2, vcc_lo, 0, v2, vcc_lo
	s_delay_alu instid0(VALU_DEP_1) | instskip(SKIP_1) | instid1(VALU_DEP_2)
	v_lshlrev_b64 v[3:4], 3, v[1:2]
	v_lshlrev_b64 v[1:2], 2, v[1:2]
	v_add_co_u32 v3, vcc_lo, s6, v3
	s_delay_alu instid0(VALU_DEP_3)
	v_add_co_ci_u32_e32 v4, vcc_lo, s7, v4, vcc_lo
	global_load_b64 v[3:4], v[3:4], off
	s_waitcnt vmcnt(0)
	v_sub_co_u32 v3, vcc_lo, v3, s20
	v_subrev_co_ci_u32_e32 v4, vcc_lo, 0, v4, vcc_lo
	v_add_co_u32 v1, vcc_lo, s8, v1
	v_add_co_ci_u32_e32 v2, vcc_lo, s9, v2, vcc_lo
	s_delay_alu instid0(VALU_DEP_3)
	v_lshlrev_b64 v[3:4], 2, v[3:4]
	global_load_b32 v9, v[1:2], off
	v_add_co_u32 v1, vcc_lo, s10, v3
	v_add_co_ci_u32_e32 v2, vcc_lo, s11, v4, vcc_lo
	global_load_b32 v1, v[1:2], off
	s_waitcnt vmcnt(1)
	v_mul_f32_e32 v2, s22, v9
	s_waitcnt vmcnt(0)
	s_delay_alu instid0(VALU_DEP_1)
	v_mul_f32_e32 v3, v2, v1
	s_branch .LBB20_7
.LBB20_12:
	s_sub_i32 s3, s3, s14
	s_waitcnt lgkmcnt(0)
	v_cmp_gt_u32_e32 vcc_lo, s3, v0
	s_barrier
	buffer_gl0_inv
	s_and_saveexec_b32 s3, vcc_lo
	s_cbranch_execz .LBB20_18
; %bb.13:
	s_lshl_b64 s[4:5], s[18:19], 3
	s_mov_b32 s15, 0
	s_add_u32 s3, s16, s4
	s_addc_u32 s6, s17, s5
	s_lshl_b64 s[4:5], s[14:15], 3
	v_lshlrev_b32_e32 v1, 3, v0
	s_add_u32 s4, s3, s4
	s_addc_u32 s5, s6, s5
	s_load_b64 s[0:1], s[0:1], 0x58
	v_dual_mov_b32 v3, 0 :: v_dual_lshlrev_b32 v0, s12, v0
	global_load_b64 v[1:2], v1, s[4:5]
	s_mov_b32 s3, 1
	v_lshl_add_u32 v0, v0, 2, 0
.LBB20_14:                              ; =>This Inner Loop Header: Depth=1
	ds_load_b32 v4, v0
	v_add_nc_u32_e32 v0, 4, v0
	s_lshr_b32 s4, s3, s12
	s_add_i32 s3, s3, 1
	s_cmp_lg_u32 s4, 0
	s_waitcnt lgkmcnt(0)
	v_add_f32_e32 v3, v3, v4
	s_cbranch_scc0 .LBB20_14
; %bb.15:
	v_cmp_neq_f32_e64 s3, s2, 0
	s_waitcnt vmcnt(0)
	v_lshlrev_b64 v[0:1], 2, v[1:2]
	s_delay_alu instid0(VALU_DEP_2)
	s_and_b32 vcc_lo, exec_lo, s3
	s_cbranch_vccz .LBB20_17
; %bb.16:
	s_delay_alu instid0(VALU_DEP_1) | instskip(NEXT) | instid1(VALU_DEP_2)
	v_add_co_u32 v4, vcc_lo, s0, v0
	v_add_co_ci_u32_e32 v5, vcc_lo, s1, v1, vcc_lo
	global_load_b32 v2, v[4:5], off
	s_waitcnt vmcnt(0)
	v_fmac_f32_e32 v3, s2, v2
.LBB20_17:
	s_delay_alu instid0(VALU_DEP_1) | instskip(NEXT) | instid1(VALU_DEP_2)
	v_add_co_u32 v0, vcc_lo, s0, v0
	v_add_co_ci_u32_e32 v1, vcc_lo, s1, v1, vcc_lo
	global_store_b32 v[0:1], v3, off
.LBB20_18:
	s_nop 0
	s_sendmsg sendmsg(MSG_DEALLOC_VGPRS)
	s_endpgm
	.section	.rodata,"a",@progbits
	.p2align	6, 0x0
	.amdhsa_kernel _ZN9rocsparseL28csrmvn_lrb_short_rows_kernelIllffffEEvbT_PT0_S3_jNS_24const_host_device_scalarIT4_EEPKS1_PKS2_PKT1_PKT2_S6_PT3_21rocsparse_index_base_b
		.amdhsa_group_segment_fixed_size 0
		.amdhsa_private_segment_fixed_size 0
		.amdhsa_kernarg_size 104
		.amdhsa_user_sgpr_count 15
		.amdhsa_user_sgpr_dispatch_ptr 0
		.amdhsa_user_sgpr_queue_ptr 0
		.amdhsa_user_sgpr_kernarg_segment_ptr 1
		.amdhsa_user_sgpr_dispatch_id 0
		.amdhsa_user_sgpr_private_segment_size 0
		.amdhsa_wavefront_size32 1
		.amdhsa_uses_dynamic_stack 0
		.amdhsa_enable_private_segment 0
		.amdhsa_system_sgpr_workgroup_id_x 1
		.amdhsa_system_sgpr_workgroup_id_y 0
		.amdhsa_system_sgpr_workgroup_id_z 0
		.amdhsa_system_sgpr_workgroup_info 0
		.amdhsa_system_vgpr_workitem_id 0
		.amdhsa_next_free_vgpr 10
		.amdhsa_next_free_sgpr 26
		.amdhsa_reserve_vcc 1
		.amdhsa_float_round_mode_32 0
		.amdhsa_float_round_mode_16_64 0
		.amdhsa_float_denorm_mode_32 3
		.amdhsa_float_denorm_mode_16_64 3
		.amdhsa_dx10_clamp 1
		.amdhsa_ieee_mode 1
		.amdhsa_fp16_overflow 0
		.amdhsa_workgroup_processor_mode 1
		.amdhsa_memory_ordered 1
		.amdhsa_forward_progress 0
		.amdhsa_shared_vgpr_count 0
		.amdhsa_exception_fp_ieee_invalid_op 0
		.amdhsa_exception_fp_denorm_src 0
		.amdhsa_exception_fp_ieee_div_zero 0
		.amdhsa_exception_fp_ieee_overflow 0
		.amdhsa_exception_fp_ieee_underflow 0
		.amdhsa_exception_fp_ieee_inexact 0
		.amdhsa_exception_int_div_zero 0
	.end_amdhsa_kernel
	.section	.text._ZN9rocsparseL28csrmvn_lrb_short_rows_kernelIllffffEEvbT_PT0_S3_jNS_24const_host_device_scalarIT4_EEPKS1_PKS2_PKT1_PKT2_S6_PT3_21rocsparse_index_base_b,"axG",@progbits,_ZN9rocsparseL28csrmvn_lrb_short_rows_kernelIllffffEEvbT_PT0_S3_jNS_24const_host_device_scalarIT4_EEPKS1_PKS2_PKT1_PKT2_S6_PT3_21rocsparse_index_base_b,comdat
.Lfunc_end20:
	.size	_ZN9rocsparseL28csrmvn_lrb_short_rows_kernelIllffffEEvbT_PT0_S3_jNS_24const_host_device_scalarIT4_EEPKS1_PKS2_PKT1_PKT2_S6_PT3_21rocsparse_index_base_b, .Lfunc_end20-_ZN9rocsparseL28csrmvn_lrb_short_rows_kernelIllffffEEvbT_PT0_S3_jNS_24const_host_device_scalarIT4_EEPKS1_PKS2_PKT1_PKT2_S6_PT3_21rocsparse_index_base_b
                                        ; -- End function
	.section	.AMDGPU.csdata,"",@progbits
; Kernel info:
; codeLenInByte = 884
; NumSgprs: 28
; NumVgprs: 10
; ScratchSize: 0
; MemoryBound: 0
; FloatMode: 240
; IeeeMode: 1
; LDSByteSize: 0 bytes/workgroup (compile time only)
; SGPRBlocks: 3
; VGPRBlocks: 1
; NumSGPRsForWavesPerEU: 28
; NumVGPRsForWavesPerEU: 10
; Occupancy: 16
; WaveLimiterHint : 1
; COMPUTE_PGM_RSRC2:SCRATCH_EN: 0
; COMPUTE_PGM_RSRC2:USER_SGPR: 15
; COMPUTE_PGM_RSRC2:TRAP_HANDLER: 0
; COMPUTE_PGM_RSRC2:TGID_X_EN: 1
; COMPUTE_PGM_RSRC2:TGID_Y_EN: 0
; COMPUTE_PGM_RSRC2:TGID_Z_EN: 0
; COMPUTE_PGM_RSRC2:TIDIG_COMP_CNT: 0
	.section	.text._ZN9rocsparseL30csrmvn_lrb_short_rows_2_kernelIllffffEEvbT_PT0_S3_jNS_24const_host_device_scalarIT4_EEPKS1_PKS2_PKT1_PKT2_S6_PT3_21rocsparse_index_base_b,"axG",@progbits,_ZN9rocsparseL30csrmvn_lrb_short_rows_2_kernelIllffffEEvbT_PT0_S3_jNS_24const_host_device_scalarIT4_EEPKS1_PKS2_PKT1_PKT2_S6_PT3_21rocsparse_index_base_b,comdat
	.globl	_ZN9rocsparseL30csrmvn_lrb_short_rows_2_kernelIllffffEEvbT_PT0_S3_jNS_24const_host_device_scalarIT4_EEPKS1_PKS2_PKT1_PKT2_S6_PT3_21rocsparse_index_base_b ; -- Begin function _ZN9rocsparseL30csrmvn_lrb_short_rows_2_kernelIllffffEEvbT_PT0_S3_jNS_24const_host_device_scalarIT4_EEPKS1_PKS2_PKT1_PKT2_S6_PT3_21rocsparse_index_base_b
	.p2align	8
	.type	_ZN9rocsparseL30csrmvn_lrb_short_rows_2_kernelIllffffEEvbT_PT0_S3_jNS_24const_host_device_scalarIT4_EEPKS1_PKS2_PKT1_PKT2_S6_PT3_21rocsparse_index_base_b,@function
_ZN9rocsparseL30csrmvn_lrb_short_rows_2_kernelIllffffEEvbT_PT0_S3_jNS_24const_host_device_scalarIT4_EEPKS1_PKS2_PKT1_PKT2_S6_PT3_21rocsparse_index_base_b: ; @_ZN9rocsparseL30csrmvn_lrb_short_rows_2_kernelIllffffEEvbT_PT0_S3_jNS_24const_host_device_scalarIT4_EEPKS1_PKS2_PKT1_PKT2_S6_PT3_21rocsparse_index_base_b
; %bb.0:
	s_clause 0x2
	s_load_b64 s[18:19], s[0:1], 0x60
	s_load_b64 s[16:17], s[0:1], 0x28
	;; [unrolled: 1-line block ×3, first 2 shown]
	s_waitcnt lgkmcnt(0)
	s_bitcmp1_b32 s19, 0
	s_cselect_b32 s2, -1, 0
	s_delay_alu instid0(SALU_CYCLE_1)
	s_and_b32 vcc_lo, exec_lo, s2
	s_xor_b32 s2, s2, -1
	s_cbranch_vccnz .LBB21_2
; %bb.1:
	s_load_b32 s16, s[16:17], 0x0
.LBB21_2:
	s_and_not1_b32 vcc_lo, exec_lo, s2
	s_cbranch_vccnz .LBB21_4
; %bb.3:
	s_load_b32 s8, s[8:9], 0x0
.LBB21_4:
	s_waitcnt lgkmcnt(0)
	v_cmp_neq_f32_e64 s2, s16, 0
	v_cmp_neq_f32_e64 s3, s8, 1.0
	s_mov_b32 s11, 0
	s_delay_alu instid0(VALU_DEP_1) | instskip(NEXT) | instid1(SALU_CYCLE_1)
	s_or_b32 s2, s2, s3
	s_and_not1_b32 vcc_lo, exec_lo, s2
	s_cbranch_vccnz .LBB21_30
; %bb.5:
	s_clause 0x1
	s_load_b32 s10, s[0:1], 0x20
	s_load_b128 s[20:23], s[0:1], 0x10
	s_mov_b32 s5, s11
	v_mov_b32_e32 v6, 0
	s_waitcnt lgkmcnt(0)
	s_lshl_b64 s[2:3], s[10:11], 3
	v_lshrrev_b32_e32 v1, s10, v0
	s_add_u32 s2, s22, s2
	s_addc_u32 s3, s23, s3
	s_add_i32 s4, s10, 1
	v_bfe_u32 v5, v0, 0, s10
	s_lshl_b64 s[4:5], s[4:5], 3
	s_delay_alu instid0(SALU_CYCLE_1)
	s_add_u32 s4, s22, s4
	s_addc_u32 s5, s23, s5
	s_clause 0x1
	s_load_b64 s[22:23], s[2:3], 0x0
	s_load_b32 s11, s[4:5], 0x0
	s_clause 0x1
	s_load_b64 s[12:13], s[0:1], 0x58
	s_load_b256 s[0:7], s[0:1], 0x30
	s_lshr_b32 s9, 0x400, s10
	s_delay_alu instid0(SALU_CYCLE_1) | instskip(NEXT) | instid1(SALU_CYCLE_1)
	s_mul_i32 s14, s9, s15
	s_add_i32 s15, s14, s9
	v_add_nc_u32_e32 v1, s14, v1
	s_waitcnt lgkmcnt(0)
	s_sub_i32 s11, s11, s22
	s_lshl_b64 s[22:23], s[22:23], 3
	s_min_u32 s11, s11, s15
	s_add_u32 s17, s20, s22
	s_addc_u32 s19, s21, s23
	s_mov_b32 s15, exec_lo
	v_cmpx_gt_u32_e64 s11, v1
	s_cbranch_execz .LBB21_9
; %bb.6:
	v_mov_b32_e32 v2, v6
	s_delay_alu instid0(VALU_DEP_1) | instskip(NEXT) | instid1(VALU_DEP_1)
	v_lshlrev_b64 v[1:2], 3, v[1:2]
	v_add_co_u32 v1, vcc_lo, s17, v1
	s_delay_alu instid0(VALU_DEP_2) | instskip(SKIP_3) | instid1(VALU_DEP_1)
	v_add_co_ci_u32_e32 v2, vcc_lo, s19, v2, vcc_lo
	global_load_b64 v[1:2], v[1:2], off
	s_waitcnt vmcnt(0)
	v_lshlrev_b64 v[1:2], 3, v[1:2]
	v_add_co_u32 v1, vcc_lo, s0, v1
	s_delay_alu instid0(VALU_DEP_2) | instskip(SKIP_4) | instid1(VALU_DEP_1)
	v_add_co_ci_u32_e32 v2, vcc_lo, s1, v2, vcc_lo
	global_load_b128 v[1:4], v[1:2], off
	s_waitcnt vmcnt(0)
	v_sub_co_u32 v3, vcc_lo, v3, v1
	v_sub_co_ci_u32_e32 v4, vcc_lo, v4, v2, vcc_lo
	v_cmp_gt_i64_e32 vcc_lo, v[3:4], v[5:6]
	v_mov_b32_e32 v3, v6
	s_and_saveexec_b32 s20, vcc_lo
	s_cbranch_execz .LBB21_8
; %bb.7:
	v_sub_co_u32 v1, vcc_lo, v1, s18
	v_subrev_co_ci_u32_e32 v2, vcc_lo, 0, v2, vcc_lo
	s_delay_alu instid0(VALU_DEP_2) | instskip(NEXT) | instid1(VALU_DEP_2)
	v_add_co_u32 v1, vcc_lo, v1, v5
	v_add_co_ci_u32_e32 v2, vcc_lo, 0, v2, vcc_lo
	s_delay_alu instid0(VALU_DEP_1) | instskip(SKIP_1) | instid1(VALU_DEP_2)
	v_lshlrev_b64 v[3:4], 3, v[1:2]
	v_lshlrev_b64 v[1:2], 2, v[1:2]
	v_add_co_u32 v3, vcc_lo, s2, v3
	s_delay_alu instid0(VALU_DEP_3)
	v_add_co_ci_u32_e32 v4, vcc_lo, s3, v4, vcc_lo
	global_load_b64 v[3:4], v[3:4], off
	s_waitcnt vmcnt(0)
	v_sub_co_u32 v3, vcc_lo, v3, s18
	v_subrev_co_ci_u32_e32 v4, vcc_lo, 0, v4, vcc_lo
	v_add_co_u32 v1, vcc_lo, s4, v1
	v_add_co_ci_u32_e32 v2, vcc_lo, s5, v2, vcc_lo
	s_delay_alu instid0(VALU_DEP_3)
	v_lshlrev_b64 v[3:4], 2, v[3:4]
	global_load_b32 v7, v[1:2], off
	v_add_co_u32 v1, vcc_lo, s6, v3
	v_add_co_ci_u32_e32 v2, vcc_lo, s7, v4, vcc_lo
	global_load_b32 v1, v[1:2], off
	s_waitcnt vmcnt(1)
	v_mul_f32_e32 v2, s16, v7
	s_waitcnt vmcnt(0)
	s_delay_alu instid0(VALU_DEP_1)
	v_mul_f32_e32 v3, v2, v1
.LBB21_8:
	s_or_b32 exec_lo, exec_lo, s20
	v_lshlrev_b32_e32 v1, 2, v0
	ds_store_b32 v1, v3
.LBB21_9:
	s_or_b32 exec_lo, exec_lo, s15
	v_or_b32_e32 v1, 0x100, v0
	s_mov_b32 s15, exec_lo
	s_delay_alu instid0(VALU_DEP_1) | instskip(NEXT) | instid1(VALU_DEP_1)
	v_lshrrev_b32_e32 v1, s10, v1
	v_add_nc_u32_e32 v7, s14, v1
	s_delay_alu instid0(VALU_DEP_1)
	v_cmpx_gt_u32_e64 s11, v7
	s_cbranch_execz .LBB21_13
; %bb.10:
	v_mov_b32_e32 v8, 0
	s_mov_b32 s20, exec_lo
	s_delay_alu instid0(VALU_DEP_1) | instskip(NEXT) | instid1(VALU_DEP_1)
	v_lshlrev_b64 v[1:2], 3, v[7:8]
	v_add_co_u32 v1, vcc_lo, s17, v1
	s_delay_alu instid0(VALU_DEP_2) | instskip(SKIP_3) | instid1(VALU_DEP_1)
	v_add_co_ci_u32_e32 v2, vcc_lo, s19, v2, vcc_lo
	global_load_b64 v[1:2], v[1:2], off
	s_waitcnt vmcnt(0)
	v_lshlrev_b64 v[1:2], 3, v[1:2]
	v_add_co_u32 v1, vcc_lo, s0, v1
	s_delay_alu instid0(VALU_DEP_2) | instskip(SKIP_4) | instid1(VALU_DEP_1)
	v_add_co_ci_u32_e32 v2, vcc_lo, s1, v2, vcc_lo
	global_load_b128 v[1:4], v[1:2], off
	s_waitcnt vmcnt(0)
	v_sub_co_u32 v3, vcc_lo, v3, v1
	v_sub_co_ci_u32_e32 v4, vcc_lo, v4, v2, vcc_lo
	v_cmpx_gt_i64_e64 v[3:4], v[5:6]
	s_cbranch_execz .LBB21_12
; %bb.11:
	v_sub_co_u32 v1, vcc_lo, v1, s18
	v_subrev_co_ci_u32_e32 v2, vcc_lo, 0, v2, vcc_lo
	s_delay_alu instid0(VALU_DEP_2) | instskip(NEXT) | instid1(VALU_DEP_2)
	v_add_co_u32 v1, vcc_lo, v1, v5
	v_add_co_ci_u32_e32 v2, vcc_lo, 0, v2, vcc_lo
	s_delay_alu instid0(VALU_DEP_1) | instskip(SKIP_1) | instid1(VALU_DEP_2)
	v_lshlrev_b64 v[3:4], 3, v[1:2]
	v_lshlrev_b64 v[1:2], 2, v[1:2]
	v_add_co_u32 v3, vcc_lo, s2, v3
	s_delay_alu instid0(VALU_DEP_3)
	v_add_co_ci_u32_e32 v4, vcc_lo, s3, v4, vcc_lo
	global_load_b64 v[3:4], v[3:4], off
	s_waitcnt vmcnt(0)
	v_sub_co_u32 v3, vcc_lo, v3, s18
	v_subrev_co_ci_u32_e32 v4, vcc_lo, 0, v4, vcc_lo
	v_add_co_u32 v1, vcc_lo, s4, v1
	v_add_co_ci_u32_e32 v2, vcc_lo, s5, v2, vcc_lo
	s_delay_alu instid0(VALU_DEP_3)
	v_lshlrev_b64 v[3:4], 2, v[3:4]
	global_load_b32 v7, v[1:2], off
	v_add_co_u32 v1, vcc_lo, s6, v3
	v_add_co_ci_u32_e32 v2, vcc_lo, s7, v4, vcc_lo
	global_load_b32 v1, v[1:2], off
	s_waitcnt vmcnt(1)
	v_mul_f32_e32 v2, s16, v7
	s_waitcnt vmcnt(0)
	s_delay_alu instid0(VALU_DEP_1)
	v_mul_f32_e32 v8, v2, v1
.LBB21_12:
	s_or_b32 exec_lo, exec_lo, s20
	v_lshlrev_b32_e32 v1, 2, v0
	ds_store_b32 v1, v8 offset:1024
.LBB21_13:
	s_or_b32 exec_lo, exec_lo, s15
	v_or_b32_e32 v1, 0x200, v0
	s_mov_b32 s15, exec_lo
	s_delay_alu instid0(VALU_DEP_1) | instskip(NEXT) | instid1(VALU_DEP_1)
	v_lshrrev_b32_e32 v1, s10, v1
	v_add_nc_u32_e32 v7, s14, v1
	s_delay_alu instid0(VALU_DEP_1)
	v_cmpx_gt_u32_e64 s11, v7
	s_cbranch_execz .LBB21_17
; %bb.14:
	v_mov_b32_e32 v8, 0
	s_mov_b32 s20, exec_lo
	s_delay_alu instid0(VALU_DEP_1) | instskip(NEXT) | instid1(VALU_DEP_1)
	v_lshlrev_b64 v[1:2], 3, v[7:8]
	v_add_co_u32 v1, vcc_lo, s17, v1
	s_delay_alu instid0(VALU_DEP_2) | instskip(SKIP_3) | instid1(VALU_DEP_1)
	v_add_co_ci_u32_e32 v2, vcc_lo, s19, v2, vcc_lo
	global_load_b64 v[1:2], v[1:2], off
	s_waitcnt vmcnt(0)
	v_lshlrev_b64 v[1:2], 3, v[1:2]
	v_add_co_u32 v1, vcc_lo, s0, v1
	s_delay_alu instid0(VALU_DEP_2) | instskip(SKIP_4) | instid1(VALU_DEP_1)
	v_add_co_ci_u32_e32 v2, vcc_lo, s1, v2, vcc_lo
	global_load_b128 v[1:4], v[1:2], off
	s_waitcnt vmcnt(0)
	v_sub_co_u32 v3, vcc_lo, v3, v1
	v_sub_co_ci_u32_e32 v4, vcc_lo, v4, v2, vcc_lo
	v_cmpx_gt_i64_e64 v[3:4], v[5:6]
	s_cbranch_execz .LBB21_16
; %bb.15:
	v_sub_co_u32 v1, vcc_lo, v1, s18
	v_subrev_co_ci_u32_e32 v2, vcc_lo, 0, v2, vcc_lo
	s_delay_alu instid0(VALU_DEP_2) | instskip(NEXT) | instid1(VALU_DEP_2)
	v_add_co_u32 v1, vcc_lo, v1, v5
	v_add_co_ci_u32_e32 v2, vcc_lo, 0, v2, vcc_lo
	s_delay_alu instid0(VALU_DEP_1) | instskip(SKIP_1) | instid1(VALU_DEP_2)
	v_lshlrev_b64 v[3:4], 3, v[1:2]
	v_lshlrev_b64 v[1:2], 2, v[1:2]
	v_add_co_u32 v3, vcc_lo, s2, v3
	s_delay_alu instid0(VALU_DEP_3)
	v_add_co_ci_u32_e32 v4, vcc_lo, s3, v4, vcc_lo
	global_load_b64 v[3:4], v[3:4], off
	s_waitcnt vmcnt(0)
	v_sub_co_u32 v3, vcc_lo, v3, s18
	v_subrev_co_ci_u32_e32 v4, vcc_lo, 0, v4, vcc_lo
	v_add_co_u32 v1, vcc_lo, s4, v1
	v_add_co_ci_u32_e32 v2, vcc_lo, s5, v2, vcc_lo
	s_delay_alu instid0(VALU_DEP_3)
	v_lshlrev_b64 v[3:4], 2, v[3:4]
	global_load_b32 v7, v[1:2], off
	v_add_co_u32 v1, vcc_lo, s6, v3
	v_add_co_ci_u32_e32 v2, vcc_lo, s7, v4, vcc_lo
	global_load_b32 v1, v[1:2], off
	s_waitcnt vmcnt(1)
	v_mul_f32_e32 v2, s16, v7
	s_waitcnt vmcnt(0)
	s_delay_alu instid0(VALU_DEP_1)
	v_mul_f32_e32 v8, v2, v1
.LBB21_16:
	s_or_b32 exec_lo, exec_lo, s20
	v_lshlrev_b32_e32 v1, 2, v0
	ds_store_b32 v1, v8 offset:2048
.LBB21_17:
	s_or_b32 exec_lo, exec_lo, s15
	v_or_b32_e32 v1, 0x300, v0
	s_mov_b32 s15, exec_lo
	s_delay_alu instid0(VALU_DEP_1) | instskip(NEXT) | instid1(VALU_DEP_1)
	v_lshrrev_b32_e32 v1, s10, v1
	v_add_nc_u32_e32 v7, s14, v1
	s_delay_alu instid0(VALU_DEP_1)
	v_cmpx_gt_u32_e64 s11, v7
	s_cbranch_execz .LBB21_21
; %bb.18:
	v_mov_b32_e32 v8, 0
	s_delay_alu instid0(VALU_DEP_1) | instskip(NEXT) | instid1(VALU_DEP_1)
	v_lshlrev_b64 v[1:2], 3, v[7:8]
	v_add_co_u32 v1, vcc_lo, s17, v1
	s_delay_alu instid0(VALU_DEP_2) | instskip(SKIP_3) | instid1(VALU_DEP_1)
	v_add_co_ci_u32_e32 v2, vcc_lo, s19, v2, vcc_lo
	global_load_b64 v[1:2], v[1:2], off
	s_waitcnt vmcnt(0)
	v_lshlrev_b64 v[1:2], 3, v[1:2]
	v_add_co_u32 v1, vcc_lo, s0, v1
	s_delay_alu instid0(VALU_DEP_2)
	v_add_co_ci_u32_e32 v2, vcc_lo, s1, v2, vcc_lo
	s_mov_b32 s0, exec_lo
	global_load_b128 v[1:4], v[1:2], off
	s_waitcnt vmcnt(0)
	v_sub_co_u32 v3, vcc_lo, v3, v1
	v_sub_co_ci_u32_e32 v4, vcc_lo, v4, v2, vcc_lo
	s_delay_alu instid0(VALU_DEP_1)
	v_cmpx_gt_i64_e64 v[3:4], v[5:6]
	s_cbranch_execz .LBB21_20
; %bb.19:
	v_sub_co_u32 v1, vcc_lo, v1, s18
	v_subrev_co_ci_u32_e32 v2, vcc_lo, 0, v2, vcc_lo
	s_delay_alu instid0(VALU_DEP_2) | instskip(NEXT) | instid1(VALU_DEP_2)
	v_add_co_u32 v1, vcc_lo, v1, v5
	v_add_co_ci_u32_e32 v2, vcc_lo, 0, v2, vcc_lo
	s_delay_alu instid0(VALU_DEP_1) | instskip(SKIP_1) | instid1(VALU_DEP_2)
	v_lshlrev_b64 v[3:4], 3, v[1:2]
	v_lshlrev_b64 v[1:2], 2, v[1:2]
	v_add_co_u32 v3, vcc_lo, s2, v3
	s_delay_alu instid0(VALU_DEP_3)
	v_add_co_ci_u32_e32 v4, vcc_lo, s3, v4, vcc_lo
	global_load_b64 v[3:4], v[3:4], off
	s_waitcnt vmcnt(0)
	v_sub_co_u32 v3, vcc_lo, v3, s18
	v_subrev_co_ci_u32_e32 v4, vcc_lo, 0, v4, vcc_lo
	v_add_co_u32 v1, vcc_lo, s4, v1
	v_add_co_ci_u32_e32 v2, vcc_lo, s5, v2, vcc_lo
	s_delay_alu instid0(VALU_DEP_3)
	v_lshlrev_b64 v[3:4], 2, v[3:4]
	global_load_b32 v5, v[1:2], off
	v_add_co_u32 v1, vcc_lo, s6, v3
	v_add_co_ci_u32_e32 v2, vcc_lo, s7, v4, vcc_lo
	global_load_b32 v1, v[1:2], off
	s_waitcnt vmcnt(1)
	v_mul_f32_e32 v2, s16, v5
	s_waitcnt vmcnt(0)
	s_delay_alu instid0(VALU_DEP_1)
	v_mul_f32_e32 v8, v2, v1
.LBB21_20:
	s_or_b32 exec_lo, exec_lo, s0
	v_lshlrev_b32_e32 v1, 2, v0
	ds_store_b32 v1, v8 offset:3072
.LBB21_21:
	s_or_b32 exec_lo, exec_lo, s15
	s_cmp_lt_u32 s10, 11
	s_waitcnt lgkmcnt(0)
	s_barrier
	buffer_gl0_inv
	s_cbranch_scc0 .LBB21_30
; %bb.22:
	s_mov_b32 s15, 0
	v_cmp_neq_f32_e64 s0, s8, 0
	s_lshl_b64 s[2:3], s[14:15], 3
	v_mov_b32_e32 v2, 0
	s_sub_i32 s1, s11, s14
	s_add_u32 s2, s17, s2
	s_addc_u32 s3, s19, s3
	s_set_inst_prefetch_distance 0x1
	s_branch .LBB21_25
	.p2align	6
.LBB21_23:                              ;   in Loop: Header=BB21_25 Depth=1
	s_delay_alu instid0(VALU_DEP_1) | instskip(NEXT) | instid1(VALU_DEP_2)
	v_add_co_u32 v3, vcc_lo, s12, v3
	v_add_co_ci_u32_e32 v4, vcc_lo, s13, v4, vcc_lo
	global_store_b32 v[3:4], v1, off
.LBB21_24:                              ;   in Loop: Header=BB21_25 Depth=1
	s_or_b32 exec_lo, exec_lo, s4
	s_addk_i32 s15, 0x100
	s_delay_alu instid0(SALU_CYCLE_1)
	s_cmp_lt_u32 s15, s9
	s_cbranch_scc0 .LBB21_30
.LBB21_25:                              ; =>This Loop Header: Depth=1
                                        ;     Child Loop BB21_27 Depth 2
	v_add_nc_u32_e32 v1, s15, v0
	s_mov_b32 s4, exec_lo
	s_delay_alu instid0(VALU_DEP_1)
	v_cmpx_gt_u32_e64 s1, v1
	s_cbranch_execz .LBB21_24
; %bb.26:                               ;   in Loop: Header=BB21_25 Depth=1
	v_lshlrev_b64 v[3:4], 3, v[1:2]
	v_lshlrev_b32_e32 v1, s10, v1
	s_mov_b32 s5, 1
	s_delay_alu instid0(VALU_DEP_1) | instskip(NEXT) | instid1(VALU_DEP_3)
	v_lshlrev_b32_e32 v5, 2, v1
	v_add_co_u32 v3, vcc_lo, s2, v3
	s_delay_alu instid0(VALU_DEP_4)
	v_add_co_ci_u32_e32 v4, vcc_lo, s3, v4, vcc_lo
	v_mov_b32_e32 v1, 0
	global_load_b64 v[3:4], v[3:4], off
.LBB21_27:                              ;   Parent Loop BB21_25 Depth=1
                                        ; =>  This Inner Loop Header: Depth=2
	ds_load_b32 v6, v5
	v_add_nc_u32_e32 v5, 4, v5
	s_lshr_b32 s6, s5, s10
	s_add_i32 s5, s5, 1
	s_cmp_lg_u32 s6, 0
	s_waitcnt lgkmcnt(0)
	v_add_f32_e32 v1, v1, v6
	s_cbranch_scc0 .LBB21_27
; %bb.28:                               ;   in Loop: Header=BB21_25 Depth=1
	s_waitcnt vmcnt(0)
	v_lshlrev_b64 v[3:4], 2, v[3:4]
	s_and_b32 vcc_lo, exec_lo, s0
	s_cbranch_vccz .LBB21_23
; %bb.29:                               ;   in Loop: Header=BB21_25 Depth=1
	s_delay_alu instid0(VALU_DEP_1) | instskip(NEXT) | instid1(VALU_DEP_2)
	v_add_co_u32 v5, vcc_lo, s12, v3
	v_add_co_ci_u32_e32 v6, vcc_lo, s13, v4, vcc_lo
	global_load_b32 v5, v[5:6], off
	s_waitcnt vmcnt(0)
	v_fmac_f32_e32 v1, s8, v5
	s_branch .LBB21_23
.LBB21_30:
	s_set_inst_prefetch_distance 0x2
	s_nop 0
	s_sendmsg sendmsg(MSG_DEALLOC_VGPRS)
	s_endpgm
	.section	.rodata,"a",@progbits
	.p2align	6, 0x0
	.amdhsa_kernel _ZN9rocsparseL30csrmvn_lrb_short_rows_2_kernelIllffffEEvbT_PT0_S3_jNS_24const_host_device_scalarIT4_EEPKS1_PKS2_PKT1_PKT2_S6_PT3_21rocsparse_index_base_b
		.amdhsa_group_segment_fixed_size 4096
		.amdhsa_private_segment_fixed_size 0
		.amdhsa_kernarg_size 104
		.amdhsa_user_sgpr_count 15
		.amdhsa_user_sgpr_dispatch_ptr 0
		.amdhsa_user_sgpr_queue_ptr 0
		.amdhsa_user_sgpr_kernarg_segment_ptr 1
		.amdhsa_user_sgpr_dispatch_id 0
		.amdhsa_user_sgpr_private_segment_size 0
		.amdhsa_wavefront_size32 1
		.amdhsa_uses_dynamic_stack 0
		.amdhsa_enable_private_segment 0
		.amdhsa_system_sgpr_workgroup_id_x 1
		.amdhsa_system_sgpr_workgroup_id_y 0
		.amdhsa_system_sgpr_workgroup_id_z 0
		.amdhsa_system_sgpr_workgroup_info 0
		.amdhsa_system_vgpr_workitem_id 0
		.amdhsa_next_free_vgpr 9
		.amdhsa_next_free_sgpr 24
		.amdhsa_reserve_vcc 1
		.amdhsa_float_round_mode_32 0
		.amdhsa_float_round_mode_16_64 0
		.amdhsa_float_denorm_mode_32 3
		.amdhsa_float_denorm_mode_16_64 3
		.amdhsa_dx10_clamp 1
		.amdhsa_ieee_mode 1
		.amdhsa_fp16_overflow 0
		.amdhsa_workgroup_processor_mode 1
		.amdhsa_memory_ordered 1
		.amdhsa_forward_progress 0
		.amdhsa_shared_vgpr_count 0
		.amdhsa_exception_fp_ieee_invalid_op 0
		.amdhsa_exception_fp_denorm_src 0
		.amdhsa_exception_fp_ieee_div_zero 0
		.amdhsa_exception_fp_ieee_overflow 0
		.amdhsa_exception_fp_ieee_underflow 0
		.amdhsa_exception_fp_ieee_inexact 0
		.amdhsa_exception_int_div_zero 0
	.end_amdhsa_kernel
	.section	.text._ZN9rocsparseL30csrmvn_lrb_short_rows_2_kernelIllffffEEvbT_PT0_S3_jNS_24const_host_device_scalarIT4_EEPKS1_PKS2_PKT1_PKT2_S6_PT3_21rocsparse_index_base_b,"axG",@progbits,_ZN9rocsparseL30csrmvn_lrb_short_rows_2_kernelIllffffEEvbT_PT0_S3_jNS_24const_host_device_scalarIT4_EEPKS1_PKS2_PKT1_PKT2_S6_PT3_21rocsparse_index_base_b,comdat
.Lfunc_end21:
	.size	_ZN9rocsparseL30csrmvn_lrb_short_rows_2_kernelIllffffEEvbT_PT0_S3_jNS_24const_host_device_scalarIT4_EEPKS1_PKS2_PKT1_PKT2_S6_PT3_21rocsparse_index_base_b, .Lfunc_end21-_ZN9rocsparseL30csrmvn_lrb_short_rows_2_kernelIllffffEEvbT_PT0_S3_jNS_24const_host_device_scalarIT4_EEPKS1_PKS2_PKT1_PKT2_S6_PT3_21rocsparse_index_base_b
                                        ; -- End function
	.section	.AMDGPU.csdata,"",@progbits
; Kernel info:
; codeLenInByte = 1868
; NumSgprs: 26
; NumVgprs: 9
; ScratchSize: 0
; MemoryBound: 0
; FloatMode: 240
; IeeeMode: 1
; LDSByteSize: 4096 bytes/workgroup (compile time only)
; SGPRBlocks: 3
; VGPRBlocks: 1
; NumSGPRsForWavesPerEU: 26
; NumVGPRsForWavesPerEU: 9
; Occupancy: 16
; WaveLimiterHint : 1
; COMPUTE_PGM_RSRC2:SCRATCH_EN: 0
; COMPUTE_PGM_RSRC2:USER_SGPR: 15
; COMPUTE_PGM_RSRC2:TRAP_HANDLER: 0
; COMPUTE_PGM_RSRC2:TGID_X_EN: 1
; COMPUTE_PGM_RSRC2:TGID_Y_EN: 0
; COMPUTE_PGM_RSRC2:TGID_Z_EN: 0
; COMPUTE_PGM_RSRC2:TIDIG_COMP_CNT: 0
	.section	.text._ZN9rocsparseL41csrmvn_lrb_medium_rows_warp_reduce_kernelILj256ELj32EllffffEEvbT1_lPT2_S3_jNS_24const_host_device_scalarIT6_EEPKS1_PKS2_PKT3_PKT4_S6_PT5_21rocsparse_index_base_b,"axG",@progbits,_ZN9rocsparseL41csrmvn_lrb_medium_rows_warp_reduce_kernelILj256ELj32EllffffEEvbT1_lPT2_S3_jNS_24const_host_device_scalarIT6_EEPKS1_PKS2_PKT3_PKT4_S6_PT5_21rocsparse_index_base_b,comdat
	.globl	_ZN9rocsparseL41csrmvn_lrb_medium_rows_warp_reduce_kernelILj256ELj32EllffffEEvbT1_lPT2_S3_jNS_24const_host_device_scalarIT6_EEPKS1_PKS2_PKT3_PKT4_S6_PT5_21rocsparse_index_base_b ; -- Begin function _ZN9rocsparseL41csrmvn_lrb_medium_rows_warp_reduce_kernelILj256ELj32EllffffEEvbT1_lPT2_S3_jNS_24const_host_device_scalarIT6_EEPKS1_PKS2_PKT3_PKT4_S6_PT5_21rocsparse_index_base_b
	.p2align	8
	.type	_ZN9rocsparseL41csrmvn_lrb_medium_rows_warp_reduce_kernelILj256ELj32EllffffEEvbT1_lPT2_S3_jNS_24const_host_device_scalarIT6_EEPKS1_PKS2_PKT3_PKT4_S6_PT5_21rocsparse_index_base_b,@function
_ZN9rocsparseL41csrmvn_lrb_medium_rows_warp_reduce_kernelILj256ELj32EllffffEEvbT1_lPT2_S3_jNS_24const_host_device_scalarIT6_EEPKS1_PKS2_PKT3_PKT4_S6_PT5_21rocsparse_index_base_b: ; @_ZN9rocsparseL41csrmvn_lrb_medium_rows_warp_reduce_kernelILj256ELj32EllffffEEvbT1_lPT2_S3_jNS_24const_host_device_scalarIT6_EEPKS1_PKS2_PKT3_PKT4_S6_PT5_21rocsparse_index_base_b
; %bb.0:
	s_clause 0x2
	s_load_b64 s[4:5], s[0:1], 0x68
	s_load_b64 s[6:7], s[0:1], 0x30
	;; [unrolled: 1-line block ×3, first 2 shown]
	s_waitcnt lgkmcnt(0)
	s_bitcmp1_b32 s5, 0
	s_cselect_b32 s5, -1, 0
	s_delay_alu instid0(SALU_CYCLE_1)
	s_and_b32 vcc_lo, exec_lo, s5
	s_xor_b32 s5, s5, -1
	s_cbranch_vccnz .LBB22_2
; %bb.1:
	s_load_b32 s6, s[6:7], 0x0
.LBB22_2:
	s_and_not1_b32 vcc_lo, exec_lo, s5
	s_cbranch_vccnz .LBB22_4
; %bb.3:
	s_load_b32 s2, s[2:3], 0x0
.LBB22_4:
	s_waitcnt lgkmcnt(0)
	v_cmp_neq_f32_e64 s3, s6, 0
	v_cmp_neq_f32_e64 s5, s2, 1.0
	s_delay_alu instid0(VALU_DEP_1) | instskip(NEXT) | instid1(SALU_CYCLE_1)
	s_or_b32 s3, s3, s5
	s_and_not1_b32 vcc_lo, exec_lo, s3
	s_cbranch_vccnz .LBB22_14
; %bb.5:
	s_load_b64 s[8:9], s[0:1], 0x10
	v_lshrrev_b32_e32 v1, 5, v0
	s_mov_b32 s3, exec_lo
	s_delay_alu instid0(VALU_DEP_1) | instskip(NEXT) | instid1(VALU_DEP_1)
	v_lshl_or_b32 v1, s15, 3, v1
	v_ashrrev_i32_e32 v2, 31, v1
	s_waitcnt lgkmcnt(0)
	s_delay_alu instid0(VALU_DEP_1)
	v_cmpx_gt_i64_e64 s[8:9], v[1:2]
	s_cbranch_execz .LBB22_14
; %bb.6:
	s_clause 0x1
	s_load_b32 s10, s[0:1], 0x28
	s_load_b128 s[12:15], s[0:1], 0x18
	s_mov_b32 s11, 0
	v_lshlrev_b64 v[1:2], 3, v[1:2]
	v_dual_mov_b32 v11, 0 :: v_dual_and_b32 v0, 31, v0
	s_waitcnt lgkmcnt(0)
	s_lshl_b64 s[8:9], s[10:11], 3
	s_delay_alu instid0(SALU_CYCLE_1) | instskip(SKIP_4) | instid1(SALU_CYCLE_1)
	s_add_u32 s8, s14, s8
	s_addc_u32 s9, s15, s9
	s_load_b64 s[8:9], s[8:9], 0x0
	s_waitcnt lgkmcnt(0)
	s_lshl_b64 s[8:9], s[8:9], 3
	s_add_u32 s3, s12, s8
	s_addc_u32 s5, s13, s9
	v_add_co_u32 v1, vcc_lo, s3, v1
	v_add_co_ci_u32_e32 v2, vcc_lo, s5, v2, vcc_lo
	s_load_b64 s[8:9], s[0:1], 0x38
	v_sub_co_u32 v9, s3, v0, s4
	global_load_b64 v[1:2], v[1:2], off
	v_sub_co_ci_u32_e64 v10, null, 0, 0, s3
	s_mov_b32 s3, exec_lo
	s_waitcnt vmcnt(0)
	v_lshlrev_b64 v[3:4], 3, v[1:2]
	s_waitcnt lgkmcnt(0)
	s_delay_alu instid0(VALU_DEP_1) | instskip(NEXT) | instid1(VALU_DEP_2)
	v_add_co_u32 v3, vcc_lo, s8, v3
	v_add_co_ci_u32_e32 v4, vcc_lo, s9, v4, vcc_lo
	s_load_b64 s[8:9], s[0:1], 0x60
	global_load_b128 v[5:8], v[3:4], off
	s_waitcnt vmcnt(0)
	v_sub_co_u32 v3, vcc_lo, v7, s4
	v_subrev_co_ci_u32_e32 v4, vcc_lo, 0, v8, vcc_lo
	v_add_co_u32 v5, vcc_lo, v5, v9
	v_add_co_ci_u32_e32 v6, vcc_lo, v6, v10, vcc_lo
	s_delay_alu instid0(VALU_DEP_1)
	v_cmpx_lt_i64_e64 v[5:6], v[3:4]
	s_cbranch_execz .LBB22_10
; %bb.7:
	s_clause 0x1
	s_load_b128 s[16:19], s[0:1], 0x40
	s_load_b64 s[12:13], s[0:1], 0x50
	v_lshlrev_b64 v[7:8], 2, v[5:6]
	v_lshlrev_b64 v[9:10], 3, v[5:6]
	v_mov_b32_e32 v11, 0
	s_waitcnt lgkmcnt(0)
	s_delay_alu instid0(VALU_DEP_3) | instskip(NEXT) | instid1(VALU_DEP_4)
	v_add_co_u32 v7, vcc_lo, s18, v7
	v_add_co_ci_u32_e32 v8, vcc_lo, s19, v8, vcc_lo
	s_delay_alu instid0(VALU_DEP_4)
	v_add_co_u32 v9, vcc_lo, s16, v9
	v_add_co_ci_u32_e32 v10, vcc_lo, s17, v10, vcc_lo
	.p2align	6
.LBB22_8:                               ; =>This Inner Loop Header: Depth=1
	global_load_b64 v[12:13], v[9:10], off
	global_load_b32 v14, v[7:8], off
	v_add_co_u32 v9, s0, 0x100, v9
	s_delay_alu instid0(VALU_DEP_1) | instskip(SKIP_3) | instid1(VALU_DEP_1)
	v_add_co_ci_u32_e64 v10, s0, 0, v10, s0
	s_waitcnt vmcnt(1)
	v_sub_co_u32 v12, vcc_lo, v12, s4
	v_subrev_co_ci_u32_e32 v13, vcc_lo, 0, v13, vcc_lo
	v_lshlrev_b64 v[12:13], 2, v[12:13]
	s_delay_alu instid0(VALU_DEP_1) | instskip(NEXT) | instid1(VALU_DEP_2)
	v_add_co_u32 v12, vcc_lo, s12, v12
	v_add_co_ci_u32_e32 v13, vcc_lo, s13, v13, vcc_lo
	v_add_co_u32 v5, vcc_lo, v5, 32
	v_add_co_ci_u32_e32 v6, vcc_lo, 0, v6, vcc_lo
	global_load_b32 v12, v[12:13], off
	v_add_co_u32 v7, vcc_lo, 0x80, v7
	s_waitcnt vmcnt(1)
	v_mul_f32_e32 v13, s6, v14
	v_add_co_ci_u32_e32 v8, vcc_lo, 0, v8, vcc_lo
	v_cmp_ge_i64_e32 vcc_lo, v[5:6], v[3:4]
	s_or_b32 s11, vcc_lo, s11
	s_waitcnt vmcnt(0)
	v_fmac_f32_e32 v11, v13, v12
	s_and_not1_b32 exec_lo, exec_lo, s11
	s_cbranch_execnz .LBB22_8
; %bb.9:
	s_or_b32 exec_lo, exec_lo, s11
.LBB22_10:
	s_delay_alu instid0(SALU_CYCLE_1) | instskip(SKIP_1) | instid1(VALU_DEP_1)
	s_or_b32 exec_lo, exec_lo, s3
	v_mbcnt_lo_u32_b32 v3, -1, 0
	v_xor_b32_e32 v4, 16, v3
	v_xor_b32_e32 v5, 8, v3
	;; [unrolled: 1-line block ×3, first 2 shown]
	s_delay_alu instid0(VALU_DEP_3) | instskip(SKIP_1) | instid1(VALU_DEP_4)
	v_cmp_gt_i32_e32 vcc_lo, 32, v4
	v_cndmask_b32_e32 v4, v3, v4, vcc_lo
	v_cmp_gt_i32_e32 vcc_lo, 32, v5
	v_cndmask_b32_e32 v5, v3, v5, vcc_lo
	;; [unrolled: 2-line block ×3, first 2 shown]
	s_delay_alu instid0(VALU_DEP_1) | instskip(NEXT) | instid1(VALU_DEP_4)
	v_lshlrev_b32_e32 v6, 2, v6
	v_lshlrev_b32_e32 v5, 2, v5
	;; [unrolled: 1-line block ×3, first 2 shown]
	ds_bpermute_b32 v4, v4, v11
	s_waitcnt lgkmcnt(0)
	v_add_f32_e32 v4, v11, v4
	ds_bpermute_b32 v5, v5, v4
	s_waitcnt lgkmcnt(0)
	v_add_f32_e32 v4, v4, v5
	ds_bpermute_b32 v5, v6, v4
	v_xor_b32_e32 v6, 2, v3
	s_delay_alu instid0(VALU_DEP_1) | instskip(SKIP_1) | instid1(VALU_DEP_1)
	v_cmp_gt_i32_e32 vcc_lo, 32, v6
	v_cndmask_b32_e32 v6, v3, v6, vcc_lo
	v_lshlrev_b32_e32 v6, 2, v6
	s_waitcnt lgkmcnt(0)
	v_add_f32_e32 v4, v4, v5
	ds_bpermute_b32 v5, v6, v4
	v_xor_b32_e32 v6, 1, v3
	s_delay_alu instid0(VALU_DEP_1) | instskip(SKIP_3) | instid1(VALU_DEP_2)
	v_cmp_gt_i32_e32 vcc_lo, 32, v6
	v_cndmask_b32_e32 v6, v3, v6, vcc_lo
	v_cmp_eq_u32_e32 vcc_lo, 31, v0
	s_waitcnt lgkmcnt(0)
	v_dual_add_f32 v3, v4, v5 :: v_dual_lshlrev_b32 v4, 2, v6
	ds_bpermute_b32 v4, v4, v3
	s_and_b32 exec_lo, exec_lo, vcc_lo
	s_cbranch_execz .LBB22_14
; %bb.11:
	v_cmp_eq_f32_e64 s0, s2, 0
	v_lshlrev_b64 v[0:1], 2, v[1:2]
	s_waitcnt lgkmcnt(0)
	v_add_f32_e32 v3, v3, v4
	s_delay_alu instid0(VALU_DEP_3)
	s_and_b32 vcc_lo, exec_lo, s0
	s_cbranch_vccnz .LBB22_13
; %bb.12:
	s_delay_alu instid0(VALU_DEP_2)
	v_add_co_u32 v4, vcc_lo, s8, v0
	v_add_co_ci_u32_e32 v5, vcc_lo, s9, v1, vcc_lo
	global_load_b32 v2, v[4:5], off
	s_waitcnt vmcnt(0)
	v_fmac_f32_e32 v3, s2, v2
.LBB22_13:
	s_delay_alu instid0(VALU_DEP_2)
	v_add_co_u32 v0, vcc_lo, s8, v0
	v_add_co_ci_u32_e32 v1, vcc_lo, s9, v1, vcc_lo
	global_store_b32 v[0:1], v3, off
.LBB22_14:
	s_nop 0
	s_sendmsg sendmsg(MSG_DEALLOC_VGPRS)
	s_endpgm
	.section	.rodata,"a",@progbits
	.p2align	6, 0x0
	.amdhsa_kernel _ZN9rocsparseL41csrmvn_lrb_medium_rows_warp_reduce_kernelILj256ELj32EllffffEEvbT1_lPT2_S3_jNS_24const_host_device_scalarIT6_EEPKS1_PKS2_PKT3_PKT4_S6_PT5_21rocsparse_index_base_b
		.amdhsa_group_segment_fixed_size 0
		.amdhsa_private_segment_fixed_size 0
		.amdhsa_kernarg_size 112
		.amdhsa_user_sgpr_count 15
		.amdhsa_user_sgpr_dispatch_ptr 0
		.amdhsa_user_sgpr_queue_ptr 0
		.amdhsa_user_sgpr_kernarg_segment_ptr 1
		.amdhsa_user_sgpr_dispatch_id 0
		.amdhsa_user_sgpr_private_segment_size 0
		.amdhsa_wavefront_size32 1
		.amdhsa_uses_dynamic_stack 0
		.amdhsa_enable_private_segment 0
		.amdhsa_system_sgpr_workgroup_id_x 1
		.amdhsa_system_sgpr_workgroup_id_y 0
		.amdhsa_system_sgpr_workgroup_id_z 0
		.amdhsa_system_sgpr_workgroup_info 0
		.amdhsa_system_vgpr_workitem_id 0
		.amdhsa_next_free_vgpr 15
		.amdhsa_next_free_sgpr 20
		.amdhsa_reserve_vcc 1
		.amdhsa_float_round_mode_32 0
		.amdhsa_float_round_mode_16_64 0
		.amdhsa_float_denorm_mode_32 3
		.amdhsa_float_denorm_mode_16_64 3
		.amdhsa_dx10_clamp 1
		.amdhsa_ieee_mode 1
		.amdhsa_fp16_overflow 0
		.amdhsa_workgroup_processor_mode 1
		.amdhsa_memory_ordered 1
		.amdhsa_forward_progress 0
		.amdhsa_shared_vgpr_count 0
		.amdhsa_exception_fp_ieee_invalid_op 0
		.amdhsa_exception_fp_denorm_src 0
		.amdhsa_exception_fp_ieee_div_zero 0
		.amdhsa_exception_fp_ieee_overflow 0
		.amdhsa_exception_fp_ieee_underflow 0
		.amdhsa_exception_fp_ieee_inexact 0
		.amdhsa_exception_int_div_zero 0
	.end_amdhsa_kernel
	.section	.text._ZN9rocsparseL41csrmvn_lrb_medium_rows_warp_reduce_kernelILj256ELj32EllffffEEvbT1_lPT2_S3_jNS_24const_host_device_scalarIT6_EEPKS1_PKS2_PKT3_PKT4_S6_PT5_21rocsparse_index_base_b,"axG",@progbits,_ZN9rocsparseL41csrmvn_lrb_medium_rows_warp_reduce_kernelILj256ELj32EllffffEEvbT1_lPT2_S3_jNS_24const_host_device_scalarIT6_EEPKS1_PKS2_PKT3_PKT4_S6_PT5_21rocsparse_index_base_b,comdat
.Lfunc_end22:
	.size	_ZN9rocsparseL41csrmvn_lrb_medium_rows_warp_reduce_kernelILj256ELj32EllffffEEvbT1_lPT2_S3_jNS_24const_host_device_scalarIT6_EEPKS1_PKS2_PKT3_PKT4_S6_PT5_21rocsparse_index_base_b, .Lfunc_end22-_ZN9rocsparseL41csrmvn_lrb_medium_rows_warp_reduce_kernelILj256ELj32EllffffEEvbT1_lPT2_S3_jNS_24const_host_device_scalarIT6_EEPKS1_PKS2_PKT3_PKT4_S6_PT5_21rocsparse_index_base_b
                                        ; -- End function
	.section	.AMDGPU.csdata,"",@progbits
; Kernel info:
; codeLenInByte = 920
; NumSgprs: 22
; NumVgprs: 15
; ScratchSize: 0
; MemoryBound: 0
; FloatMode: 240
; IeeeMode: 1
; LDSByteSize: 0 bytes/workgroup (compile time only)
; SGPRBlocks: 2
; VGPRBlocks: 1
; NumSGPRsForWavesPerEU: 22
; NumVGPRsForWavesPerEU: 15
; Occupancy: 16
; WaveLimiterHint : 1
; COMPUTE_PGM_RSRC2:SCRATCH_EN: 0
; COMPUTE_PGM_RSRC2:USER_SGPR: 15
; COMPUTE_PGM_RSRC2:TRAP_HANDLER: 0
; COMPUTE_PGM_RSRC2:TGID_X_EN: 1
; COMPUTE_PGM_RSRC2:TGID_Y_EN: 0
; COMPUTE_PGM_RSRC2:TGID_Z_EN: 0
; COMPUTE_PGM_RSRC2:TIDIG_COMP_CNT: 0
	.section	.text._ZN9rocsparseL41csrmvn_lrb_medium_rows_warp_reduce_kernelILj256ELj64EllffffEEvbT1_lPT2_S3_jNS_24const_host_device_scalarIT6_EEPKS1_PKS2_PKT3_PKT4_S6_PT5_21rocsparse_index_base_b,"axG",@progbits,_ZN9rocsparseL41csrmvn_lrb_medium_rows_warp_reduce_kernelILj256ELj64EllffffEEvbT1_lPT2_S3_jNS_24const_host_device_scalarIT6_EEPKS1_PKS2_PKT3_PKT4_S6_PT5_21rocsparse_index_base_b,comdat
	.globl	_ZN9rocsparseL41csrmvn_lrb_medium_rows_warp_reduce_kernelILj256ELj64EllffffEEvbT1_lPT2_S3_jNS_24const_host_device_scalarIT6_EEPKS1_PKS2_PKT3_PKT4_S6_PT5_21rocsparse_index_base_b ; -- Begin function _ZN9rocsparseL41csrmvn_lrb_medium_rows_warp_reduce_kernelILj256ELj64EllffffEEvbT1_lPT2_S3_jNS_24const_host_device_scalarIT6_EEPKS1_PKS2_PKT3_PKT4_S6_PT5_21rocsparse_index_base_b
	.p2align	8
	.type	_ZN9rocsparseL41csrmvn_lrb_medium_rows_warp_reduce_kernelILj256ELj64EllffffEEvbT1_lPT2_S3_jNS_24const_host_device_scalarIT6_EEPKS1_PKS2_PKT3_PKT4_S6_PT5_21rocsparse_index_base_b,@function
_ZN9rocsparseL41csrmvn_lrb_medium_rows_warp_reduce_kernelILj256ELj64EllffffEEvbT1_lPT2_S3_jNS_24const_host_device_scalarIT6_EEPKS1_PKS2_PKT3_PKT4_S6_PT5_21rocsparse_index_base_b: ; @_ZN9rocsparseL41csrmvn_lrb_medium_rows_warp_reduce_kernelILj256ELj64EllffffEEvbT1_lPT2_S3_jNS_24const_host_device_scalarIT6_EEPKS1_PKS2_PKT3_PKT4_S6_PT5_21rocsparse_index_base_b
; %bb.0:
	s_clause 0x2
	s_load_b64 s[4:5], s[0:1], 0x68
	s_load_b64 s[6:7], s[0:1], 0x30
	;; [unrolled: 1-line block ×3, first 2 shown]
	s_waitcnt lgkmcnt(0)
	s_bitcmp1_b32 s5, 0
	s_cselect_b32 s5, -1, 0
	s_delay_alu instid0(SALU_CYCLE_1)
	s_and_b32 vcc_lo, exec_lo, s5
	s_xor_b32 s5, s5, -1
	s_cbranch_vccnz .LBB23_2
; %bb.1:
	s_load_b32 s6, s[6:7], 0x0
.LBB23_2:
	s_and_not1_b32 vcc_lo, exec_lo, s5
	s_cbranch_vccnz .LBB23_4
; %bb.3:
	s_load_b32 s2, s[2:3], 0x0
.LBB23_4:
	s_waitcnt lgkmcnt(0)
	v_cmp_neq_f32_e64 s3, s6, 0
	v_cmp_neq_f32_e64 s5, s2, 1.0
	s_delay_alu instid0(VALU_DEP_1) | instskip(NEXT) | instid1(SALU_CYCLE_1)
	s_or_b32 s3, s3, s5
	s_and_not1_b32 vcc_lo, exec_lo, s3
	s_cbranch_vccnz .LBB23_14
; %bb.5:
	s_load_b64 s[8:9], s[0:1], 0x10
	v_lshrrev_b32_e32 v1, 6, v0
	s_mov_b32 s3, exec_lo
	s_delay_alu instid0(VALU_DEP_1) | instskip(NEXT) | instid1(VALU_DEP_1)
	v_lshl_or_b32 v1, s15, 2, v1
	v_ashrrev_i32_e32 v2, 31, v1
	s_waitcnt lgkmcnt(0)
	s_delay_alu instid0(VALU_DEP_1)
	v_cmpx_gt_i64_e64 s[8:9], v[1:2]
	s_cbranch_execz .LBB23_14
; %bb.6:
	s_clause 0x1
	s_load_b32 s10, s[0:1], 0x28
	s_load_b128 s[12:15], s[0:1], 0x18
	s_mov_b32 s11, 0
	v_lshlrev_b64 v[1:2], 3, v[1:2]
	v_dual_mov_b32 v11, 0 :: v_dual_and_b32 v0, 63, v0
	s_waitcnt lgkmcnt(0)
	s_lshl_b64 s[8:9], s[10:11], 3
	s_delay_alu instid0(SALU_CYCLE_1) | instskip(SKIP_4) | instid1(SALU_CYCLE_1)
	s_add_u32 s8, s14, s8
	s_addc_u32 s9, s15, s9
	s_load_b64 s[8:9], s[8:9], 0x0
	s_waitcnt lgkmcnt(0)
	s_lshl_b64 s[8:9], s[8:9], 3
	s_add_u32 s3, s12, s8
	s_addc_u32 s5, s13, s9
	v_add_co_u32 v1, vcc_lo, s3, v1
	v_add_co_ci_u32_e32 v2, vcc_lo, s5, v2, vcc_lo
	s_load_b64 s[8:9], s[0:1], 0x38
	v_sub_co_u32 v9, s3, v0, s4
	global_load_b64 v[1:2], v[1:2], off
	v_sub_co_ci_u32_e64 v10, null, 0, 0, s3
	s_mov_b32 s3, exec_lo
	s_waitcnt vmcnt(0)
	v_lshlrev_b64 v[3:4], 3, v[1:2]
	s_waitcnt lgkmcnt(0)
	s_delay_alu instid0(VALU_DEP_1) | instskip(NEXT) | instid1(VALU_DEP_2)
	v_add_co_u32 v3, vcc_lo, s8, v3
	v_add_co_ci_u32_e32 v4, vcc_lo, s9, v4, vcc_lo
	s_load_b64 s[8:9], s[0:1], 0x60
	global_load_b128 v[5:8], v[3:4], off
	s_waitcnt vmcnt(0)
	v_sub_co_u32 v3, vcc_lo, v7, s4
	v_subrev_co_ci_u32_e32 v4, vcc_lo, 0, v8, vcc_lo
	v_add_co_u32 v5, vcc_lo, v5, v9
	v_add_co_ci_u32_e32 v6, vcc_lo, v6, v10, vcc_lo
	s_delay_alu instid0(VALU_DEP_1)
	v_cmpx_lt_i64_e64 v[5:6], v[3:4]
	s_cbranch_execz .LBB23_10
; %bb.7:
	s_clause 0x1
	s_load_b128 s[16:19], s[0:1], 0x40
	s_load_b64 s[12:13], s[0:1], 0x50
	v_lshlrev_b64 v[7:8], 2, v[5:6]
	v_lshlrev_b64 v[9:10], 3, v[5:6]
	v_mov_b32_e32 v11, 0
	s_waitcnt lgkmcnt(0)
	s_delay_alu instid0(VALU_DEP_3) | instskip(NEXT) | instid1(VALU_DEP_4)
	v_add_co_u32 v7, vcc_lo, s18, v7
	v_add_co_ci_u32_e32 v8, vcc_lo, s19, v8, vcc_lo
	s_delay_alu instid0(VALU_DEP_4)
	v_add_co_u32 v9, vcc_lo, s16, v9
	v_add_co_ci_u32_e32 v10, vcc_lo, s17, v10, vcc_lo
	.p2align	6
.LBB23_8:                               ; =>This Inner Loop Header: Depth=1
	global_load_b64 v[12:13], v[9:10], off
	global_load_b32 v14, v[7:8], off
	v_add_co_u32 v9, s0, 0x200, v9
	s_delay_alu instid0(VALU_DEP_1) | instskip(SKIP_3) | instid1(VALU_DEP_1)
	v_add_co_ci_u32_e64 v10, s0, 0, v10, s0
	s_waitcnt vmcnt(1)
	v_sub_co_u32 v12, vcc_lo, v12, s4
	v_subrev_co_ci_u32_e32 v13, vcc_lo, 0, v13, vcc_lo
	v_lshlrev_b64 v[12:13], 2, v[12:13]
	s_delay_alu instid0(VALU_DEP_1) | instskip(NEXT) | instid1(VALU_DEP_2)
	v_add_co_u32 v12, vcc_lo, s12, v12
	v_add_co_ci_u32_e32 v13, vcc_lo, s13, v13, vcc_lo
	v_add_co_u32 v5, vcc_lo, v5, 64
	v_add_co_ci_u32_e32 v6, vcc_lo, 0, v6, vcc_lo
	global_load_b32 v12, v[12:13], off
	v_add_co_u32 v7, vcc_lo, 0x100, v7
	s_waitcnt vmcnt(1)
	v_mul_f32_e32 v13, s6, v14
	v_add_co_ci_u32_e32 v8, vcc_lo, 0, v8, vcc_lo
	v_cmp_ge_i64_e32 vcc_lo, v[5:6], v[3:4]
	s_or_b32 s11, vcc_lo, s11
	s_waitcnt vmcnt(0)
	v_fmac_f32_e32 v11, v13, v12
	s_and_not1_b32 exec_lo, exec_lo, s11
	s_cbranch_execnz .LBB23_8
; %bb.9:
	s_or_b32 exec_lo, exec_lo, s11
.LBB23_10:
	s_delay_alu instid0(SALU_CYCLE_1) | instskip(SKIP_1) | instid1(VALU_DEP_1)
	s_or_b32 exec_lo, exec_lo, s3
	v_mbcnt_lo_u32_b32 v3, -1, 0
	v_or_b32_e32 v4, 32, v3
	v_xor_b32_e32 v5, 16, v3
	v_xor_b32_e32 v6, 8, v3
	s_delay_alu instid0(VALU_DEP_3) | instskip(SKIP_1) | instid1(VALU_DEP_4)
	v_cmp_gt_i32_e32 vcc_lo, 32, v4
	v_cndmask_b32_e32 v4, v3, v4, vcc_lo
	v_cmp_gt_i32_e32 vcc_lo, 32, v5
	v_cndmask_b32_e32 v5, v3, v5, vcc_lo
	;; [unrolled: 2-line block ×3, first 2 shown]
	s_delay_alu instid0(VALU_DEP_1) | instskip(NEXT) | instid1(VALU_DEP_4)
	v_lshlrev_b32_e32 v6, 2, v6
	v_lshlrev_b32_e32 v5, 2, v5
	;; [unrolled: 1-line block ×3, first 2 shown]
	ds_bpermute_b32 v4, v4, v11
	s_waitcnt lgkmcnt(0)
	v_add_f32_e32 v4, v11, v4
	ds_bpermute_b32 v5, v5, v4
	s_waitcnt lgkmcnt(0)
	v_add_f32_e32 v4, v4, v5
	ds_bpermute_b32 v5, v6, v4
	v_xor_b32_e32 v6, 4, v3
	s_delay_alu instid0(VALU_DEP_1) | instskip(SKIP_1) | instid1(VALU_DEP_1)
	v_cmp_gt_i32_e32 vcc_lo, 32, v6
	v_cndmask_b32_e32 v6, v3, v6, vcc_lo
	v_lshlrev_b32_e32 v6, 2, v6
	s_waitcnt lgkmcnt(0)
	v_add_f32_e32 v4, v4, v5
	ds_bpermute_b32 v5, v6, v4
	v_xor_b32_e32 v6, 2, v3
	s_delay_alu instid0(VALU_DEP_1) | instskip(SKIP_1) | instid1(VALU_DEP_1)
	v_cmp_gt_i32_e32 vcc_lo, 32, v6
	v_cndmask_b32_e32 v6, v3, v6, vcc_lo
	v_lshlrev_b32_e32 v6, 2, v6
	s_waitcnt lgkmcnt(0)
	v_add_f32_e32 v4, v4, v5
	ds_bpermute_b32 v5, v6, v4
	v_xor_b32_e32 v6, 1, v3
	s_delay_alu instid0(VALU_DEP_1) | instskip(SKIP_3) | instid1(VALU_DEP_2)
	v_cmp_gt_i32_e32 vcc_lo, 32, v6
	v_cndmask_b32_e32 v6, v3, v6, vcc_lo
	v_cmp_eq_u32_e32 vcc_lo, 63, v0
	s_waitcnt lgkmcnt(0)
	v_dual_add_f32 v3, v4, v5 :: v_dual_lshlrev_b32 v4, 2, v6
	ds_bpermute_b32 v4, v4, v3
	s_and_b32 exec_lo, exec_lo, vcc_lo
	s_cbranch_execz .LBB23_14
; %bb.11:
	v_cmp_eq_f32_e64 s0, s2, 0
	v_lshlrev_b64 v[0:1], 2, v[1:2]
	s_waitcnt lgkmcnt(0)
	v_add_f32_e32 v3, v3, v4
	s_delay_alu instid0(VALU_DEP_3)
	s_and_b32 vcc_lo, exec_lo, s0
	s_cbranch_vccnz .LBB23_13
; %bb.12:
	s_delay_alu instid0(VALU_DEP_2)
	v_add_co_u32 v4, vcc_lo, s8, v0
	v_add_co_ci_u32_e32 v5, vcc_lo, s9, v1, vcc_lo
	global_load_b32 v2, v[4:5], off
	s_waitcnt vmcnt(0)
	v_fmac_f32_e32 v3, s2, v2
.LBB23_13:
	s_delay_alu instid0(VALU_DEP_2)
	v_add_co_u32 v0, vcc_lo, s8, v0
	v_add_co_ci_u32_e32 v1, vcc_lo, s9, v1, vcc_lo
	global_store_b32 v[0:1], v3, off
.LBB23_14:
	s_nop 0
	s_sendmsg sendmsg(MSG_DEALLOC_VGPRS)
	s_endpgm
	.section	.rodata,"a",@progbits
	.p2align	6, 0x0
	.amdhsa_kernel _ZN9rocsparseL41csrmvn_lrb_medium_rows_warp_reduce_kernelILj256ELj64EllffffEEvbT1_lPT2_S3_jNS_24const_host_device_scalarIT6_EEPKS1_PKS2_PKT3_PKT4_S6_PT5_21rocsparse_index_base_b
		.amdhsa_group_segment_fixed_size 0
		.amdhsa_private_segment_fixed_size 0
		.amdhsa_kernarg_size 112
		.amdhsa_user_sgpr_count 15
		.amdhsa_user_sgpr_dispatch_ptr 0
		.amdhsa_user_sgpr_queue_ptr 0
		.amdhsa_user_sgpr_kernarg_segment_ptr 1
		.amdhsa_user_sgpr_dispatch_id 0
		.amdhsa_user_sgpr_private_segment_size 0
		.amdhsa_wavefront_size32 1
		.amdhsa_uses_dynamic_stack 0
		.amdhsa_enable_private_segment 0
		.amdhsa_system_sgpr_workgroup_id_x 1
		.amdhsa_system_sgpr_workgroup_id_y 0
		.amdhsa_system_sgpr_workgroup_id_z 0
		.amdhsa_system_sgpr_workgroup_info 0
		.amdhsa_system_vgpr_workitem_id 0
		.amdhsa_next_free_vgpr 15
		.amdhsa_next_free_sgpr 20
		.amdhsa_reserve_vcc 1
		.amdhsa_float_round_mode_32 0
		.amdhsa_float_round_mode_16_64 0
		.amdhsa_float_denorm_mode_32 3
		.amdhsa_float_denorm_mode_16_64 3
		.amdhsa_dx10_clamp 1
		.amdhsa_ieee_mode 1
		.amdhsa_fp16_overflow 0
		.amdhsa_workgroup_processor_mode 1
		.amdhsa_memory_ordered 1
		.amdhsa_forward_progress 0
		.amdhsa_shared_vgpr_count 0
		.amdhsa_exception_fp_ieee_invalid_op 0
		.amdhsa_exception_fp_denorm_src 0
		.amdhsa_exception_fp_ieee_div_zero 0
		.amdhsa_exception_fp_ieee_overflow 0
		.amdhsa_exception_fp_ieee_underflow 0
		.amdhsa_exception_fp_ieee_inexact 0
		.amdhsa_exception_int_div_zero 0
	.end_amdhsa_kernel
	.section	.text._ZN9rocsparseL41csrmvn_lrb_medium_rows_warp_reduce_kernelILj256ELj64EllffffEEvbT1_lPT2_S3_jNS_24const_host_device_scalarIT6_EEPKS1_PKS2_PKT3_PKT4_S6_PT5_21rocsparse_index_base_b,"axG",@progbits,_ZN9rocsparseL41csrmvn_lrb_medium_rows_warp_reduce_kernelILj256ELj64EllffffEEvbT1_lPT2_S3_jNS_24const_host_device_scalarIT6_EEPKS1_PKS2_PKT3_PKT4_S6_PT5_21rocsparse_index_base_b,comdat
.Lfunc_end23:
	.size	_ZN9rocsparseL41csrmvn_lrb_medium_rows_warp_reduce_kernelILj256ELj64EllffffEEvbT1_lPT2_S3_jNS_24const_host_device_scalarIT6_EEPKS1_PKS2_PKT3_PKT4_S6_PT5_21rocsparse_index_base_b, .Lfunc_end23-_ZN9rocsparseL41csrmvn_lrb_medium_rows_warp_reduce_kernelILj256ELj64EllffffEEvbT1_lPT2_S3_jNS_24const_host_device_scalarIT6_EEPKS1_PKS2_PKT3_PKT4_S6_PT5_21rocsparse_index_base_b
                                        ; -- End function
	.section	.AMDGPU.csdata,"",@progbits
; Kernel info:
; codeLenInByte = 956
; NumSgprs: 22
; NumVgprs: 15
; ScratchSize: 0
; MemoryBound: 0
; FloatMode: 240
; IeeeMode: 1
; LDSByteSize: 0 bytes/workgroup (compile time only)
; SGPRBlocks: 2
; VGPRBlocks: 1
; NumSGPRsForWavesPerEU: 22
; NumVGPRsForWavesPerEU: 15
; Occupancy: 16
; WaveLimiterHint : 1
; COMPUTE_PGM_RSRC2:SCRATCH_EN: 0
; COMPUTE_PGM_RSRC2:USER_SGPR: 15
; COMPUTE_PGM_RSRC2:TRAP_HANDLER: 0
; COMPUTE_PGM_RSRC2:TGID_X_EN: 1
; COMPUTE_PGM_RSRC2:TGID_Y_EN: 0
; COMPUTE_PGM_RSRC2:TGID_Z_EN: 0
; COMPUTE_PGM_RSRC2:TIDIG_COMP_CNT: 0
	.section	.text._ZN9rocsparseL29csrmvn_lrb_medium_rows_kernelILj256EllffffEEvbT0_PT1_S3_jNS_24const_host_device_scalarIT5_EEPKS1_PKS2_PKT2_PKT3_S6_PT4_21rocsparse_index_base_b,"axG",@progbits,_ZN9rocsparseL29csrmvn_lrb_medium_rows_kernelILj256EllffffEEvbT0_PT1_S3_jNS_24const_host_device_scalarIT5_EEPKS1_PKS2_PKT2_PKT3_S6_PT4_21rocsparse_index_base_b,comdat
	.globl	_ZN9rocsparseL29csrmvn_lrb_medium_rows_kernelILj256EllffffEEvbT0_PT1_S3_jNS_24const_host_device_scalarIT5_EEPKS1_PKS2_PKT2_PKT3_S6_PT4_21rocsparse_index_base_b ; -- Begin function _ZN9rocsparseL29csrmvn_lrb_medium_rows_kernelILj256EllffffEEvbT0_PT1_S3_jNS_24const_host_device_scalarIT5_EEPKS1_PKS2_PKT2_PKT3_S6_PT4_21rocsparse_index_base_b
	.p2align	8
	.type	_ZN9rocsparseL29csrmvn_lrb_medium_rows_kernelILj256EllffffEEvbT0_PT1_S3_jNS_24const_host_device_scalarIT5_EEPKS1_PKS2_PKT2_PKT3_S6_PT4_21rocsparse_index_base_b,@function
_ZN9rocsparseL29csrmvn_lrb_medium_rows_kernelILj256EllffffEEvbT0_PT1_S3_jNS_24const_host_device_scalarIT5_EEPKS1_PKS2_PKT2_PKT3_S6_PT4_21rocsparse_index_base_b: ; @_ZN9rocsparseL29csrmvn_lrb_medium_rows_kernelILj256EllffffEEvbT0_PT1_S3_jNS_24const_host_device_scalarIT5_EEPKS1_PKS2_PKT2_PKT3_S6_PT4_21rocsparse_index_base_b
; %bb.0:
	s_clause 0x2
	s_load_b64 s[8:9], s[0:1], 0x60
	s_load_b64 s[10:11], s[0:1], 0x28
	;; [unrolled: 1-line block ×3, first 2 shown]
	s_mov_b32 s4, s15
	s_waitcnt lgkmcnt(0)
	s_bitcmp1_b32 s9, 0
	s_cselect_b32 s5, -1, 0
	s_delay_alu instid0(SALU_CYCLE_1)
	s_and_b32 vcc_lo, exec_lo, s5
	s_xor_b32 s5, s5, -1
	s_cbranch_vccnz .LBB24_2
; %bb.1:
	s_load_b32 s10, s[10:11], 0x0
.LBB24_2:
	s_and_not1_b32 vcc_lo, exec_lo, s5
	s_cbranch_vccnz .LBB24_4
; %bb.3:
	s_load_b32 s2, s[2:3], 0x0
.LBB24_4:
	s_waitcnt lgkmcnt(0)
	v_cmp_neq_f32_e64 s3, s10, 0
	v_cmp_neq_f32_e64 s5, s2, 1.0
	s_mov_b32 s7, 0
	s_delay_alu instid0(VALU_DEP_1) | instskip(NEXT) | instid1(SALU_CYCLE_1)
	s_or_b32 s3, s3, s5
	s_and_not1_b32 vcc_lo, exec_lo, s3
	s_cbranch_vccnz .LBB24_29
; %bb.5:
	s_clause 0x1
	s_load_b32 s6, s[0:1], 0x20
	s_load_b128 s[12:15], s[0:1], 0x10
	v_mov_b32_e32 v7, 0
	s_waitcnt lgkmcnt(0)
	s_lshl_b64 s[6:7], s[6:7], 3
	s_delay_alu instid0(SALU_CYCLE_1)
	s_add_u32 s6, s14, s6
	s_addc_u32 s7, s15, s7
	s_ashr_i32 s5, s4, 31
	s_load_b64 s[6:7], s[6:7], 0x0
	s_waitcnt lgkmcnt(0)
	s_lshl_b64 s[6:7], s[6:7], 3
	s_delay_alu instid0(SALU_CYCLE_1) | instskip(SKIP_2) | instid1(SALU_CYCLE_1)
	s_add_u32 s3, s12, s6
	s_addc_u32 s6, s13, s7
	s_lshl_b64 s[4:5], s[4:5], 3
	s_add_u32 s4, s3, s4
	s_addc_u32 s5, s6, s5
	s_load_b64 s[4:5], s[4:5], 0x0
	s_load_b64 s[6:7], s[0:1], 0x30
	v_sub_co_u32 v1, s3, v0, s8
	s_delay_alu instid0(VALU_DEP_1) | instskip(SKIP_3) | instid1(SALU_CYCLE_1)
	v_sub_co_ci_u32_e64 v2, null, 0, 0, s3
	s_mov_b32 s3, exec_lo
	s_waitcnt lgkmcnt(0)
	s_lshl_b64 s[12:13], s[4:5], 3
	s_add_u32 s6, s6, s12
	s_addc_u32 s7, s7, s13
	s_load_b128 s[12:15], s[6:7], 0x0
	s_load_b64 s[6:7], s[0:1], 0x58
	s_waitcnt lgkmcnt(0)
	v_add_co_u32 v1, vcc_lo, s12, v1
	v_add_co_ci_u32_e32 v2, vcc_lo, s13, v2, vcc_lo
	s_sub_u32 s12, s14, s8
	s_subb_u32 s13, s15, 0
	s_delay_alu instid0(VALU_DEP_1) | instid1(SALU_CYCLE_1)
	v_cmpx_gt_i64_e64 s[12:13], v[1:2]
	s_cbranch_execz .LBB24_9
; %bb.6:
	s_clause 0x1
	s_load_b128 s[16:19], s[0:1], 0x38
	s_load_b64 s[14:15], s[0:1], 0x48
	v_lshlrev_b64 v[3:4], 2, v[1:2]
	v_lshlrev_b64 v[5:6], 3, v[1:2]
	v_mov_b32_e32 v7, 0
	s_mov_b32 s1, 0
	s_waitcnt lgkmcnt(0)
	s_delay_alu instid0(VALU_DEP_3)
	v_add_co_u32 v3, vcc_lo, s18, v3
	v_add_co_ci_u32_e32 v4, vcc_lo, s19, v4, vcc_lo
	v_add_co_u32 v5, vcc_lo, s16, v5
	v_add_co_ci_u32_e32 v6, vcc_lo, s17, v6, vcc_lo
	s_set_inst_prefetch_distance 0x1
	.p2align	6
.LBB24_7:                               ; =>This Inner Loop Header: Depth=1
	global_load_b64 v[8:9], v[5:6], off
	global_load_b32 v10, v[3:4], off
	v_add_co_u32 v5, s0, 0x800, v5
	s_delay_alu instid0(VALU_DEP_1) | instskip(SKIP_3) | instid1(VALU_DEP_1)
	v_add_co_ci_u32_e64 v6, s0, 0, v6, s0
	s_waitcnt vmcnt(1)
	v_sub_co_u32 v8, vcc_lo, v8, s8
	v_subrev_co_ci_u32_e32 v9, vcc_lo, 0, v9, vcc_lo
	v_lshlrev_b64 v[8:9], 2, v[8:9]
	s_delay_alu instid0(VALU_DEP_1) | instskip(NEXT) | instid1(VALU_DEP_2)
	v_add_co_u32 v8, vcc_lo, s14, v8
	v_add_co_ci_u32_e32 v9, vcc_lo, s15, v9, vcc_lo
	v_add_co_u32 v1, vcc_lo, 0x100, v1
	v_add_co_ci_u32_e32 v2, vcc_lo, 0, v2, vcc_lo
	global_load_b32 v8, v[8:9], off
	v_add_co_u32 v3, vcc_lo, 0x400, v3
	s_waitcnt vmcnt(1)
	v_mul_f32_e32 v9, s10, v10
	v_add_co_ci_u32_e32 v4, vcc_lo, 0, v4, vcc_lo
	v_cmp_le_i64_e32 vcc_lo, s[12:13], v[1:2]
	s_or_b32 s1, vcc_lo, s1
	s_waitcnt vmcnt(0)
	v_fmac_f32_e32 v7, v9, v8
	s_and_not1_b32 exec_lo, exec_lo, s1
	s_cbranch_execnz .LBB24_7
; %bb.8:
	s_set_inst_prefetch_distance 0x2
	s_or_b32 exec_lo, exec_lo, s1
.LBB24_9:
	s_delay_alu instid0(SALU_CYCLE_1)
	s_or_b32 exec_lo, exec_lo, s3
	v_lshlrev_b32_e32 v1, 2, v0
	s_mov_b32 s0, exec_lo
	ds_store_b32 v1, v7
	s_waitcnt lgkmcnt(0)
	s_barrier
	buffer_gl0_inv
	v_cmpx_gt_u32_e32 0x80, v0
	s_cbranch_execz .LBB24_11
; %bb.10:
	ds_load_2addr_stride64_b32 v[2:3], v1 offset1:2
	s_waitcnt lgkmcnt(0)
	v_add_f32_e32 v2, v2, v3
	ds_store_b32 v1, v2
.LBB24_11:
	s_or_b32 exec_lo, exec_lo, s0
	s_delay_alu instid0(SALU_CYCLE_1)
	s_mov_b32 s0, exec_lo
	s_waitcnt lgkmcnt(0)
	s_barrier
	buffer_gl0_inv
	v_cmpx_gt_u32_e32 64, v0
	s_cbranch_execz .LBB24_13
; %bb.12:
	ds_load_2addr_stride64_b32 v[2:3], v1 offset1:1
	s_waitcnt lgkmcnt(0)
	v_add_f32_e32 v2, v2, v3
	ds_store_b32 v1, v2
.LBB24_13:
	s_or_b32 exec_lo, exec_lo, s0
	s_delay_alu instid0(SALU_CYCLE_1)
	s_mov_b32 s0, exec_lo
	s_waitcnt lgkmcnt(0)
	s_barrier
	buffer_gl0_inv
	v_cmpx_gt_u32_e32 32, v0
	s_cbranch_execz .LBB24_15
; %bb.14:
	ds_load_2addr_b32 v[2:3], v1 offset1:32
	s_waitcnt lgkmcnt(0)
	v_add_f32_e32 v2, v2, v3
	ds_store_b32 v1, v2
.LBB24_15:
	s_or_b32 exec_lo, exec_lo, s0
	s_delay_alu instid0(SALU_CYCLE_1)
	s_mov_b32 s0, exec_lo
	s_waitcnt lgkmcnt(0)
	s_barrier
	buffer_gl0_inv
	v_cmpx_gt_u32_e32 16, v0
	s_cbranch_execz .LBB24_17
; %bb.16:
	ds_load_2addr_b32 v[2:3], v1 offset1:16
	s_waitcnt lgkmcnt(0)
	v_add_f32_e32 v2, v2, v3
	ds_store_b32 v1, v2
.LBB24_17:
	;; [unrolled: 14-line block ×5, first 2 shown]
	s_or_b32 exec_lo, exec_lo, s0
	v_cmp_eq_u32_e32 vcc_lo, 0, v0
	s_waitcnt lgkmcnt(0)
	s_barrier
	buffer_gl0_inv
	s_and_saveexec_b32 s0, vcc_lo
	s_cbranch_execz .LBB24_25
; %bb.24:
	v_mov_b32_e32 v2, 0
	ds_load_b64 v[0:1], v2
	s_waitcnt lgkmcnt(0)
	v_add_f32_e32 v0, v0, v1
	ds_store_b32 v2, v0
.LBB24_25:
	s_or_b32 exec_lo, exec_lo, s0
	s_waitcnt lgkmcnt(0)
	s_barrier
	buffer_gl0_inv
	s_and_saveexec_b32 s0, vcc_lo
	s_cbranch_execz .LBB24_29
; %bb.26:
	v_mov_b32_e32 v0, 0
	v_cmp_eq_f32_e64 s0, s2, 0
	ds_load_b32 v1, v0
	s_and_b32 vcc_lo, exec_lo, s0
	s_cbranch_vccnz .LBB24_28
; %bb.27:
	s_lshl_b64 s[0:1], s[4:5], 2
	s_delay_alu instid0(SALU_CYCLE_1)
	s_add_u32 s0, s6, s0
	s_addc_u32 s1, s7, s1
	s_load_b32 s0, s[0:1], 0x0
	s_waitcnt lgkmcnt(0)
	v_fmac_f32_e64 v1, s2, s0
.LBB24_28:
	s_lshl_b64 s[0:1], s[4:5], 2
	s_delay_alu instid0(SALU_CYCLE_1)
	s_add_u32 s0, s6, s0
	s_addc_u32 s1, s7, s1
	s_waitcnt lgkmcnt(0)
	global_store_b32 v0, v1, s[0:1]
.LBB24_29:
	s_nop 0
	s_sendmsg sendmsg(MSG_DEALLOC_VGPRS)
	s_endpgm
	.section	.rodata,"a",@progbits
	.p2align	6, 0x0
	.amdhsa_kernel _ZN9rocsparseL29csrmvn_lrb_medium_rows_kernelILj256EllffffEEvbT0_PT1_S3_jNS_24const_host_device_scalarIT5_EEPKS1_PKS2_PKT2_PKT3_S6_PT4_21rocsparse_index_base_b
		.amdhsa_group_segment_fixed_size 1024
		.amdhsa_private_segment_fixed_size 0
		.amdhsa_kernarg_size 104
		.amdhsa_user_sgpr_count 15
		.amdhsa_user_sgpr_dispatch_ptr 0
		.amdhsa_user_sgpr_queue_ptr 0
		.amdhsa_user_sgpr_kernarg_segment_ptr 1
		.amdhsa_user_sgpr_dispatch_id 0
		.amdhsa_user_sgpr_private_segment_size 0
		.amdhsa_wavefront_size32 1
		.amdhsa_uses_dynamic_stack 0
		.amdhsa_enable_private_segment 0
		.amdhsa_system_sgpr_workgroup_id_x 1
		.amdhsa_system_sgpr_workgroup_id_y 0
		.amdhsa_system_sgpr_workgroup_id_z 0
		.amdhsa_system_sgpr_workgroup_info 0
		.amdhsa_system_vgpr_workitem_id 0
		.amdhsa_next_free_vgpr 11
		.amdhsa_next_free_sgpr 20
		.amdhsa_reserve_vcc 1
		.amdhsa_float_round_mode_32 0
		.amdhsa_float_round_mode_16_64 0
		.amdhsa_float_denorm_mode_32 3
		.amdhsa_float_denorm_mode_16_64 3
		.amdhsa_dx10_clamp 1
		.amdhsa_ieee_mode 1
		.amdhsa_fp16_overflow 0
		.amdhsa_workgroup_processor_mode 1
		.amdhsa_memory_ordered 1
		.amdhsa_forward_progress 0
		.amdhsa_shared_vgpr_count 0
		.amdhsa_exception_fp_ieee_invalid_op 0
		.amdhsa_exception_fp_denorm_src 0
		.amdhsa_exception_fp_ieee_div_zero 0
		.amdhsa_exception_fp_ieee_overflow 0
		.amdhsa_exception_fp_ieee_underflow 0
		.amdhsa_exception_fp_ieee_inexact 0
		.amdhsa_exception_int_div_zero 0
	.end_amdhsa_kernel
	.section	.text._ZN9rocsparseL29csrmvn_lrb_medium_rows_kernelILj256EllffffEEvbT0_PT1_S3_jNS_24const_host_device_scalarIT5_EEPKS1_PKS2_PKT2_PKT3_S6_PT4_21rocsparse_index_base_b,"axG",@progbits,_ZN9rocsparseL29csrmvn_lrb_medium_rows_kernelILj256EllffffEEvbT0_PT1_S3_jNS_24const_host_device_scalarIT5_EEPKS1_PKS2_PKT2_PKT3_S6_PT4_21rocsparse_index_base_b,comdat
.Lfunc_end24:
	.size	_ZN9rocsparseL29csrmvn_lrb_medium_rows_kernelILj256EllffffEEvbT0_PT1_S3_jNS_24const_host_device_scalarIT5_EEPKS1_PKS2_PKT2_PKT3_S6_PT4_21rocsparse_index_base_b, .Lfunc_end24-_ZN9rocsparseL29csrmvn_lrb_medium_rows_kernelILj256EllffffEEvbT0_PT1_S3_jNS_24const_host_device_scalarIT5_EEPKS1_PKS2_PKT2_PKT3_S6_PT4_21rocsparse_index_base_b
                                        ; -- End function
	.section	.AMDGPU.csdata,"",@progbits
; Kernel info:
; codeLenInByte = 1192
; NumSgprs: 22
; NumVgprs: 11
; ScratchSize: 0
; MemoryBound: 0
; FloatMode: 240
; IeeeMode: 1
; LDSByteSize: 1024 bytes/workgroup (compile time only)
; SGPRBlocks: 2
; VGPRBlocks: 1
; NumSGPRsForWavesPerEU: 22
; NumVGPRsForWavesPerEU: 11
; Occupancy: 16
; WaveLimiterHint : 1
; COMPUTE_PGM_RSRC2:SCRATCH_EN: 0
; COMPUTE_PGM_RSRC2:USER_SGPR: 15
; COMPUTE_PGM_RSRC2:TRAP_HANDLER: 0
; COMPUTE_PGM_RSRC2:TGID_X_EN: 1
; COMPUTE_PGM_RSRC2:TGID_Y_EN: 0
; COMPUTE_PGM_RSRC2:TGID_Z_EN: 0
; COMPUTE_PGM_RSRC2:TIDIG_COMP_CNT: 0
	.section	.text._ZN9rocsparseL27csrmvn_lrb_long_rows_kernelIllffffEEvbT_PjPT0_S4_jNS_24const_host_device_scalarIT4_EEPKS1_PKS3_PKT1_PKT2_S7_PT3_21rocsparse_index_base_b,"axG",@progbits,_ZN9rocsparseL27csrmvn_lrb_long_rows_kernelIllffffEEvbT_PjPT0_S4_jNS_24const_host_device_scalarIT4_EEPKS1_PKS3_PKT1_PKT2_S7_PT3_21rocsparse_index_base_b,comdat
	.globl	_ZN9rocsparseL27csrmvn_lrb_long_rows_kernelIllffffEEvbT_PjPT0_S4_jNS_24const_host_device_scalarIT4_EEPKS1_PKS3_PKT1_PKT2_S7_PT3_21rocsparse_index_base_b ; -- Begin function _ZN9rocsparseL27csrmvn_lrb_long_rows_kernelIllffffEEvbT_PjPT0_S4_jNS_24const_host_device_scalarIT4_EEPKS1_PKS3_PKT1_PKT2_S7_PT3_21rocsparse_index_base_b
	.p2align	8
	.type	_ZN9rocsparseL27csrmvn_lrb_long_rows_kernelIllffffEEvbT_PjPT0_S4_jNS_24const_host_device_scalarIT4_EEPKS1_PKS3_PKT1_PKT2_S7_PT3_21rocsparse_index_base_b,@function
_ZN9rocsparseL27csrmvn_lrb_long_rows_kernelIllffffEEvbT_PjPT0_S4_jNS_24const_host_device_scalarIT4_EEPKS1_PKS3_PKT1_PKT2_S7_PT3_21rocsparse_index_base_b: ; @_ZN9rocsparseL27csrmvn_lrb_long_rows_kernelIllffffEEvbT_PjPT0_S4_jNS_24const_host_device_scalarIT4_EEPKS1_PKS3_PKT1_PKT2_S7_PT3_21rocsparse_index_base_b
; %bb.0:
	s_clause 0x2
	s_load_b64 s[16:17], s[0:1], 0x68
	s_load_b64 s[18:19], s[0:1], 0x30
	;; [unrolled: 1-line block ×3, first 2 shown]
	s_mov_b32 s8, s15
	s_waitcnt lgkmcnt(0)
	s_bitcmp1_b32 s17, 0
	s_cselect_b32 s2, -1, 0
	s_delay_alu instid0(SALU_CYCLE_1)
	s_and_b32 vcc_lo, exec_lo, s2
	s_xor_b32 s2, s2, -1
	s_cbranch_vccnz .LBB25_2
; %bb.1:
	s_load_b32 s18, s[18:19], 0x0
.LBB25_2:
	s_and_not1_b32 vcc_lo, exec_lo, s2
	s_cbranch_vccnz .LBB25_4
; %bb.3:
	s_load_b32 s20, s[20:21], 0x0
.LBB25_4:
	s_waitcnt lgkmcnt(0)
	v_cmp_neq_f32_e64 s2, s18, 0
	v_cmp_neq_f32_e64 s3, s20, 1.0
	s_delay_alu instid0(VALU_DEP_1)
	s_or_b32 s2, s2, s3
	s_mov_b32 s3, 0
	s_and_not1_b32 vcc_lo, exec_lo, s2
	s_cbranch_vccnz .LBB25_39
; %bb.5:
	s_clause 0x1
	s_load_b32 s2, s[0:1], 0x28
	s_load_b64 s[4:5], s[0:1], 0x20
	v_mov_b32_e32 v7, 0
	s_mov_b32 s21, exec_lo
	s_waitcnt lgkmcnt(0)
	s_lshl_b64 s[6:7], s[2:3], 3
	s_delay_alu instid0(SALU_CYCLE_1) | instskip(SKIP_4) | instid1(SALU_CYCLE_1)
	s_add_u32 s4, s4, s6
	s_addc_u32 s5, s5, s7
	s_lshl_b32 s2, -1, s2
	s_load_b64 s[10:11], s[4:5], 0x0
	s_not_b32 s2, s2
	s_mul_hi_u32 s2, s2, 0x2aaaaaab
	s_delay_alu instid0(SALU_CYCLE_1) | instskip(NEXT) | instid1(SALU_CYCLE_1)
	s_lshr_b32 s2, s2, 7
	s_add_i32 s9, s2, 1
	s_not_b32 s2, s2
	v_cvt_f32_u32_e32 v1, s9
	s_delay_alu instid0(VALU_DEP_1) | instskip(SKIP_2) | instid1(VALU_DEP_1)
	v_rcp_iflag_f32_e32 v1, v1
	s_waitcnt_depctr 0xfff
	v_mul_f32_e32 v1, 0x4f7ffffe, v1
	v_cvt_u32_f32_e32 v1, v1
	s_delay_alu instid0(VALU_DEP_1) | instskip(NEXT) | instid1(VALU_DEP_1)
	v_readfirstlane_b32 s6, v1
	s_mul_i32 s2, s2, s6
	s_delay_alu instid0(SALU_CYCLE_1) | instskip(NEXT) | instid1(SALU_CYCLE_1)
	s_mul_hi_u32 s2, s6, s2
	s_add_i32 s2, s6, s2
	s_load_b128 s[4:7], s[0:1], 0x10
	s_mul_hi_u32 s2, s8, s2
	s_delay_alu instid0(SALU_CYCLE_1) | instskip(SKIP_2) | instid1(SALU_CYCLE_1)
	s_mul_i32 s12, s2, s9
	s_add_i32 s13, s2, 1
	s_sub_i32 s12, s8, s12
	s_sub_i32 s14, s12, s9
	s_cmp_ge_u32 s12, s9
	s_cselect_b32 s2, s13, s2
	s_cselect_b32 s12, s14, s12
	s_add_i32 s13, s2, 1
	s_cmp_ge_u32 s12, s9
	s_cselect_b32 s2, s13, s2
	s_waitcnt lgkmcnt(0)
	s_lshl_b64 s[10:11], s[10:11], 3
	s_mul_i32 s9, s2, s9
	s_delay_alu instid0(SALU_CYCLE_1)
	s_sub_i32 s19, s8, s9
	s_add_u32 s6, s6, s10
	s_addc_u32 s7, s7, s11
	s_lshl_b64 s[2:3], s[2:3], 3
	v_or_b32_e32 v1, s19, v0
	s_add_u32 s2, s6, s2
	s_addc_u32 s3, s7, s3
	s_load_b64 s[2:3], s[2:3], 0x0
	s_load_b64 s[6:7], s[0:1], 0x38
	s_waitcnt lgkmcnt(0)
	s_lshl_b64 s[10:11], s[2:3], 3
	s_delay_alu instid0(SALU_CYCLE_1)
	s_add_u32 s10, s6, s10
	s_addc_u32 s11, s7, s11
	s_ashr_i32 s9, s8, 31
	s_sub_u32 s14, s8, s19
	s_subb_u32 s15, s9, 0
	s_lshl_b64 s[8:9], s[8:9], 2
	s_load_b64 s[6:7], s[0:1], 0x60
	s_add_u32 s12, s4, s8
	s_addc_u32 s13, s5, s9
	s_load_b128 s[8:11], s[10:11], 0x0
	s_load_b32 s17, s[12:13], 0x0
	v_cmpx_eq_u32_e32 0, v1
	s_cbranch_execz .LBB25_9
; %bb.6:
	s_lshl_b64 s[24:25], s[2:3], 2
	s_mov_b32 s23, exec_lo
	s_waitcnt lgkmcnt(0)
	s_add_u32 s24, s6, s24
	s_addc_u32 s25, s7, s25
	v_mbcnt_lo_u32_b32 v2, s23, 0
	s_load_b32 s22, s[24:25], 0x0
	v_add_f32_e64 v1, s20, -1.0
	s_mov_b32 s20, exec_lo
	s_waitcnt vmcnt(0) expcnt(0) lgkmcnt(0)
	v_cmpx_eq_u32_e32 0, v2
	s_cbranch_execz .LBB25_8
; %bb.7:
	s_lshl_b64 s[24:25], s[14:15], 2
	s_delay_alu instid0(SALU_CYCLE_1) | instskip(SKIP_2) | instid1(SALU_CYCLE_1)
	s_add_u32 s24, s4, s24
	s_addc_u32 s25, s5, s25
	s_bcnt1_i32_b32 s23, s23
	s_and_b32 s23, s23, 1
	s_delay_alu instid0(SALU_CYCLE_1)
	v_dual_mov_b32 v2, 0 :: v_dual_mov_b32 v3, s23
	global_atomic_xor_b32 v2, v3, s[24:25]
.LBB25_8:
	s_or_b32 exec_lo, exec_lo, s20
	v_mul_f32_e32 v7, s22, v1
.LBB25_9:
	s_or_b32 exec_lo, exec_lo, s21
	s_mul_i32 s21, s19, 0x300
	s_waitcnt lgkmcnt(0)
	s_sub_u32 s8, s8, s16
	s_mul_hi_u32 s20, s19, 0x300
	s_subb_u32 s9, s9, 0
	s_add_u32 s21, s8, s21
	s_addc_u32 s20, s9, s20
	s_sub_u32 s8, s10, s16
	s_subb_u32 s9, s11, 0
	s_add_u32 s10, s21, 0x300
	s_addc_u32 s11, s20, 0
	v_add_co_u32 v1, s21, s21, v0
	v_cmp_lt_i64_e64 s22, s[10:11], s[8:9]
	v_add_co_ci_u32_e64 v2, null, s20, 0, s21
	s_mov_b32 s21, 0
	s_delay_alu instid0(VALU_DEP_2)
	s_and_b32 s20, s22, exec_lo
	s_cselect_b32 s9, s11, s9
	s_cselect_b32 s8, s10, s8
	s_mov_b32 s20, exec_lo
	v_cmpx_gt_i64_e64 s[8:9], v[1:2]
	s_cbranch_execz .LBB25_13
; %bb.10:
	s_clause 0x1
	s_load_b128 s[24:27], s[0:1], 0x40
	s_load_b64 s[10:11], s[0:1], 0x50
	v_lshlrev_b64 v[3:4], 2, v[1:2]
	v_lshlrev_b64 v[5:6], 3, v[1:2]
	s_waitcnt lgkmcnt(0)
	s_delay_alu instid0(VALU_DEP_2) | instskip(NEXT) | instid1(VALU_DEP_3)
	v_add_co_u32 v3, vcc_lo, s26, v3
	v_add_co_ci_u32_e32 v4, vcc_lo, s27, v4, vcc_lo
	s_delay_alu instid0(VALU_DEP_3) | instskip(NEXT) | instid1(VALU_DEP_4)
	v_add_co_u32 v5, vcc_lo, s24, v5
	v_add_co_ci_u32_e32 v6, vcc_lo, s25, v6, vcc_lo
	s_set_inst_prefetch_distance 0x1
	.p2align	6
.LBB25_11:                              ; =>This Inner Loop Header: Depth=1
	global_load_b64 v[8:9], v[5:6], off
	global_load_b32 v10, v[3:4], off
	v_add_co_u32 v5, s0, 0x800, v5
	s_delay_alu instid0(VALU_DEP_1) | instskip(SKIP_3) | instid1(VALU_DEP_1)
	v_add_co_ci_u32_e64 v6, s0, 0, v6, s0
	s_waitcnt vmcnt(1)
	v_sub_co_u32 v8, vcc_lo, v8, s16
	v_subrev_co_ci_u32_e32 v9, vcc_lo, 0, v9, vcc_lo
	v_lshlrev_b64 v[8:9], 2, v[8:9]
	s_delay_alu instid0(VALU_DEP_1) | instskip(NEXT) | instid1(VALU_DEP_2)
	v_add_co_u32 v8, vcc_lo, s10, v8
	v_add_co_ci_u32_e32 v9, vcc_lo, s11, v9, vcc_lo
	v_add_co_u32 v1, vcc_lo, 0x100, v1
	v_add_co_ci_u32_e32 v2, vcc_lo, 0, v2, vcc_lo
	global_load_b32 v8, v[8:9], off
	v_add_co_u32 v3, vcc_lo, 0x400, v3
	s_waitcnt vmcnt(1)
	v_mul_f32_e32 v9, s18, v10
	v_add_co_ci_u32_e32 v4, vcc_lo, 0, v4, vcc_lo
	v_cmp_le_i64_e32 vcc_lo, s[8:9], v[1:2]
	s_or_b32 s21, vcc_lo, s21
	s_waitcnt vmcnt(0)
	v_fmac_f32_e32 v7, v9, v8
	s_and_not1_b32 exec_lo, exec_lo, s21
	s_cbranch_execnz .LBB25_11
; %bb.12:
	s_set_inst_prefetch_distance 0x2
	s_or_b32 exec_lo, exec_lo, s21
.LBB25_13:
	s_delay_alu instid0(SALU_CYCLE_1)
	s_or_b32 exec_lo, exec_lo, s20
	v_lshlrev_b32_e32 v1, 2, v0
	s_mov_b32 s0, exec_lo
	ds_store_b32 v1, v7
	s_waitcnt lgkmcnt(0)
	s_waitcnt_vscnt null, 0x0
	s_barrier
	buffer_gl0_inv
	v_cmpx_gt_u32_e32 0x80, v0
	s_cbranch_execz .LBB25_15
; %bb.14:
	ds_load_2addr_stride64_b32 v[2:3], v1 offset1:2
	s_waitcnt lgkmcnt(0)
	v_add_f32_e32 v2, v2, v3
	ds_store_b32 v1, v2
.LBB25_15:
	s_or_b32 exec_lo, exec_lo, s0
	s_delay_alu instid0(SALU_CYCLE_1)
	s_mov_b32 s0, exec_lo
	s_waitcnt lgkmcnt(0)
	s_barrier
	buffer_gl0_inv
	v_cmpx_gt_u32_e32 64, v0
	s_cbranch_execz .LBB25_17
; %bb.16:
	ds_load_2addr_stride64_b32 v[2:3], v1 offset1:1
	s_waitcnt lgkmcnt(0)
	v_add_f32_e32 v2, v2, v3
	ds_store_b32 v1, v2
.LBB25_17:
	s_or_b32 exec_lo, exec_lo, s0
	s_delay_alu instid0(SALU_CYCLE_1)
	s_mov_b32 s0, exec_lo
	s_waitcnt lgkmcnt(0)
	s_barrier
	buffer_gl0_inv
	v_cmpx_gt_u32_e32 32, v0
	s_cbranch_execz .LBB25_19
; %bb.18:
	ds_load_2addr_b32 v[2:3], v1 offset1:32
	s_waitcnt lgkmcnt(0)
	v_add_f32_e32 v2, v2, v3
	ds_store_b32 v1, v2
.LBB25_19:
	s_or_b32 exec_lo, exec_lo, s0
	s_delay_alu instid0(SALU_CYCLE_1)
	s_mov_b32 s0, exec_lo
	s_waitcnt lgkmcnt(0)
	s_barrier
	buffer_gl0_inv
	v_cmpx_gt_u32_e32 16, v0
	s_cbranch_execz .LBB25_21
; %bb.20:
	ds_load_2addr_b32 v[2:3], v1 offset1:16
	s_waitcnt lgkmcnt(0)
	v_add_f32_e32 v2, v2, v3
	ds_store_b32 v1, v2
.LBB25_21:
	;; [unrolled: 14-line block ×5, first 2 shown]
	s_or_b32 exec_lo, exec_lo, s0
	v_cmp_eq_u32_e32 vcc_lo, 0, v0
	s_waitcnt lgkmcnt(0)
	s_barrier
	buffer_gl0_inv
	s_and_saveexec_b32 s0, vcc_lo
	s_cbranch_execz .LBB25_29
; %bb.28:
	v_mov_b32_e32 v2, 0
	ds_load_b64 v[0:1], v2
	s_waitcnt lgkmcnt(0)
	v_add_f32_e32 v0, v0, v1
	ds_store_b32 v2, v0
.LBB25_29:
	s_or_b32 exec_lo, exec_lo, s0
	s_waitcnt lgkmcnt(0)
	s_barrier
	buffer_gl0_inv
	s_and_saveexec_b32 s0, vcc_lo
	s_cbranch_execz .LBB25_39
; %bb.30:
	s_cmp_eq_u32 s19, 0
	s_cbranch_scc1 .LBB25_36
; %bb.31:
	s_lshl_b64 s[0:1], s[14:15], 2
	v_mov_b32_e32 v0, 0
	s_add_u32 s0, s4, s0
	s_addc_u32 s1, s5, s1
	s_branch .LBB25_33
.LBB25_32:                              ;   in Loop: Header=BB25_33 Depth=1
	s_or_b32 exec_lo, exec_lo, s4
	s_waitcnt vmcnt(0)
	v_readfirstlane_b32 s4, v1
	s_delay_alu instid0(VALU_DEP_1)
	s_cmp_eq_u32 s4, s17
	s_cbranch_scc0 .LBB25_35
.LBB25_33:                              ; =>This Inner Loop Header: Depth=1
	v_mbcnt_lo_u32_b32 v1, exec_lo, 0
	s_delay_alu instid0(VALU_DEP_1)
	v_cmp_eq_u32_e32 vcc_lo, 0, v1
                                        ; implicit-def: $vgpr1
	s_and_saveexec_b32 s4, vcc_lo
	s_cbranch_execz .LBB25_32
; %bb.34:                               ;   in Loop: Header=BB25_33 Depth=1
	global_load_b32 v1, v0, s[0:1] glc
	s_branch .LBB25_32
.LBB25_35:
	v_mov_b32_e32 v0, 0
	global_load_b32 v1, v0, s[12:13]
	s_waitcnt vmcnt(0)
	v_xor_b32_e32 v1, 1, v1
	global_store_b32 v0, v1, s[12:13]
.LBB25_36:
	s_mov_b32 s4, exec_lo
	s_delay_alu instid0(SALU_CYCLE_1) | instskip(NEXT) | instid1(VALU_DEP_1)
	v_mbcnt_lo_u32_b32 v0, s4, 0
	v_cmp_eq_u32_e32 vcc_lo, 0, v0
	s_and_b32 s0, exec_lo, vcc_lo
	s_delay_alu instid0(SALU_CYCLE_1)
	s_mov_b32 exec_lo, s0
	s_cbranch_execz .LBB25_39
; %bb.37:
	s_lshl_b64 s[0:1], s[2:3], 2
	s_delay_alu instid0(SALU_CYCLE_1) | instskip(SKIP_2) | instid1(SALU_CYCLE_1)
	s_add_u32 s0, s6, s0
	s_addc_u32 s1, s7, s1
	s_bcnt1_i32_b32 s2, s4
	v_cvt_f32_ubyte0_e32 v3, s2
	v_mov_b32_e32 v2, 0
	s_mov_b32 s2, 0
	global_load_b32 v1, v2, s[0:1]
	ds_load_b32 v0, v2
	s_waitcnt lgkmcnt(0)
	v_mul_f32_e32 v3, v0, v3
.LBB25_38:                              ; =>This Inner Loop Header: Depth=1
	s_waitcnt vmcnt(0)
	s_delay_alu instid0(VALU_DEP_1)
	v_add_f32_e32 v0, v1, v3
	global_atomic_cmpswap_b32 v0, v2, v[0:1], s[0:1] glc
	s_waitcnt vmcnt(0)
	v_cmp_eq_u32_e32 vcc_lo, v0, v1
	v_mov_b32_e32 v1, v0
	s_or_b32 s2, vcc_lo, s2
	s_delay_alu instid0(SALU_CYCLE_1)
	s_and_not1_b32 exec_lo, exec_lo, s2
	s_cbranch_execnz .LBB25_38
.LBB25_39:
	s_nop 0
	s_sendmsg sendmsg(MSG_DEALLOC_VGPRS)
	s_endpgm
	.section	.rodata,"a",@progbits
	.p2align	6, 0x0
	.amdhsa_kernel _ZN9rocsparseL27csrmvn_lrb_long_rows_kernelIllffffEEvbT_PjPT0_S4_jNS_24const_host_device_scalarIT4_EEPKS1_PKS3_PKT1_PKT2_S7_PT3_21rocsparse_index_base_b
		.amdhsa_group_segment_fixed_size 1024
		.amdhsa_private_segment_fixed_size 0
		.amdhsa_kernarg_size 112
		.amdhsa_user_sgpr_count 15
		.amdhsa_user_sgpr_dispatch_ptr 0
		.amdhsa_user_sgpr_queue_ptr 0
		.amdhsa_user_sgpr_kernarg_segment_ptr 1
		.amdhsa_user_sgpr_dispatch_id 0
		.amdhsa_user_sgpr_private_segment_size 0
		.amdhsa_wavefront_size32 1
		.amdhsa_uses_dynamic_stack 0
		.amdhsa_enable_private_segment 0
		.amdhsa_system_sgpr_workgroup_id_x 1
		.amdhsa_system_sgpr_workgroup_id_y 0
		.amdhsa_system_sgpr_workgroup_id_z 0
		.amdhsa_system_sgpr_workgroup_info 0
		.amdhsa_system_vgpr_workitem_id 0
		.amdhsa_next_free_vgpr 11
		.amdhsa_next_free_sgpr 28
		.amdhsa_reserve_vcc 1
		.amdhsa_float_round_mode_32 0
		.amdhsa_float_round_mode_16_64 0
		.amdhsa_float_denorm_mode_32 3
		.amdhsa_float_denorm_mode_16_64 3
		.amdhsa_dx10_clamp 1
		.amdhsa_ieee_mode 1
		.amdhsa_fp16_overflow 0
		.amdhsa_workgroup_processor_mode 1
		.amdhsa_memory_ordered 1
		.amdhsa_forward_progress 0
		.amdhsa_shared_vgpr_count 0
		.amdhsa_exception_fp_ieee_invalid_op 0
		.amdhsa_exception_fp_denorm_src 0
		.amdhsa_exception_fp_ieee_div_zero 0
		.amdhsa_exception_fp_ieee_overflow 0
		.amdhsa_exception_fp_ieee_underflow 0
		.amdhsa_exception_fp_ieee_inexact 0
		.amdhsa_exception_int_div_zero 0
	.end_amdhsa_kernel
	.section	.text._ZN9rocsparseL27csrmvn_lrb_long_rows_kernelIllffffEEvbT_PjPT0_S4_jNS_24const_host_device_scalarIT4_EEPKS1_PKS3_PKT1_PKT2_S7_PT3_21rocsparse_index_base_b,"axG",@progbits,_ZN9rocsparseL27csrmvn_lrb_long_rows_kernelIllffffEEvbT_PjPT0_S4_jNS_24const_host_device_scalarIT4_EEPKS1_PKS3_PKT1_PKT2_S7_PT3_21rocsparse_index_base_b,comdat
.Lfunc_end25:
	.size	_ZN9rocsparseL27csrmvn_lrb_long_rows_kernelIllffffEEvbT_PjPT0_S4_jNS_24const_host_device_scalarIT4_EEPKS1_PKS3_PKT1_PKT2_S7_PT3_21rocsparse_index_base_b, .Lfunc_end25-_ZN9rocsparseL27csrmvn_lrb_long_rows_kernelIllffffEEvbT_PjPT0_S4_jNS_24const_host_device_scalarIT4_EEPKS1_PKS3_PKT1_PKT2_S7_PT3_21rocsparse_index_base_b
                                        ; -- End function
	.section	.AMDGPU.csdata,"",@progbits
; Kernel info:
; codeLenInByte = 1720
; NumSgprs: 30
; NumVgprs: 11
; ScratchSize: 0
; MemoryBound: 0
; FloatMode: 240
; IeeeMode: 1
; LDSByteSize: 1024 bytes/workgroup (compile time only)
; SGPRBlocks: 3
; VGPRBlocks: 1
; NumSGPRsForWavesPerEU: 30
; NumVGPRsForWavesPerEU: 11
; Occupancy: 16
; WaveLimiterHint : 1
; COMPUTE_PGM_RSRC2:SCRATCH_EN: 0
; COMPUTE_PGM_RSRC2:USER_SGPR: 15
; COMPUTE_PGM_RSRC2:TRAP_HANDLER: 0
; COMPUTE_PGM_RSRC2:TGID_X_EN: 1
; COMPUTE_PGM_RSRC2:TGID_Y_EN: 0
; COMPUTE_PGM_RSRC2:TGID_Z_EN: 0
; COMPUTE_PGM_RSRC2:TIDIG_COMP_CNT: 0
	.section	.text._ZN9rocsparseL28csrmvn_lrb_short_rows_kernelIiiddddEEvbT_PT0_S3_jNS_24const_host_device_scalarIT4_EEPKS1_PKS2_PKT1_PKT2_S6_PT3_21rocsparse_index_base_b,"axG",@progbits,_ZN9rocsparseL28csrmvn_lrb_short_rows_kernelIiiddddEEvbT_PT0_S3_jNS_24const_host_device_scalarIT4_EEPKS1_PKS2_PKT1_PKT2_S6_PT3_21rocsparse_index_base_b,comdat
	.globl	_ZN9rocsparseL28csrmvn_lrb_short_rows_kernelIiiddddEEvbT_PT0_S3_jNS_24const_host_device_scalarIT4_EEPKS1_PKS2_PKT1_PKT2_S6_PT3_21rocsparse_index_base_b ; -- Begin function _ZN9rocsparseL28csrmvn_lrb_short_rows_kernelIiiddddEEvbT_PT0_S3_jNS_24const_host_device_scalarIT4_EEPKS1_PKS2_PKT1_PKT2_S6_PT3_21rocsparse_index_base_b
	.p2align	8
	.type	_ZN9rocsparseL28csrmvn_lrb_short_rows_kernelIiiddddEEvbT_PT0_S3_jNS_24const_host_device_scalarIT4_EEPKS1_PKS2_PKT1_PKT2_S6_PT3_21rocsparse_index_base_b,@function
_ZN9rocsparseL28csrmvn_lrb_short_rows_kernelIiiddddEEvbT_PT0_S3_jNS_24const_host_device_scalarIT4_EEPKS1_PKS2_PKT1_PKT2_S6_PT3_21rocsparse_index_base_b: ; @_ZN9rocsparseL28csrmvn_lrb_short_rows_kernelIiiddddEEvbT_PT0_S3_jNS_24const_host_device_scalarIT4_EEPKS1_PKS2_PKT1_PKT2_S6_PT3_21rocsparse_index_base_b
; %bb.0:
	s_clause 0x2
	s_load_b64 s[12:13], s[0:1], 0x58
	s_load_b64 s[4:5], s[0:1], 0x20
	;; [unrolled: 1-line block ×3, first 2 shown]
	s_waitcnt lgkmcnt(0)
	s_bitcmp1_b32 s13, 0
	v_dual_mov_b32 v3, s4 :: v_dual_mov_b32 v4, s5
	s_cselect_b32 s6, -1, 0
	s_delay_alu instid0(SALU_CYCLE_1)
	s_and_b32 vcc_lo, exec_lo, s6
	s_xor_b32 s6, s6, -1
	s_cbranch_vccnz .LBB26_2
; %bb.1:
	v_dual_mov_b32 v1, s4 :: v_dual_mov_b32 v2, s5
	flat_load_b64 v[3:4], v[1:2]
.LBB26_2:
	v_dual_mov_b32 v1, s2 :: v_dual_mov_b32 v2, s3
	s_and_not1_b32 vcc_lo, exec_lo, s6
	s_cbranch_vccnz .LBB26_4
; %bb.3:
	v_dual_mov_b32 v1, s2 :: v_dual_mov_b32 v2, s3
	flat_load_b64 v[1:2], v[1:2]
.LBB26_4:
	s_waitcnt vmcnt(0) lgkmcnt(0)
	v_cmp_neq_f64_e32 vcc_lo, 0, v[3:4]
	v_cmp_neq_f64_e64 s2, 1.0, v[1:2]
	s_delay_alu instid0(VALU_DEP_1) | instskip(NEXT) | instid1(SALU_CYCLE_1)
	s_or_b32 s2, vcc_lo, s2
	s_and_saveexec_b32 s3, s2
	s_cbranch_execz .LBB26_18
; %bb.5:
	s_clause 0x1
	s_load_b32 s2, s[0:1], 0x18
	s_load_b128 s[16:19], s[0:1], 0x8
	s_mov_b32 s3, 0
	s_delay_alu instid0(SALU_CYCLE_1) | instskip(SKIP_2) | instid1(SALU_CYCLE_1)
	s_mov_b32 s7, s3
	s_waitcnt lgkmcnt(0)
	s_lshl_b64 s[4:5], s[2:3], 2
	s_add_u32 s4, s18, s4
	s_addc_u32 s5, s19, s5
	s_add_i32 s6, s2, 1
	s_delay_alu instid0(SALU_CYCLE_1) | instskip(NEXT) | instid1(SALU_CYCLE_1)
	s_lshl_b64 s[6:7], s[6:7], 2
	s_add_u32 s6, s18, s6
	s_addc_u32 s7, s19, s7
	s_clause 0x1
	s_load_b32 s13, s[4:5], 0x0
	s_load_b32 s4, s[6:7], 0x0
	s_lshl_b32 s14, s15, 8
	s_delay_alu instid0(SALU_CYCLE_1) | instskip(SKIP_2) | instid1(SALU_CYCLE_1)
	s_add_i32 s5, s14, 0x100
	s_waitcnt lgkmcnt(0)
	s_sub_i32 s4, s4, s13
	s_min_u32 s15, s4, s5
	s_cmp_gt_u32 s2, 23
	s_cbranch_scc1 .LBB26_12
; %bb.6:
	s_load_b256 s[4:11], s[0:1], 0x28
	v_bfe_u32 v11, v0, 0, s2
	v_lshl_add_u32 v13, v0, 3, 0
	v_mov_b32_e32 v6, 0
	s_lshl_b32 s18, 0x100, s2
	s_delay_alu instid0(VALU_DEP_3)
	v_subrev_nc_u32_e32 v12, s12, v11
	s_branch .LBB26_9
.LBB26_7:                               ;   in Loop: Header=BB26_9 Depth=1
	s_or_b32 exec_lo, exec_lo, s20
	ds_store_b64 v13, v[7:8]
.LBB26_8:                               ;   in Loop: Header=BB26_9 Depth=1
	s_or_b32 exec_lo, exec_lo, s19
	v_add_nc_u32_e32 v13, 0x800, v13
	s_addk_i32 s3, 0x100
	s_delay_alu instid0(SALU_CYCLE_1)
	s_cmp_ge_u32 s3, s18
	s_cbranch_scc1 .LBB26_12
.LBB26_9:                               ; =>This Inner Loop Header: Depth=1
	v_add_nc_u32_e32 v5, s3, v0
	s_mov_b32 s19, exec_lo
	s_delay_alu instid0(VALU_DEP_1) | instskip(NEXT) | instid1(VALU_DEP_1)
	v_lshrrev_b32_e32 v5, s2, v5
	v_add_nc_u32_e32 v5, s14, v5
	s_delay_alu instid0(VALU_DEP_1)
	v_cmpx_gt_u32_e64 s15, v5
	s_cbranch_execz .LBB26_8
; %bb.10:                               ;   in Loop: Header=BB26_9 Depth=1
	v_add_nc_u32_e32 v5, s13, v5
	s_mov_b32 s20, exec_lo
	s_delay_alu instid0(VALU_DEP_1) | instskip(NEXT) | instid1(VALU_DEP_1)
	v_lshlrev_b64 v[7:8], 2, v[5:6]
	v_add_co_u32 v7, vcc_lo, s16, v7
	s_delay_alu instid0(VALU_DEP_2) | instskip(SKIP_3) | instid1(VALU_DEP_1)
	v_add_co_ci_u32_e32 v8, vcc_lo, s17, v8, vcc_lo
	global_load_b32 v7, v[7:8], off
	s_waitcnt vmcnt(0)
	v_ashrrev_i32_e32 v8, 31, v7
	v_lshlrev_b64 v[7:8], 2, v[7:8]
	s_waitcnt lgkmcnt(0)
	s_delay_alu instid0(VALU_DEP_1) | instskip(NEXT) | instid1(VALU_DEP_2)
	v_add_co_u32 v7, vcc_lo, s4, v7
	v_add_co_ci_u32_e32 v8, vcc_lo, s5, v8, vcc_lo
	global_load_b64 v[9:10], v[7:8], off
	v_mov_b32_e32 v7, 0
	v_mov_b32_e32 v8, 0
	s_waitcnt vmcnt(0)
	v_sub_nc_u32_e32 v5, v10, v9
	s_delay_alu instid0(VALU_DEP_1)
	v_cmpx_lt_u32_e64 v11, v5
	s_cbranch_execz .LBB26_7
; %bb.11:                               ;   in Loop: Header=BB26_9 Depth=1
	v_add_nc_u32_e32 v5, v12, v9
	s_delay_alu instid0(VALU_DEP_1) | instskip(NEXT) | instid1(VALU_DEP_1)
	v_lshlrev_b64 v[7:8], 2, v[5:6]
	v_add_co_u32 v7, vcc_lo, s6, v7
	s_delay_alu instid0(VALU_DEP_2) | instskip(SKIP_2) | instid1(VALU_DEP_1)
	v_add_co_ci_u32_e32 v8, vcc_lo, s7, v8, vcc_lo
	global_load_b32 v9, v[7:8], off
	v_lshlrev_b64 v[7:8], 3, v[5:6]
	v_add_co_u32 v7, vcc_lo, s8, v7
	s_delay_alu instid0(VALU_DEP_2) | instskip(SKIP_3) | instid1(VALU_DEP_1)
	v_add_co_ci_u32_e32 v8, vcc_lo, s9, v8, vcc_lo
	global_load_b64 v[7:8], v[7:8], off
	s_waitcnt vmcnt(1)
	v_subrev_nc_u32_e32 v9, s12, v9
	v_ashrrev_i32_e32 v10, 31, v9
	s_delay_alu instid0(VALU_DEP_1) | instskip(SKIP_2) | instid1(VALU_DEP_2)
	v_lshlrev_b64 v[9:10], 3, v[9:10]
	s_waitcnt vmcnt(0)
	v_mul_f64 v[7:8], v[3:4], v[7:8]
	v_add_co_u32 v9, vcc_lo, s10, v9
	s_delay_alu instid0(VALU_DEP_3)
	v_add_co_ci_u32_e32 v10, vcc_lo, s11, v10, vcc_lo
	global_load_b64 v[9:10], v[9:10], off
	s_waitcnt vmcnt(0)
	v_mul_f64 v[7:8], v[7:8], v[9:10]
	s_branch .LBB26_7
.LBB26_12:
	s_sub_i32 s3, s15, s14
	s_waitcnt lgkmcnt(0)
	v_cmp_gt_u32_e32 vcc_lo, s3, v0
	s_barrier
	buffer_gl0_inv
	s_and_b32 exec_lo, exec_lo, vcc_lo
	s_cbranch_execz .LBB26_18
; %bb.13:
	v_add3_u32 v3, s13, s14, v0
	v_mov_b32_e32 v4, 0
	s_load_b64 s[0:1], s[0:1], 0x50
	v_lshlrev_b32_e32 v0, s2, v0
	s_mov_b32 s3, 1
	s_delay_alu instid0(VALU_DEP_2) | instskip(NEXT) | instid1(VALU_DEP_1)
	v_lshlrev_b64 v[3:4], 2, v[3:4]
	v_add_co_u32 v3, vcc_lo, s16, v3
	s_delay_alu instid0(VALU_DEP_2)
	v_add_co_ci_u32_e32 v4, vcc_lo, s17, v4, vcc_lo
	global_load_b32 v5, v[3:4], off
	v_mov_b32_e32 v3, 0
	v_mov_b32_e32 v4, 0
	v_lshl_add_u32 v0, v0, 3, 0
.LBB26_14:                              ; =>This Inner Loop Header: Depth=1
	ds_load_b64 v[6:7], v0
	v_add_nc_u32_e32 v0, 8, v0
	s_lshr_b32 s4, s3, s2
	s_add_i32 s3, s3, 1
	s_cmp_lg_u32 s4, 0
	s_waitcnt lgkmcnt(0)
	v_add_f64 v[3:4], v[3:4], v[6:7]
	s_cbranch_scc0 .LBB26_14
; %bb.15:
	s_waitcnt vmcnt(0)
	v_ashrrev_i32_e32 v6, 31, v5
	s_mov_b32 s2, exec_lo
	s_delay_alu instid0(VALU_DEP_1)
	v_lshlrev_b64 v[5:6], 3, v[5:6]
	v_cmpx_neq_f64_e32 0, v[1:2]
	s_cbranch_execz .LBB26_17
; %bb.16:
	s_delay_alu instid0(VALU_DEP_2) | instskip(NEXT) | instid1(VALU_DEP_3)
	v_add_co_u32 v7, vcc_lo, s0, v5
	v_add_co_ci_u32_e32 v8, vcc_lo, s1, v6, vcc_lo
	global_load_b64 v[7:8], v[7:8], off
	s_waitcnt vmcnt(0)
	v_fma_f64 v[3:4], v[1:2], v[7:8], v[3:4]
.LBB26_17:
	s_or_b32 exec_lo, exec_lo, s2
	s_delay_alu instid0(VALU_DEP_2) | instskip(NEXT) | instid1(VALU_DEP_3)
	v_add_co_u32 v0, vcc_lo, s0, v5
	v_add_co_ci_u32_e32 v1, vcc_lo, s1, v6, vcc_lo
	global_store_b64 v[0:1], v[3:4], off
.LBB26_18:
	s_nop 0
	s_sendmsg sendmsg(MSG_DEALLOC_VGPRS)
	s_endpgm
	.section	.rodata,"a",@progbits
	.p2align	6, 0x0
	.amdhsa_kernel _ZN9rocsparseL28csrmvn_lrb_short_rows_kernelIiiddddEEvbT_PT0_S3_jNS_24const_host_device_scalarIT4_EEPKS1_PKS2_PKT1_PKT2_S6_PT3_21rocsparse_index_base_b
		.amdhsa_group_segment_fixed_size 0
		.amdhsa_private_segment_fixed_size 0
		.amdhsa_kernarg_size 96
		.amdhsa_user_sgpr_count 15
		.amdhsa_user_sgpr_dispatch_ptr 0
		.amdhsa_user_sgpr_queue_ptr 0
		.amdhsa_user_sgpr_kernarg_segment_ptr 1
		.amdhsa_user_sgpr_dispatch_id 0
		.amdhsa_user_sgpr_private_segment_size 0
		.amdhsa_wavefront_size32 1
		.amdhsa_uses_dynamic_stack 0
		.amdhsa_enable_private_segment 0
		.amdhsa_system_sgpr_workgroup_id_x 1
		.amdhsa_system_sgpr_workgroup_id_y 0
		.amdhsa_system_sgpr_workgroup_id_z 0
		.amdhsa_system_sgpr_workgroup_info 0
		.amdhsa_system_vgpr_workitem_id 0
		.amdhsa_next_free_vgpr 14
		.amdhsa_next_free_sgpr 21
		.amdhsa_reserve_vcc 1
		.amdhsa_float_round_mode_32 0
		.amdhsa_float_round_mode_16_64 0
		.amdhsa_float_denorm_mode_32 3
		.amdhsa_float_denorm_mode_16_64 3
		.amdhsa_dx10_clamp 1
		.amdhsa_ieee_mode 1
		.amdhsa_fp16_overflow 0
		.amdhsa_workgroup_processor_mode 1
		.amdhsa_memory_ordered 1
		.amdhsa_forward_progress 0
		.amdhsa_shared_vgpr_count 0
		.amdhsa_exception_fp_ieee_invalid_op 0
		.amdhsa_exception_fp_denorm_src 0
		.amdhsa_exception_fp_ieee_div_zero 0
		.amdhsa_exception_fp_ieee_overflow 0
		.amdhsa_exception_fp_ieee_underflow 0
		.amdhsa_exception_fp_ieee_inexact 0
		.amdhsa_exception_int_div_zero 0
	.end_amdhsa_kernel
	.section	.text._ZN9rocsparseL28csrmvn_lrb_short_rows_kernelIiiddddEEvbT_PT0_S3_jNS_24const_host_device_scalarIT4_EEPKS1_PKS2_PKT1_PKT2_S6_PT3_21rocsparse_index_base_b,"axG",@progbits,_ZN9rocsparseL28csrmvn_lrb_short_rows_kernelIiiddddEEvbT_PT0_S3_jNS_24const_host_device_scalarIT4_EEPKS1_PKS2_PKT1_PKT2_S6_PT3_21rocsparse_index_base_b,comdat
.Lfunc_end26:
	.size	_ZN9rocsparseL28csrmvn_lrb_short_rows_kernelIiiddddEEvbT_PT0_S3_jNS_24const_host_device_scalarIT4_EEPKS1_PKS2_PKT1_PKT2_S6_PT3_21rocsparse_index_base_b, .Lfunc_end26-_ZN9rocsparseL28csrmvn_lrb_short_rows_kernelIiiddddEEvbT_PT0_S3_jNS_24const_host_device_scalarIT4_EEPKS1_PKS2_PKT1_PKT2_S6_PT3_21rocsparse_index_base_b
                                        ; -- End function
	.section	.AMDGPU.csdata,"",@progbits
; Kernel info:
; codeLenInByte = 920
; NumSgprs: 23
; NumVgprs: 14
; ScratchSize: 0
; MemoryBound: 0
; FloatMode: 240
; IeeeMode: 1
; LDSByteSize: 0 bytes/workgroup (compile time only)
; SGPRBlocks: 2
; VGPRBlocks: 1
; NumSGPRsForWavesPerEU: 23
; NumVGPRsForWavesPerEU: 14
; Occupancy: 16
; WaveLimiterHint : 1
; COMPUTE_PGM_RSRC2:SCRATCH_EN: 0
; COMPUTE_PGM_RSRC2:USER_SGPR: 15
; COMPUTE_PGM_RSRC2:TRAP_HANDLER: 0
; COMPUTE_PGM_RSRC2:TGID_X_EN: 1
; COMPUTE_PGM_RSRC2:TGID_Y_EN: 0
; COMPUTE_PGM_RSRC2:TGID_Z_EN: 0
; COMPUTE_PGM_RSRC2:TIDIG_COMP_CNT: 0
	.section	.text._ZN9rocsparseL30csrmvn_lrb_short_rows_2_kernelIiiddddEEvbT_PT0_S3_jNS_24const_host_device_scalarIT4_EEPKS1_PKS2_PKT1_PKT2_S6_PT3_21rocsparse_index_base_b,"axG",@progbits,_ZN9rocsparseL30csrmvn_lrb_short_rows_2_kernelIiiddddEEvbT_PT0_S3_jNS_24const_host_device_scalarIT4_EEPKS1_PKS2_PKT1_PKT2_S6_PT3_21rocsparse_index_base_b,comdat
	.globl	_ZN9rocsparseL30csrmvn_lrb_short_rows_2_kernelIiiddddEEvbT_PT0_S3_jNS_24const_host_device_scalarIT4_EEPKS1_PKS2_PKT1_PKT2_S6_PT3_21rocsparse_index_base_b ; -- Begin function _ZN9rocsparseL30csrmvn_lrb_short_rows_2_kernelIiiddddEEvbT_PT0_S3_jNS_24const_host_device_scalarIT4_EEPKS1_PKS2_PKT1_PKT2_S6_PT3_21rocsparse_index_base_b
	.p2align	8
	.type	_ZN9rocsparseL30csrmvn_lrb_short_rows_2_kernelIiiddddEEvbT_PT0_S3_jNS_24const_host_device_scalarIT4_EEPKS1_PKS2_PKT1_PKT2_S6_PT3_21rocsparse_index_base_b,@function
_ZN9rocsparseL30csrmvn_lrb_short_rows_2_kernelIiiddddEEvbT_PT0_S3_jNS_24const_host_device_scalarIT4_EEPKS1_PKS2_PKT1_PKT2_S6_PT3_21rocsparse_index_base_b: ; @_ZN9rocsparseL30csrmvn_lrb_short_rows_2_kernelIiiddddEEvbT_PT0_S3_jNS_24const_host_device_scalarIT4_EEPKS1_PKS2_PKT1_PKT2_S6_PT3_21rocsparse_index_base_b
; %bb.0:
	s_clause 0x2
	s_load_b64 s[16:17], s[0:1], 0x58
	s_load_b64 s[4:5], s[0:1], 0x20
	;; [unrolled: 1-line block ×3, first 2 shown]
	s_waitcnt lgkmcnt(0)
	s_bitcmp1_b32 s17, 0
	v_dual_mov_b32 v3, s4 :: v_dual_mov_b32 v4, s5
	s_cselect_b32 s6, -1, 0
	s_delay_alu instid0(SALU_CYCLE_1)
	s_and_b32 vcc_lo, exec_lo, s6
	s_xor_b32 s6, s6, -1
	s_cbranch_vccnz .LBB27_2
; %bb.1:
	v_dual_mov_b32 v1, s4 :: v_dual_mov_b32 v2, s5
	flat_load_b64 v[3:4], v[1:2]
.LBB27_2:
	v_dual_mov_b32 v1, s2 :: v_dual_mov_b32 v2, s3
	s_and_not1_b32 vcc_lo, exec_lo, s6
	s_cbranch_vccnz .LBB27_4
; %bb.3:
	v_dual_mov_b32 v1, s2 :: v_dual_mov_b32 v2, s3
	flat_load_b64 v[1:2], v[1:2]
.LBB27_4:
	s_waitcnt vmcnt(0) lgkmcnt(0)
	v_cmp_neq_f64_e32 vcc_lo, 0, v[3:4]
	v_cmp_neq_f64_e64 s2, 1.0, v[1:2]
	s_delay_alu instid0(VALU_DEP_1) | instskip(NEXT) | instid1(SALU_CYCLE_1)
	s_or_b32 s2, vcc_lo, s2
	s_and_saveexec_b32 s3, s2
	s_cbranch_execz .LBB27_30
; %bb.5:
	s_clause 0x1
	s_load_b32 s12, s[0:1], 0x18
	s_load_b128 s[8:11], s[0:1], 0x8
	s_mov_b32 s13, 0
	s_delay_alu instid0(SALU_CYCLE_1)
	s_mov_b32 s5, s13
	s_waitcnt lgkmcnt(0)
	s_lshl_b64 s[2:3], s[12:13], 2
	v_lshrrev_b32_e32 v5, s12, v0
	s_add_u32 s2, s10, s2
	s_addc_u32 s3, s11, s3
	s_add_i32 s4, s12, 1
	v_bfe_u32 v12, v0, 0, s12
	s_lshl_b64 s[4:5], s[4:5], 2
	s_delay_alu instid0(SALU_CYCLE_1)
	s_add_u32 s4, s10, s4
	s_addc_u32 s5, s11, s5
	s_clause 0x1
	s_load_b32 s14, s[2:3], 0x0
	s_load_b32 s17, s[4:5], 0x0
	s_clause 0x1
	s_load_b64 s[10:11], s[0:1], 0x50
	s_load_b256 s[0:7], s[0:1], 0x28
	s_lshr_b32 s13, 0x400, s12
	v_subrev_nc_u32_e32 v11, s16, v12
	s_mul_i32 s15, s13, s15
	s_delay_alu instid0(SALU_CYCLE_1) | instskip(SKIP_3) | instid1(SALU_CYCLE_1)
	v_add_nc_u32_e32 v5, s15, v5
	s_add_i32 s18, s15, s13
	s_waitcnt lgkmcnt(0)
	s_sub_i32 s17, s17, s14
	s_min_u32 s17, s17, s18
	s_mov_b32 s18, exec_lo
	v_cmpx_gt_u32_e64 s17, v5
	s_cbranch_execz .LBB27_9
; %bb.6:
	v_dual_mov_b32 v6, 0 :: v_dual_add_nc_u32 v5, s14, v5
	s_mov_b32 s19, exec_lo
	s_delay_alu instid0(VALU_DEP_1) | instskip(NEXT) | instid1(VALU_DEP_1)
	v_lshlrev_b64 v[7:8], 2, v[5:6]
	v_add_co_u32 v7, vcc_lo, s8, v7
	s_delay_alu instid0(VALU_DEP_2) | instskip(SKIP_3) | instid1(VALU_DEP_1)
	v_add_co_ci_u32_e32 v8, vcc_lo, s9, v8, vcc_lo
	global_load_b32 v7, v[7:8], off
	s_waitcnt vmcnt(0)
	v_ashrrev_i32_e32 v8, 31, v7
	v_lshlrev_b64 v[7:8], 2, v[7:8]
	s_delay_alu instid0(VALU_DEP_1) | instskip(NEXT) | instid1(VALU_DEP_2)
	v_add_co_u32 v7, vcc_lo, s0, v7
	v_add_co_ci_u32_e32 v8, vcc_lo, s1, v8, vcc_lo
	global_load_b64 v[9:10], v[7:8], off
	v_mov_b32_e32 v7, 0
	v_mov_b32_e32 v8, 0
	s_waitcnt vmcnt(0)
	v_sub_nc_u32_e32 v5, v10, v9
	s_delay_alu instid0(VALU_DEP_1)
	v_cmpx_lt_u32_e64 v12, v5
	s_cbranch_execz .LBB27_8
; %bb.7:
	v_add_nc_u32_e32 v5, v9, v11
	s_delay_alu instid0(VALU_DEP_1) | instskip(SKIP_1) | instid1(VALU_DEP_2)
	v_lshlrev_b64 v[7:8], 2, v[5:6]
	v_lshlrev_b64 v[5:6], 3, v[5:6]
	v_add_co_u32 v7, vcc_lo, s2, v7
	s_delay_alu instid0(VALU_DEP_3) | instskip(NEXT) | instid1(VALU_DEP_3)
	v_add_co_ci_u32_e32 v8, vcc_lo, s3, v8, vcc_lo
	v_add_co_u32 v5, vcc_lo, s4, v5
	s_delay_alu instid0(VALU_DEP_4)
	v_add_co_ci_u32_e32 v6, vcc_lo, s5, v6, vcc_lo
	global_load_b32 v7, v[7:8], off
	global_load_b64 v[5:6], v[5:6], off
	s_waitcnt vmcnt(1)
	v_subrev_nc_u32_e32 v7, s16, v7
	s_waitcnt vmcnt(0)
	v_mul_f64 v[5:6], v[3:4], v[5:6]
	s_delay_alu instid0(VALU_DEP_2) | instskip(NEXT) | instid1(VALU_DEP_1)
	v_ashrrev_i32_e32 v8, 31, v7
	v_lshlrev_b64 v[7:8], 3, v[7:8]
	s_delay_alu instid0(VALU_DEP_1) | instskip(NEXT) | instid1(VALU_DEP_2)
	v_add_co_u32 v7, vcc_lo, s6, v7
	v_add_co_ci_u32_e32 v8, vcc_lo, s7, v8, vcc_lo
	global_load_b64 v[7:8], v[7:8], off
	s_waitcnt vmcnt(0)
	v_mul_f64 v[7:8], v[5:6], v[7:8]
.LBB27_8:
	s_or_b32 exec_lo, exec_lo, s19
	v_lshlrev_b32_e32 v5, 3, v0
	ds_store_b64 v5, v[7:8]
.LBB27_9:
	s_or_b32 exec_lo, exec_lo, s18
	v_or_b32_e32 v5, 0x100, v0
	s_mov_b32 s18, exec_lo
	s_delay_alu instid0(VALU_DEP_1) | instskip(NEXT) | instid1(VALU_DEP_1)
	v_lshrrev_b32_e32 v5, s12, v5
	v_add_nc_u32_e32 v5, s15, v5
	s_delay_alu instid0(VALU_DEP_1)
	v_cmpx_gt_u32_e64 s17, v5
	s_cbranch_execz .LBB27_13
; %bb.10:
	v_dual_mov_b32 v6, 0 :: v_dual_add_nc_u32 v5, s14, v5
	s_mov_b32 s19, exec_lo
	s_delay_alu instid0(VALU_DEP_1) | instskip(NEXT) | instid1(VALU_DEP_1)
	v_lshlrev_b64 v[7:8], 2, v[5:6]
	v_add_co_u32 v7, vcc_lo, s8, v7
	s_delay_alu instid0(VALU_DEP_2) | instskip(SKIP_3) | instid1(VALU_DEP_1)
	v_add_co_ci_u32_e32 v8, vcc_lo, s9, v8, vcc_lo
	global_load_b32 v7, v[7:8], off
	s_waitcnt vmcnt(0)
	v_ashrrev_i32_e32 v8, 31, v7
	v_lshlrev_b64 v[7:8], 2, v[7:8]
	s_delay_alu instid0(VALU_DEP_1) | instskip(NEXT) | instid1(VALU_DEP_2)
	v_add_co_u32 v7, vcc_lo, s0, v7
	v_add_co_ci_u32_e32 v8, vcc_lo, s1, v8, vcc_lo
	global_load_b64 v[9:10], v[7:8], off
	v_mov_b32_e32 v7, 0
	v_mov_b32_e32 v8, 0
	s_waitcnt vmcnt(0)
	v_sub_nc_u32_e32 v5, v10, v9
	s_delay_alu instid0(VALU_DEP_1)
	v_cmpx_lt_u32_e64 v12, v5
	s_cbranch_execz .LBB27_12
; %bb.11:
	v_add_nc_u32_e32 v5, v9, v11
	s_delay_alu instid0(VALU_DEP_1) | instskip(SKIP_1) | instid1(VALU_DEP_2)
	v_lshlrev_b64 v[7:8], 2, v[5:6]
	v_lshlrev_b64 v[5:6], 3, v[5:6]
	v_add_co_u32 v7, vcc_lo, s2, v7
	s_delay_alu instid0(VALU_DEP_3) | instskip(NEXT) | instid1(VALU_DEP_3)
	v_add_co_ci_u32_e32 v8, vcc_lo, s3, v8, vcc_lo
	v_add_co_u32 v5, vcc_lo, s4, v5
	s_delay_alu instid0(VALU_DEP_4)
	v_add_co_ci_u32_e32 v6, vcc_lo, s5, v6, vcc_lo
	global_load_b32 v7, v[7:8], off
	global_load_b64 v[5:6], v[5:6], off
	s_waitcnt vmcnt(1)
	v_subrev_nc_u32_e32 v7, s16, v7
	s_waitcnt vmcnt(0)
	v_mul_f64 v[5:6], v[3:4], v[5:6]
	s_delay_alu instid0(VALU_DEP_2) | instskip(NEXT) | instid1(VALU_DEP_1)
	v_ashrrev_i32_e32 v8, 31, v7
	v_lshlrev_b64 v[7:8], 3, v[7:8]
	s_delay_alu instid0(VALU_DEP_1) | instskip(NEXT) | instid1(VALU_DEP_2)
	v_add_co_u32 v7, vcc_lo, s6, v7
	v_add_co_ci_u32_e32 v8, vcc_lo, s7, v8, vcc_lo
	global_load_b64 v[7:8], v[7:8], off
	s_waitcnt vmcnt(0)
	v_mul_f64 v[7:8], v[5:6], v[7:8]
.LBB27_12:
	s_or_b32 exec_lo, exec_lo, s19
	v_lshlrev_b32_e32 v5, 3, v0
	ds_store_b64 v5, v[7:8] offset:2048
.LBB27_13:
	s_or_b32 exec_lo, exec_lo, s18
	v_or_b32_e32 v5, 0x200, v0
	s_mov_b32 s18, exec_lo
	s_delay_alu instid0(VALU_DEP_1) | instskip(NEXT) | instid1(VALU_DEP_1)
	v_lshrrev_b32_e32 v5, s12, v5
	v_add_nc_u32_e32 v5, s15, v5
	s_delay_alu instid0(VALU_DEP_1)
	v_cmpx_gt_u32_e64 s17, v5
	s_cbranch_execz .LBB27_17
; %bb.14:
	v_dual_mov_b32 v6, 0 :: v_dual_add_nc_u32 v5, s14, v5
	s_mov_b32 s19, exec_lo
	s_delay_alu instid0(VALU_DEP_1) | instskip(NEXT) | instid1(VALU_DEP_1)
	v_lshlrev_b64 v[7:8], 2, v[5:6]
	v_add_co_u32 v7, vcc_lo, s8, v7
	s_delay_alu instid0(VALU_DEP_2) | instskip(SKIP_3) | instid1(VALU_DEP_1)
	v_add_co_ci_u32_e32 v8, vcc_lo, s9, v8, vcc_lo
	global_load_b32 v7, v[7:8], off
	s_waitcnt vmcnt(0)
	v_ashrrev_i32_e32 v8, 31, v7
	v_lshlrev_b64 v[7:8], 2, v[7:8]
	s_delay_alu instid0(VALU_DEP_1) | instskip(NEXT) | instid1(VALU_DEP_2)
	v_add_co_u32 v7, vcc_lo, s0, v7
	v_add_co_ci_u32_e32 v8, vcc_lo, s1, v8, vcc_lo
	global_load_b64 v[9:10], v[7:8], off
	v_mov_b32_e32 v7, 0
	v_mov_b32_e32 v8, 0
	s_waitcnt vmcnt(0)
	v_sub_nc_u32_e32 v5, v10, v9
	s_delay_alu instid0(VALU_DEP_1)
	v_cmpx_lt_u32_e64 v12, v5
	s_cbranch_execz .LBB27_16
; %bb.15:
	v_add_nc_u32_e32 v5, v9, v11
	s_delay_alu instid0(VALU_DEP_1) | instskip(SKIP_1) | instid1(VALU_DEP_2)
	v_lshlrev_b64 v[7:8], 2, v[5:6]
	v_lshlrev_b64 v[5:6], 3, v[5:6]
	v_add_co_u32 v7, vcc_lo, s2, v7
	s_delay_alu instid0(VALU_DEP_3) | instskip(NEXT) | instid1(VALU_DEP_3)
	v_add_co_ci_u32_e32 v8, vcc_lo, s3, v8, vcc_lo
	v_add_co_u32 v5, vcc_lo, s4, v5
	s_delay_alu instid0(VALU_DEP_4)
	v_add_co_ci_u32_e32 v6, vcc_lo, s5, v6, vcc_lo
	global_load_b32 v7, v[7:8], off
	global_load_b64 v[5:6], v[5:6], off
	s_waitcnt vmcnt(1)
	v_subrev_nc_u32_e32 v7, s16, v7
	s_waitcnt vmcnt(0)
	v_mul_f64 v[5:6], v[3:4], v[5:6]
	s_delay_alu instid0(VALU_DEP_2) | instskip(NEXT) | instid1(VALU_DEP_1)
	v_ashrrev_i32_e32 v8, 31, v7
	v_lshlrev_b64 v[7:8], 3, v[7:8]
	s_delay_alu instid0(VALU_DEP_1) | instskip(NEXT) | instid1(VALU_DEP_2)
	v_add_co_u32 v7, vcc_lo, s6, v7
	v_add_co_ci_u32_e32 v8, vcc_lo, s7, v8, vcc_lo
	global_load_b64 v[7:8], v[7:8], off
	s_waitcnt vmcnt(0)
	v_mul_f64 v[7:8], v[5:6], v[7:8]
.LBB27_16:
	s_or_b32 exec_lo, exec_lo, s19
	v_lshlrev_b32_e32 v5, 3, v0
	ds_store_b64 v5, v[7:8] offset:4096
.LBB27_17:
	s_or_b32 exec_lo, exec_lo, s18
	v_or_b32_e32 v5, 0x300, v0
	s_mov_b32 s18, exec_lo
	s_delay_alu instid0(VALU_DEP_1) | instskip(NEXT) | instid1(VALU_DEP_1)
	v_lshrrev_b32_e32 v5, s12, v5
	v_add_nc_u32_e32 v5, s15, v5
	s_delay_alu instid0(VALU_DEP_1)
	v_cmpx_gt_u32_e64 s17, v5
	s_cbranch_execz .LBB27_21
; %bb.18:
	v_dual_mov_b32 v6, 0 :: v_dual_add_nc_u32 v5, s14, v5
	s_delay_alu instid0(VALU_DEP_1) | instskip(NEXT) | instid1(VALU_DEP_1)
	v_lshlrev_b64 v[7:8], 2, v[5:6]
	v_add_co_u32 v7, vcc_lo, s8, v7
	s_delay_alu instid0(VALU_DEP_2) | instskip(SKIP_3) | instid1(VALU_DEP_1)
	v_add_co_ci_u32_e32 v8, vcc_lo, s9, v8, vcc_lo
	global_load_b32 v7, v[7:8], off
	s_waitcnt vmcnt(0)
	v_ashrrev_i32_e32 v8, 31, v7
	v_lshlrev_b64 v[7:8], 2, v[7:8]
	s_delay_alu instid0(VALU_DEP_1) | instskip(NEXT) | instid1(VALU_DEP_2)
	v_add_co_u32 v7, vcc_lo, s0, v7
	v_add_co_ci_u32_e32 v8, vcc_lo, s1, v8, vcc_lo
	s_mov_b32 s0, exec_lo
	global_load_b64 v[9:10], v[7:8], off
	v_mov_b32_e32 v7, 0
	v_mov_b32_e32 v8, 0
	s_waitcnt vmcnt(0)
	v_sub_nc_u32_e32 v5, v10, v9
	s_delay_alu instid0(VALU_DEP_1)
	v_cmpx_lt_u32_e64 v12, v5
	s_cbranch_execz .LBB27_20
; %bb.19:
	v_add_nc_u32_e32 v5, v9, v11
	s_delay_alu instid0(VALU_DEP_1) | instskip(SKIP_1) | instid1(VALU_DEP_2)
	v_lshlrev_b64 v[7:8], 2, v[5:6]
	v_lshlrev_b64 v[5:6], 3, v[5:6]
	v_add_co_u32 v7, vcc_lo, s2, v7
	s_delay_alu instid0(VALU_DEP_3) | instskip(NEXT) | instid1(VALU_DEP_3)
	v_add_co_ci_u32_e32 v8, vcc_lo, s3, v8, vcc_lo
	v_add_co_u32 v5, vcc_lo, s4, v5
	s_delay_alu instid0(VALU_DEP_4)
	v_add_co_ci_u32_e32 v6, vcc_lo, s5, v6, vcc_lo
	global_load_b32 v7, v[7:8], off
	global_load_b64 v[5:6], v[5:6], off
	s_waitcnt vmcnt(1)
	v_subrev_nc_u32_e32 v7, s16, v7
	s_waitcnt vmcnt(0)
	v_mul_f64 v[3:4], v[3:4], v[5:6]
	s_delay_alu instid0(VALU_DEP_2) | instskip(NEXT) | instid1(VALU_DEP_1)
	v_ashrrev_i32_e32 v8, 31, v7
	v_lshlrev_b64 v[7:8], 3, v[7:8]
	s_delay_alu instid0(VALU_DEP_1) | instskip(NEXT) | instid1(VALU_DEP_2)
	v_add_co_u32 v7, vcc_lo, s6, v7
	v_add_co_ci_u32_e32 v8, vcc_lo, s7, v8, vcc_lo
	global_load_b64 v[7:8], v[7:8], off
	s_waitcnt vmcnt(0)
	v_mul_f64 v[7:8], v[3:4], v[7:8]
.LBB27_20:
	s_or_b32 exec_lo, exec_lo, s0
	v_lshlrev_b32_e32 v3, 3, v0
	ds_store_b64 v3, v[7:8] offset:6144
.LBB27_21:
	s_or_b32 exec_lo, exec_lo, s18
	s_cmp_lt_u32 s12, 11
	s_waitcnt lgkmcnt(0)
	s_barrier
	buffer_gl0_inv
	s_cbranch_scc0 .LBB27_30
; %bb.22:
	v_cmp_neq_f64_e32 vcc_lo, 0, v[1:2]
	v_mov_b32_e32 v4, 0
	s_sub_i32 s1, s17, s15
	s_add_i32 s14, s14, s15
	s_mov_b32 s2, 0
	s_branch .LBB27_25
.LBB27_23:                              ;   in Loop: Header=BB27_25 Depth=1
	s_or_b32 exec_lo, exec_lo, s4
	s_delay_alu instid0(VALU_DEP_1) | instskip(NEXT) | instid1(VALU_DEP_1)
	v_add_co_u32 v7, s0, s10, v7
	v_add_co_ci_u32_e64 v8, s0, s11, v8, s0
	global_store_b64 v[7:8], v[5:6], off
.LBB27_24:                              ;   in Loop: Header=BB27_25 Depth=1
	s_or_b32 exec_lo, exec_lo, s3
	s_addk_i32 s2, 0x100
	s_delay_alu instid0(SALU_CYCLE_1)
	s_cmp_lt_u32 s2, s13
	s_cbranch_scc0 .LBB27_30
.LBB27_25:                              ; =>This Loop Header: Depth=1
                                        ;     Child Loop BB27_27 Depth 2
	v_add_nc_u32_e32 v5, s2, v0
	s_mov_b32 s3, exec_lo
	s_delay_alu instid0(VALU_DEP_1)
	v_cmpx_gt_u32_e64 s1, v5
	s_cbranch_execz .LBB27_24
; %bb.26:                               ;   in Loop: Header=BB27_25 Depth=1
	v_add_nc_u32_e32 v3, s14, v5
	s_delay_alu instid0(VALU_DEP_1) | instskip(SKIP_1) | instid1(VALU_DEP_1)
	v_lshlrev_b64 v[6:7], 2, v[3:4]
	v_lshlrev_b32_e32 v3, s12, v5
	v_lshlrev_b32_e32 v3, 3, v3
	s_delay_alu instid0(VALU_DEP_3) | instskip(NEXT) | instid1(VALU_DEP_1)
	v_add_co_u32 v6, s0, s8, v6
	v_add_co_ci_u32_e64 v7, s0, s9, v7, s0
	s_mov_b32 s0, 1
	global_load_b32 v7, v[6:7], off
	v_mov_b32_e32 v5, 0
	v_mov_b32_e32 v6, 0
.LBB27_27:                              ;   Parent Loop BB27_25 Depth=1
                                        ; =>  This Inner Loop Header: Depth=2
	ds_load_b64 v[8:9], v3
	v_add_nc_u32_e32 v3, 8, v3
	s_lshr_b32 s4, s0, s12
	s_add_i32 s0, s0, 1
	s_cmp_lg_u32 s4, 0
	s_waitcnt lgkmcnt(0)
	v_add_f64 v[5:6], v[5:6], v[8:9]
	s_cbranch_scc0 .LBB27_27
; %bb.28:                               ;   in Loop: Header=BB27_25 Depth=1
	s_waitcnt vmcnt(0)
	v_ashrrev_i32_e32 v8, 31, v7
	s_delay_alu instid0(VALU_DEP_1)
	v_lshlrev_b64 v[7:8], 3, v[7:8]
	s_and_saveexec_b32 s4, vcc_lo
	s_cbranch_execz .LBB27_23
; %bb.29:                               ;   in Loop: Header=BB27_25 Depth=1
	s_delay_alu instid0(VALU_DEP_1) | instskip(NEXT) | instid1(VALU_DEP_1)
	v_add_co_u32 v9, s0, s10, v7
	v_add_co_ci_u32_e64 v10, s0, s11, v8, s0
	global_load_b64 v[9:10], v[9:10], off
	s_waitcnt vmcnt(0)
	v_fma_f64 v[5:6], v[1:2], v[9:10], v[5:6]
	s_branch .LBB27_23
.LBB27_30:
	s_nop 0
	s_sendmsg sendmsg(MSG_DEALLOC_VGPRS)
	s_endpgm
	.section	.rodata,"a",@progbits
	.p2align	6, 0x0
	.amdhsa_kernel _ZN9rocsparseL30csrmvn_lrb_short_rows_2_kernelIiiddddEEvbT_PT0_S3_jNS_24const_host_device_scalarIT4_EEPKS1_PKS2_PKT1_PKT2_S6_PT3_21rocsparse_index_base_b
		.amdhsa_group_segment_fixed_size 8192
		.amdhsa_private_segment_fixed_size 0
		.amdhsa_kernarg_size 96
		.amdhsa_user_sgpr_count 15
		.amdhsa_user_sgpr_dispatch_ptr 0
		.amdhsa_user_sgpr_queue_ptr 0
		.amdhsa_user_sgpr_kernarg_segment_ptr 1
		.amdhsa_user_sgpr_dispatch_id 0
		.amdhsa_user_sgpr_private_segment_size 0
		.amdhsa_wavefront_size32 1
		.amdhsa_uses_dynamic_stack 0
		.amdhsa_enable_private_segment 0
		.amdhsa_system_sgpr_workgroup_id_x 1
		.amdhsa_system_sgpr_workgroup_id_y 0
		.amdhsa_system_sgpr_workgroup_id_z 0
		.amdhsa_system_sgpr_workgroup_info 0
		.amdhsa_system_vgpr_workitem_id 0
		.amdhsa_next_free_vgpr 13
		.amdhsa_next_free_sgpr 20
		.amdhsa_reserve_vcc 1
		.amdhsa_float_round_mode_32 0
		.amdhsa_float_round_mode_16_64 0
		.amdhsa_float_denorm_mode_32 3
		.amdhsa_float_denorm_mode_16_64 3
		.amdhsa_dx10_clamp 1
		.amdhsa_ieee_mode 1
		.amdhsa_fp16_overflow 0
		.amdhsa_workgroup_processor_mode 1
		.amdhsa_memory_ordered 1
		.amdhsa_forward_progress 0
		.amdhsa_shared_vgpr_count 0
		.amdhsa_exception_fp_ieee_invalid_op 0
		.amdhsa_exception_fp_denorm_src 0
		.amdhsa_exception_fp_ieee_div_zero 0
		.amdhsa_exception_fp_ieee_overflow 0
		.amdhsa_exception_fp_ieee_underflow 0
		.amdhsa_exception_fp_ieee_inexact 0
		.amdhsa_exception_int_div_zero 0
	.end_amdhsa_kernel
	.section	.text._ZN9rocsparseL30csrmvn_lrb_short_rows_2_kernelIiiddddEEvbT_PT0_S3_jNS_24const_host_device_scalarIT4_EEPKS1_PKS2_PKT1_PKT2_S6_PT3_21rocsparse_index_base_b,"axG",@progbits,_ZN9rocsparseL30csrmvn_lrb_short_rows_2_kernelIiiddddEEvbT_PT0_S3_jNS_24const_host_device_scalarIT4_EEPKS1_PKS2_PKT1_PKT2_S6_PT3_21rocsparse_index_base_b,comdat
.Lfunc_end27:
	.size	_ZN9rocsparseL30csrmvn_lrb_short_rows_2_kernelIiiddddEEvbT_PT0_S3_jNS_24const_host_device_scalarIT4_EEPKS1_PKS2_PKT1_PKT2_S6_PT3_21rocsparse_index_base_b, .Lfunc_end27-_ZN9rocsparseL30csrmvn_lrb_short_rows_2_kernelIiiddddEEvbT_PT0_S3_jNS_24const_host_device_scalarIT4_EEPKS1_PKS2_PKT1_PKT2_S6_PT3_21rocsparse_index_base_b
                                        ; -- End function
	.section	.AMDGPU.csdata,"",@progbits
; Kernel info:
; codeLenInByte = 1888
; NumSgprs: 22
; NumVgprs: 13
; ScratchSize: 0
; MemoryBound: 0
; FloatMode: 240
; IeeeMode: 1
; LDSByteSize: 8192 bytes/workgroup (compile time only)
; SGPRBlocks: 2
; VGPRBlocks: 1
; NumSGPRsForWavesPerEU: 22
; NumVGPRsForWavesPerEU: 13
; Occupancy: 16
; WaveLimiterHint : 1
; COMPUTE_PGM_RSRC2:SCRATCH_EN: 0
; COMPUTE_PGM_RSRC2:USER_SGPR: 15
; COMPUTE_PGM_RSRC2:TRAP_HANDLER: 0
; COMPUTE_PGM_RSRC2:TGID_X_EN: 1
; COMPUTE_PGM_RSRC2:TGID_Y_EN: 0
; COMPUTE_PGM_RSRC2:TGID_Z_EN: 0
; COMPUTE_PGM_RSRC2:TIDIG_COMP_CNT: 0
	.section	.text._ZN9rocsparseL41csrmvn_lrb_medium_rows_warp_reduce_kernelILj256ELj32EiiddddEEvbT1_lPT2_S3_jNS_24const_host_device_scalarIT6_EEPKS1_PKS2_PKT3_PKT4_S6_PT5_21rocsparse_index_base_b,"axG",@progbits,_ZN9rocsparseL41csrmvn_lrb_medium_rows_warp_reduce_kernelILj256ELj32EiiddddEEvbT1_lPT2_S3_jNS_24const_host_device_scalarIT6_EEPKS1_PKS2_PKT3_PKT4_S6_PT5_21rocsparse_index_base_b,comdat
	.globl	_ZN9rocsparseL41csrmvn_lrb_medium_rows_warp_reduce_kernelILj256ELj32EiiddddEEvbT1_lPT2_S3_jNS_24const_host_device_scalarIT6_EEPKS1_PKS2_PKT3_PKT4_S6_PT5_21rocsparse_index_base_b ; -- Begin function _ZN9rocsparseL41csrmvn_lrb_medium_rows_warp_reduce_kernelILj256ELj32EiiddddEEvbT1_lPT2_S3_jNS_24const_host_device_scalarIT6_EEPKS1_PKS2_PKT3_PKT4_S6_PT5_21rocsparse_index_base_b
	.p2align	8
	.type	_ZN9rocsparseL41csrmvn_lrb_medium_rows_warp_reduce_kernelILj256ELj32EiiddddEEvbT1_lPT2_S3_jNS_24const_host_device_scalarIT6_EEPKS1_PKS2_PKT3_PKT4_S6_PT5_21rocsparse_index_base_b,@function
_ZN9rocsparseL41csrmvn_lrb_medium_rows_warp_reduce_kernelILj256ELj32EiiddddEEvbT1_lPT2_S3_jNS_24const_host_device_scalarIT6_EEPKS1_PKS2_PKT3_PKT4_S6_PT5_21rocsparse_index_base_b: ; @_ZN9rocsparseL41csrmvn_lrb_medium_rows_warp_reduce_kernelILj256ELj32EiiddddEEvbT1_lPT2_S3_jNS_24const_host_device_scalarIT6_EEPKS1_PKS2_PKT3_PKT4_S6_PT5_21rocsparse_index_base_b
; %bb.0:
	s_clause 0x2
	s_load_b64 s[8:9], s[0:1], 0x60
	s_load_b64 s[4:5], s[0:1], 0x28
	;; [unrolled: 1-line block ×3, first 2 shown]
	s_waitcnt lgkmcnt(0)
	s_bitcmp1_b32 s9, 0
	v_dual_mov_b32 v3, s4 :: v_dual_mov_b32 v4, s5
	s_cselect_b32 s6, -1, 0
	s_delay_alu instid0(SALU_CYCLE_1)
	s_and_b32 vcc_lo, exec_lo, s6
	s_xor_b32 s6, s6, -1
	s_cbranch_vccnz .LBB28_2
; %bb.1:
	v_dual_mov_b32 v1, s4 :: v_dual_mov_b32 v2, s5
	flat_load_b64 v[3:4], v[1:2]
.LBB28_2:
	v_dual_mov_b32 v1, s2 :: v_dual_mov_b32 v2, s3
	s_and_not1_b32 vcc_lo, exec_lo, s6
	s_cbranch_vccnz .LBB28_4
; %bb.3:
	v_dual_mov_b32 v1, s2 :: v_dual_mov_b32 v2, s3
	flat_load_b64 v[1:2], v[1:2]
.LBB28_4:
	s_waitcnt vmcnt(0) lgkmcnt(0)
	v_cmp_neq_f64_e32 vcc_lo, 0, v[3:4]
	v_cmp_neq_f64_e64 s2, 1.0, v[1:2]
	s_delay_alu instid0(VALU_DEP_1) | instskip(NEXT) | instid1(SALU_CYCLE_1)
	s_or_b32 s2, vcc_lo, s2
	s_and_saveexec_b32 s3, s2
	s_cbranch_execz .LBB28_14
; %bb.5:
	s_load_b64 s[2:3], s[0:1], 0x8
	v_lshrrev_b32_e32 v5, 5, v0
	s_delay_alu instid0(VALU_DEP_1) | instskip(NEXT) | instid1(VALU_DEP_1)
	v_lshl_or_b32 v5, s15, 3, v5
	v_ashrrev_i32_e32 v6, 31, v5
	s_waitcnt lgkmcnt(0)
	s_delay_alu instid0(VALU_DEP_1)
	v_cmp_gt_i64_e32 vcc_lo, s[2:3], v[5:6]
	s_and_b32 exec_lo, exec_lo, vcc_lo
	s_cbranch_execz .LBB28_14
; %bb.6:
	s_clause 0x1
	s_load_b32 s10, s[0:1], 0x20
	s_load_b128 s[4:7], s[0:1], 0x10
	s_mov_b32 s11, 0
	v_and_b32_e32 v0, 31, v0
	s_mov_b32 s9, exec_lo
	s_delay_alu instid0(VALU_DEP_1) | instskip(SKIP_2) | instid1(SALU_CYCLE_1)
	v_subrev_nc_u32_e32 v9, s8, v0
	s_waitcnt lgkmcnt(0)
	s_lshl_b64 s[2:3], s[10:11], 2
	s_add_u32 s2, s6, s2
	s_addc_u32 s3, s7, s3
	s_load_b32 s2, s[2:3], 0x0
	s_waitcnt lgkmcnt(0)
	v_add_nc_u32_e32 v5, s2, v5
	s_load_b64 s[2:3], s[0:1], 0x30
	s_delay_alu instid0(VALU_DEP_1) | instskip(NEXT) | instid1(VALU_DEP_1)
	v_ashrrev_i32_e32 v6, 31, v5
	v_lshlrev_b64 v[5:6], 2, v[5:6]
	s_delay_alu instid0(VALU_DEP_1) | instskip(NEXT) | instid1(VALU_DEP_2)
	v_add_co_u32 v5, vcc_lo, s4, v5
	v_add_co_ci_u32_e32 v6, vcc_lo, s5, v6, vcc_lo
	global_load_b32 v5, v[5:6], off
	s_waitcnt vmcnt(0)
	v_ashrrev_i32_e32 v6, 31, v5
	s_delay_alu instid0(VALU_DEP_1) | instskip(SKIP_1) | instid1(VALU_DEP_1)
	v_lshlrev_b64 v[7:8], 2, v[5:6]
	s_waitcnt lgkmcnt(0)
	v_add_co_u32 v7, vcc_lo, s2, v7
	s_delay_alu instid0(VALU_DEP_2)
	v_add_co_ci_u32_e32 v8, vcc_lo, s3, v8, vcc_lo
	s_load_b64 s[2:3], s[0:1], 0x58
	global_load_b64 v[7:8], v[7:8], off
	s_waitcnt vmcnt(0)
	v_subrev_nc_u32_e32 v11, s8, v8
	v_add_nc_u32_e32 v9, v7, v9
	v_mov_b32_e32 v7, 0
	v_mov_b32_e32 v8, 0
	s_delay_alu instid0(VALU_DEP_3)
	v_cmpx_lt_i32_e64 v9, v11
	s_cbranch_execz .LBB28_10
; %bb.7:
	s_clause 0x1
	s_load_b128 s[4:7], s[0:1], 0x38
	s_load_b64 s[0:1], s[0:1], 0x48
	v_mov_b32_e32 v7, 0
	v_mov_b32_e32 v8, 0
	s_set_inst_prefetch_distance 0x1
	.p2align	6
.LBB28_8:                               ; =>This Inner Loop Header: Depth=1
	v_ashrrev_i32_e32 v10, 31, v9
	s_delay_alu instid0(VALU_DEP_1) | instskip(SKIP_1) | instid1(VALU_DEP_1)
	v_lshlrev_b64 v[12:13], 2, v[9:10]
	s_waitcnt lgkmcnt(0)
	v_add_co_u32 v12, vcc_lo, s4, v12
	s_delay_alu instid0(VALU_DEP_2) | instskip(SKIP_3) | instid1(VALU_DEP_2)
	v_add_co_ci_u32_e32 v13, vcc_lo, s5, v13, vcc_lo
	global_load_b32 v14, v[12:13], off
	v_lshlrev_b64 v[12:13], 3, v[9:10]
	v_add_nc_u32_e32 v9, 32, v9
	v_add_co_u32 v12, vcc_lo, s6, v12
	s_delay_alu instid0(VALU_DEP_3) | instskip(SKIP_3) | instid1(VALU_DEP_1)
	v_add_co_ci_u32_e32 v13, vcc_lo, s7, v13, vcc_lo
	global_load_b64 v[12:13], v[12:13], off
	s_waitcnt vmcnt(1)
	v_subrev_nc_u32_e32 v14, s8, v14
	v_ashrrev_i32_e32 v15, 31, v14
	s_delay_alu instid0(VALU_DEP_1) | instskip(SKIP_2) | instid1(VALU_DEP_2)
	v_lshlrev_b64 v[14:15], 3, v[14:15]
	s_waitcnt vmcnt(0)
	v_mul_f64 v[12:13], v[3:4], v[12:13]
	v_add_co_u32 v14, vcc_lo, s0, v14
	s_delay_alu instid0(VALU_DEP_3)
	v_add_co_ci_u32_e32 v15, vcc_lo, s1, v15, vcc_lo
	v_cmp_ge_i32_e32 vcc_lo, v9, v11
	global_load_b64 v[14:15], v[14:15], off
	s_or_b32 s11, vcc_lo, s11
	s_waitcnt vmcnt(0)
	v_fma_f64 v[7:8], v[12:13], v[14:15], v[7:8]
	s_and_not1_b32 exec_lo, exec_lo, s11
	s_cbranch_execnz .LBB28_8
; %bb.9:
	s_set_inst_prefetch_distance 0x2
	s_or_b32 exec_lo, exec_lo, s11
.LBB28_10:
	s_delay_alu instid0(SALU_CYCLE_1) | instskip(SKIP_1) | instid1(VALU_DEP_1)
	s_or_b32 exec_lo, exec_lo, s9
	v_mbcnt_lo_u32_b32 v9, -1, 0
	v_xor_b32_e32 v3, 16, v9
	s_delay_alu instid0(VALU_DEP_1) | instskip(SKIP_1) | instid1(VALU_DEP_1)
	v_cmp_gt_i32_e32 vcc_lo, 32, v3
	v_cndmask_b32_e32 v3, v9, v3, vcc_lo
	v_lshlrev_b32_e32 v4, 2, v3
	ds_bpermute_b32 v3, v4, v7
	ds_bpermute_b32 v4, v4, v8
	s_waitcnt lgkmcnt(0)
	v_add_f64 v[3:4], v[7:8], v[3:4]
	v_xor_b32_e32 v7, 8, v9
	s_delay_alu instid0(VALU_DEP_1) | instskip(SKIP_1) | instid1(VALU_DEP_1)
	v_cmp_gt_i32_e32 vcc_lo, 32, v7
	v_cndmask_b32_e32 v7, v9, v7, vcc_lo
	v_lshlrev_b32_e32 v8, 2, v7
	ds_bpermute_b32 v7, v8, v3
	ds_bpermute_b32 v8, v8, v4
	s_waitcnt lgkmcnt(0)
	v_add_f64 v[3:4], v[3:4], v[7:8]
	v_xor_b32_e32 v7, 4, v9
	s_delay_alu instid0(VALU_DEP_1) | instskip(SKIP_1) | instid1(VALU_DEP_1)
	v_cmp_gt_i32_e32 vcc_lo, 32, v7
	v_cndmask_b32_e32 v7, v9, v7, vcc_lo
	v_lshlrev_b32_e32 v8, 2, v7
	ds_bpermute_b32 v7, v8, v3
	ds_bpermute_b32 v8, v8, v4
	s_waitcnt lgkmcnt(0)
	v_add_f64 v[3:4], v[3:4], v[7:8]
	v_xor_b32_e32 v7, 2, v9
	s_delay_alu instid0(VALU_DEP_1) | instskip(SKIP_1) | instid1(VALU_DEP_1)
	v_cmp_gt_i32_e32 vcc_lo, 32, v7
	v_cndmask_b32_e32 v7, v9, v7, vcc_lo
	v_lshlrev_b32_e32 v8, 2, v7
	ds_bpermute_b32 v7, v8, v3
	ds_bpermute_b32 v8, v8, v4
	s_waitcnt lgkmcnt(0)
	v_add_f64 v[3:4], v[3:4], v[7:8]
	v_xor_b32_e32 v7, 1, v9
	s_delay_alu instid0(VALU_DEP_1) | instskip(SKIP_2) | instid1(VALU_DEP_2)
	v_cmp_gt_i32_e32 vcc_lo, 32, v7
	v_cndmask_b32_e32 v7, v9, v7, vcc_lo
	v_cmp_eq_u32_e32 vcc_lo, 31, v0
	v_lshlrev_b32_e32 v8, 2, v7
	ds_bpermute_b32 v7, v8, v3
	ds_bpermute_b32 v8, v8, v4
	s_and_b32 exec_lo, exec_lo, vcc_lo
	s_cbranch_execz .LBB28_14
; %bb.11:
	s_waitcnt lgkmcnt(0)
	v_add_f64 v[3:4], v[3:4], v[7:8]
	v_lshlrev_b64 v[5:6], 3, v[5:6]
	s_mov_b32 s0, exec_lo
	v_cmpx_neq_f64_e32 0, v[1:2]
	s_cbranch_execz .LBB28_13
; %bb.12:
	s_delay_alu instid0(VALU_DEP_2) | instskip(NEXT) | instid1(VALU_DEP_3)
	v_add_co_u32 v7, vcc_lo, s2, v5
	v_add_co_ci_u32_e32 v8, vcc_lo, s3, v6, vcc_lo
	global_load_b64 v[7:8], v[7:8], off
	s_waitcnt vmcnt(0)
	v_fma_f64 v[3:4], v[1:2], v[7:8], v[3:4]
.LBB28_13:
	s_or_b32 exec_lo, exec_lo, s0
	s_delay_alu instid0(VALU_DEP_2)
	v_add_co_u32 v0, vcc_lo, s2, v5
	v_add_co_ci_u32_e32 v1, vcc_lo, s3, v6, vcc_lo
	global_store_b64 v[0:1], v[3:4], off
.LBB28_14:
	s_nop 0
	s_sendmsg sendmsg(MSG_DEALLOC_VGPRS)
	s_endpgm
	.section	.rodata,"a",@progbits
	.p2align	6, 0x0
	.amdhsa_kernel _ZN9rocsparseL41csrmvn_lrb_medium_rows_warp_reduce_kernelILj256ELj32EiiddddEEvbT1_lPT2_S3_jNS_24const_host_device_scalarIT6_EEPKS1_PKS2_PKT3_PKT4_S6_PT5_21rocsparse_index_base_b
		.amdhsa_group_segment_fixed_size 0
		.amdhsa_private_segment_fixed_size 0
		.amdhsa_kernarg_size 104
		.amdhsa_user_sgpr_count 15
		.amdhsa_user_sgpr_dispatch_ptr 0
		.amdhsa_user_sgpr_queue_ptr 0
		.amdhsa_user_sgpr_kernarg_segment_ptr 1
		.amdhsa_user_sgpr_dispatch_id 0
		.amdhsa_user_sgpr_private_segment_size 0
		.amdhsa_wavefront_size32 1
		.amdhsa_uses_dynamic_stack 0
		.amdhsa_enable_private_segment 0
		.amdhsa_system_sgpr_workgroup_id_x 1
		.amdhsa_system_sgpr_workgroup_id_y 0
		.amdhsa_system_sgpr_workgroup_id_z 0
		.amdhsa_system_sgpr_workgroup_info 0
		.amdhsa_system_vgpr_workitem_id 0
		.amdhsa_next_free_vgpr 16
		.amdhsa_next_free_sgpr 16
		.amdhsa_reserve_vcc 1
		.amdhsa_float_round_mode_32 0
		.amdhsa_float_round_mode_16_64 0
		.amdhsa_float_denorm_mode_32 3
		.amdhsa_float_denorm_mode_16_64 3
		.amdhsa_dx10_clamp 1
		.amdhsa_ieee_mode 1
		.amdhsa_fp16_overflow 0
		.amdhsa_workgroup_processor_mode 1
		.amdhsa_memory_ordered 1
		.amdhsa_forward_progress 0
		.amdhsa_shared_vgpr_count 0
		.amdhsa_exception_fp_ieee_invalid_op 0
		.amdhsa_exception_fp_denorm_src 0
		.amdhsa_exception_fp_ieee_div_zero 0
		.amdhsa_exception_fp_ieee_overflow 0
		.amdhsa_exception_fp_ieee_underflow 0
		.amdhsa_exception_fp_ieee_inexact 0
		.amdhsa_exception_int_div_zero 0
	.end_amdhsa_kernel
	.section	.text._ZN9rocsparseL41csrmvn_lrb_medium_rows_warp_reduce_kernelILj256ELj32EiiddddEEvbT1_lPT2_S3_jNS_24const_host_device_scalarIT6_EEPKS1_PKS2_PKT3_PKT4_S6_PT5_21rocsparse_index_base_b,"axG",@progbits,_ZN9rocsparseL41csrmvn_lrb_medium_rows_warp_reduce_kernelILj256ELj32EiiddddEEvbT1_lPT2_S3_jNS_24const_host_device_scalarIT6_EEPKS1_PKS2_PKT3_PKT4_S6_PT5_21rocsparse_index_base_b,comdat
.Lfunc_end28:
	.size	_ZN9rocsparseL41csrmvn_lrb_medium_rows_warp_reduce_kernelILj256ELj32EiiddddEEvbT1_lPT2_S3_jNS_24const_host_device_scalarIT6_EEPKS1_PKS2_PKT3_PKT4_S6_PT5_21rocsparse_index_base_b, .Lfunc_end28-_ZN9rocsparseL41csrmvn_lrb_medium_rows_warp_reduce_kernelILj256ELj32EiiddddEEvbT1_lPT2_S3_jNS_24const_host_device_scalarIT6_EEPKS1_PKS2_PKT3_PKT4_S6_PT5_21rocsparse_index_base_b
                                        ; -- End function
	.section	.AMDGPU.csdata,"",@progbits
; Kernel info:
; codeLenInByte = 976
; NumSgprs: 18
; NumVgprs: 16
; ScratchSize: 0
; MemoryBound: 0
; FloatMode: 240
; IeeeMode: 1
; LDSByteSize: 0 bytes/workgroup (compile time only)
; SGPRBlocks: 2
; VGPRBlocks: 1
; NumSGPRsForWavesPerEU: 18
; NumVGPRsForWavesPerEU: 16
; Occupancy: 16
; WaveLimiterHint : 1
; COMPUTE_PGM_RSRC2:SCRATCH_EN: 0
; COMPUTE_PGM_RSRC2:USER_SGPR: 15
; COMPUTE_PGM_RSRC2:TRAP_HANDLER: 0
; COMPUTE_PGM_RSRC2:TGID_X_EN: 1
; COMPUTE_PGM_RSRC2:TGID_Y_EN: 0
; COMPUTE_PGM_RSRC2:TGID_Z_EN: 0
; COMPUTE_PGM_RSRC2:TIDIG_COMP_CNT: 0
	.section	.text._ZN9rocsparseL41csrmvn_lrb_medium_rows_warp_reduce_kernelILj256ELj64EiiddddEEvbT1_lPT2_S3_jNS_24const_host_device_scalarIT6_EEPKS1_PKS2_PKT3_PKT4_S6_PT5_21rocsparse_index_base_b,"axG",@progbits,_ZN9rocsparseL41csrmvn_lrb_medium_rows_warp_reduce_kernelILj256ELj64EiiddddEEvbT1_lPT2_S3_jNS_24const_host_device_scalarIT6_EEPKS1_PKS2_PKT3_PKT4_S6_PT5_21rocsparse_index_base_b,comdat
	.globl	_ZN9rocsparseL41csrmvn_lrb_medium_rows_warp_reduce_kernelILj256ELj64EiiddddEEvbT1_lPT2_S3_jNS_24const_host_device_scalarIT6_EEPKS1_PKS2_PKT3_PKT4_S6_PT5_21rocsparse_index_base_b ; -- Begin function _ZN9rocsparseL41csrmvn_lrb_medium_rows_warp_reduce_kernelILj256ELj64EiiddddEEvbT1_lPT2_S3_jNS_24const_host_device_scalarIT6_EEPKS1_PKS2_PKT3_PKT4_S6_PT5_21rocsparse_index_base_b
	.p2align	8
	.type	_ZN9rocsparseL41csrmvn_lrb_medium_rows_warp_reduce_kernelILj256ELj64EiiddddEEvbT1_lPT2_S3_jNS_24const_host_device_scalarIT6_EEPKS1_PKS2_PKT3_PKT4_S6_PT5_21rocsparse_index_base_b,@function
_ZN9rocsparseL41csrmvn_lrb_medium_rows_warp_reduce_kernelILj256ELj64EiiddddEEvbT1_lPT2_S3_jNS_24const_host_device_scalarIT6_EEPKS1_PKS2_PKT3_PKT4_S6_PT5_21rocsparse_index_base_b: ; @_ZN9rocsparseL41csrmvn_lrb_medium_rows_warp_reduce_kernelILj256ELj64EiiddddEEvbT1_lPT2_S3_jNS_24const_host_device_scalarIT6_EEPKS1_PKS2_PKT3_PKT4_S6_PT5_21rocsparse_index_base_b
; %bb.0:
	s_clause 0x2
	s_load_b64 s[8:9], s[0:1], 0x60
	s_load_b64 s[4:5], s[0:1], 0x28
	;; [unrolled: 1-line block ×3, first 2 shown]
	s_waitcnt lgkmcnt(0)
	s_bitcmp1_b32 s9, 0
	v_dual_mov_b32 v6, s5 :: v_dual_mov_b32 v5, s4
	s_cselect_b32 s6, -1, 0
	s_delay_alu instid0(SALU_CYCLE_1)
	s_and_b32 vcc_lo, exec_lo, s6
	s_xor_b32 s6, s6, -1
	s_cbranch_vccnz .LBB29_2
; %bb.1:
	v_dual_mov_b32 v1, s4 :: v_dual_mov_b32 v2, s5
	flat_load_b64 v[5:6], v[1:2]
.LBB29_2:
	v_dual_mov_b32 v1, s2 :: v_dual_mov_b32 v2, s3
	s_and_not1_b32 vcc_lo, exec_lo, s6
	s_cbranch_vccnz .LBB29_4
; %bb.3:
	v_dual_mov_b32 v1, s2 :: v_dual_mov_b32 v2, s3
	flat_load_b64 v[1:2], v[1:2]
.LBB29_4:
	s_waitcnt vmcnt(0) lgkmcnt(0)
	v_cmp_neq_f64_e32 vcc_lo, 0, v[5:6]
	v_cmp_neq_f64_e64 s2, 1.0, v[1:2]
	s_delay_alu instid0(VALU_DEP_1) | instskip(NEXT) | instid1(SALU_CYCLE_1)
	s_or_b32 s2, vcc_lo, s2
	s_and_saveexec_b32 s3, s2
	s_cbranch_execz .LBB29_14
; %bb.5:
	s_load_b64 s[2:3], s[0:1], 0x8
	v_lshrrev_b32_e32 v3, 6, v0
	s_delay_alu instid0(VALU_DEP_1) | instskip(NEXT) | instid1(VALU_DEP_1)
	v_lshl_or_b32 v3, s15, 2, v3
	v_ashrrev_i32_e32 v4, 31, v3
	s_waitcnt lgkmcnt(0)
	s_delay_alu instid0(VALU_DEP_1)
	v_cmp_gt_i64_e32 vcc_lo, s[2:3], v[3:4]
	s_and_b32 exec_lo, exec_lo, vcc_lo
	s_cbranch_execz .LBB29_14
; %bb.6:
	s_clause 0x1
	s_load_b32 s10, s[0:1], 0x20
	s_load_b128 s[4:7], s[0:1], 0x10
	s_mov_b32 s11, 0
	v_and_b32_e32 v0, 63, v0
	s_mov_b32 s9, exec_lo
	s_delay_alu instid0(VALU_DEP_1) | instskip(SKIP_2) | instid1(SALU_CYCLE_1)
	v_subrev_nc_u32_e32 v9, s8, v0
	s_waitcnt lgkmcnt(0)
	s_lshl_b64 s[2:3], s[10:11], 2
	s_add_u32 s2, s6, s2
	s_addc_u32 s3, s7, s3
	s_load_b32 s2, s[2:3], 0x0
	s_waitcnt lgkmcnt(0)
	v_add_nc_u32_e32 v3, s2, v3
	s_load_b64 s[2:3], s[0:1], 0x30
	s_delay_alu instid0(VALU_DEP_1) | instskip(NEXT) | instid1(VALU_DEP_1)
	v_ashrrev_i32_e32 v4, 31, v3
	v_lshlrev_b64 v[3:4], 2, v[3:4]
	s_delay_alu instid0(VALU_DEP_1) | instskip(NEXT) | instid1(VALU_DEP_2)
	v_add_co_u32 v3, vcc_lo, s4, v3
	v_add_co_ci_u32_e32 v4, vcc_lo, s5, v4, vcc_lo
	global_load_b32 v3, v[3:4], off
	s_waitcnt vmcnt(0)
	v_ashrrev_i32_e32 v4, 31, v3
	s_delay_alu instid0(VALU_DEP_1) | instskip(SKIP_1) | instid1(VALU_DEP_1)
	v_lshlrev_b64 v[7:8], 2, v[3:4]
	s_waitcnt lgkmcnt(0)
	v_add_co_u32 v7, vcc_lo, s2, v7
	s_delay_alu instid0(VALU_DEP_2)
	v_add_co_ci_u32_e32 v8, vcc_lo, s3, v8, vcc_lo
	s_load_b64 s[2:3], s[0:1], 0x58
	global_load_b64 v[7:8], v[7:8], off
	s_waitcnt vmcnt(0)
	v_subrev_nc_u32_e32 v11, s8, v8
	v_add_nc_u32_e32 v9, v7, v9
	v_mov_b32_e32 v7, 0
	v_mov_b32_e32 v8, 0
	s_delay_alu instid0(VALU_DEP_3)
	v_cmpx_lt_i32_e64 v9, v11
	s_cbranch_execz .LBB29_10
; %bb.7:
	s_clause 0x1
	s_load_b128 s[4:7], s[0:1], 0x38
	s_load_b64 s[0:1], s[0:1], 0x48
	v_mov_b32_e32 v7, 0
	v_mov_b32_e32 v8, 0
	s_set_inst_prefetch_distance 0x1
	.p2align	6
.LBB29_8:                               ; =>This Inner Loop Header: Depth=1
	v_ashrrev_i32_e32 v10, 31, v9
	s_delay_alu instid0(VALU_DEP_1) | instskip(SKIP_1) | instid1(VALU_DEP_1)
	v_lshlrev_b64 v[12:13], 2, v[9:10]
	s_waitcnt lgkmcnt(0)
	v_add_co_u32 v12, vcc_lo, s4, v12
	s_delay_alu instid0(VALU_DEP_2) | instskip(SKIP_3) | instid1(VALU_DEP_2)
	v_add_co_ci_u32_e32 v13, vcc_lo, s5, v13, vcc_lo
	global_load_b32 v14, v[12:13], off
	v_lshlrev_b64 v[12:13], 3, v[9:10]
	v_add_nc_u32_e32 v9, 64, v9
	v_add_co_u32 v12, vcc_lo, s6, v12
	s_delay_alu instid0(VALU_DEP_3) | instskip(SKIP_3) | instid1(VALU_DEP_1)
	v_add_co_ci_u32_e32 v13, vcc_lo, s7, v13, vcc_lo
	global_load_b64 v[12:13], v[12:13], off
	s_waitcnt vmcnt(1)
	v_subrev_nc_u32_e32 v14, s8, v14
	v_ashrrev_i32_e32 v15, 31, v14
	s_delay_alu instid0(VALU_DEP_1) | instskip(SKIP_2) | instid1(VALU_DEP_2)
	v_lshlrev_b64 v[14:15], 3, v[14:15]
	s_waitcnt vmcnt(0)
	v_mul_f64 v[12:13], v[5:6], v[12:13]
	v_add_co_u32 v14, vcc_lo, s0, v14
	s_delay_alu instid0(VALU_DEP_3)
	v_add_co_ci_u32_e32 v15, vcc_lo, s1, v15, vcc_lo
	v_cmp_ge_i32_e32 vcc_lo, v9, v11
	global_load_b64 v[14:15], v[14:15], off
	s_or_b32 s11, vcc_lo, s11
	s_waitcnt vmcnt(0)
	v_fma_f64 v[7:8], v[12:13], v[14:15], v[7:8]
	s_and_not1_b32 exec_lo, exec_lo, s11
	s_cbranch_execnz .LBB29_8
; %bb.9:
	s_set_inst_prefetch_distance 0x2
	s_or_b32 exec_lo, exec_lo, s11
.LBB29_10:
	s_delay_alu instid0(SALU_CYCLE_1) | instskip(SKIP_1) | instid1(VALU_DEP_1)
	s_or_b32 exec_lo, exec_lo, s9
	v_mbcnt_lo_u32_b32 v9, -1, 0
	v_or_b32_e32 v5, 32, v9
	s_delay_alu instid0(VALU_DEP_1) | instskip(SKIP_1) | instid1(VALU_DEP_1)
	v_cmp_gt_i32_e32 vcc_lo, 32, v5
	v_cndmask_b32_e32 v5, v9, v5, vcc_lo
	v_lshlrev_b32_e32 v6, 2, v5
	ds_bpermute_b32 v5, v6, v7
	ds_bpermute_b32 v6, v6, v8
	s_waitcnt lgkmcnt(0)
	v_add_f64 v[5:6], v[7:8], v[5:6]
	v_xor_b32_e32 v7, 16, v9
	s_delay_alu instid0(VALU_DEP_1) | instskip(SKIP_1) | instid1(VALU_DEP_1)
	v_cmp_gt_i32_e32 vcc_lo, 32, v7
	v_cndmask_b32_e32 v7, v9, v7, vcc_lo
	v_lshlrev_b32_e32 v8, 2, v7
	ds_bpermute_b32 v7, v8, v5
	ds_bpermute_b32 v8, v8, v6
	s_waitcnt lgkmcnt(0)
	v_add_f64 v[5:6], v[5:6], v[7:8]
	v_xor_b32_e32 v7, 8, v9
	;; [unrolled: 9-line block ×5, first 2 shown]
	s_delay_alu instid0(VALU_DEP_1) | instskip(SKIP_2) | instid1(VALU_DEP_2)
	v_cmp_gt_i32_e32 vcc_lo, 32, v7
	v_cndmask_b32_e32 v7, v9, v7, vcc_lo
	v_cmp_eq_u32_e32 vcc_lo, 63, v0
	v_lshlrev_b32_e32 v8, 2, v7
	ds_bpermute_b32 v7, v8, v5
	ds_bpermute_b32 v8, v8, v6
	s_and_b32 exec_lo, exec_lo, vcc_lo
	s_cbranch_execz .LBB29_14
; %bb.11:
	s_waitcnt lgkmcnt(0)
	v_add_f64 v[5:6], v[5:6], v[7:8]
	v_lshlrev_b64 v[3:4], 3, v[3:4]
	s_mov_b32 s0, exec_lo
	v_cmpx_neq_f64_e32 0, v[1:2]
	s_cbranch_execz .LBB29_13
; %bb.12:
	s_delay_alu instid0(VALU_DEP_2) | instskip(NEXT) | instid1(VALU_DEP_3)
	v_add_co_u32 v7, vcc_lo, s2, v3
	v_add_co_ci_u32_e32 v8, vcc_lo, s3, v4, vcc_lo
	global_load_b64 v[7:8], v[7:8], off
	s_waitcnt vmcnt(0)
	v_fma_f64 v[5:6], v[1:2], v[7:8], v[5:6]
.LBB29_13:
	s_or_b32 exec_lo, exec_lo, s0
	s_delay_alu instid0(VALU_DEP_2)
	v_add_co_u32 v0, vcc_lo, s2, v3
	v_add_co_ci_u32_e32 v1, vcc_lo, s3, v4, vcc_lo
	global_store_b64 v[0:1], v[5:6], off
.LBB29_14:
	s_nop 0
	s_sendmsg sendmsg(MSG_DEALLOC_VGPRS)
	s_endpgm
	.section	.rodata,"a",@progbits
	.p2align	6, 0x0
	.amdhsa_kernel _ZN9rocsparseL41csrmvn_lrb_medium_rows_warp_reduce_kernelILj256ELj64EiiddddEEvbT1_lPT2_S3_jNS_24const_host_device_scalarIT6_EEPKS1_PKS2_PKT3_PKT4_S6_PT5_21rocsparse_index_base_b
		.amdhsa_group_segment_fixed_size 0
		.amdhsa_private_segment_fixed_size 0
		.amdhsa_kernarg_size 104
		.amdhsa_user_sgpr_count 15
		.amdhsa_user_sgpr_dispatch_ptr 0
		.amdhsa_user_sgpr_queue_ptr 0
		.amdhsa_user_sgpr_kernarg_segment_ptr 1
		.amdhsa_user_sgpr_dispatch_id 0
		.amdhsa_user_sgpr_private_segment_size 0
		.amdhsa_wavefront_size32 1
		.amdhsa_uses_dynamic_stack 0
		.amdhsa_enable_private_segment 0
		.amdhsa_system_sgpr_workgroup_id_x 1
		.amdhsa_system_sgpr_workgroup_id_y 0
		.amdhsa_system_sgpr_workgroup_id_z 0
		.amdhsa_system_sgpr_workgroup_info 0
		.amdhsa_system_vgpr_workitem_id 0
		.amdhsa_next_free_vgpr 16
		.amdhsa_next_free_sgpr 16
		.amdhsa_reserve_vcc 1
		.amdhsa_float_round_mode_32 0
		.amdhsa_float_round_mode_16_64 0
		.amdhsa_float_denorm_mode_32 3
		.amdhsa_float_denorm_mode_16_64 3
		.amdhsa_dx10_clamp 1
		.amdhsa_ieee_mode 1
		.amdhsa_fp16_overflow 0
		.amdhsa_workgroup_processor_mode 1
		.amdhsa_memory_ordered 1
		.amdhsa_forward_progress 0
		.amdhsa_shared_vgpr_count 0
		.amdhsa_exception_fp_ieee_invalid_op 0
		.amdhsa_exception_fp_denorm_src 0
		.amdhsa_exception_fp_ieee_div_zero 0
		.amdhsa_exception_fp_ieee_overflow 0
		.amdhsa_exception_fp_ieee_underflow 0
		.amdhsa_exception_fp_ieee_inexact 0
		.amdhsa_exception_int_div_zero 0
	.end_amdhsa_kernel
	.section	.text._ZN9rocsparseL41csrmvn_lrb_medium_rows_warp_reduce_kernelILj256ELj64EiiddddEEvbT1_lPT2_S3_jNS_24const_host_device_scalarIT6_EEPKS1_PKS2_PKT3_PKT4_S6_PT5_21rocsparse_index_base_b,"axG",@progbits,_ZN9rocsparseL41csrmvn_lrb_medium_rows_warp_reduce_kernelILj256ELj64EiiddddEEvbT1_lPT2_S3_jNS_24const_host_device_scalarIT6_EEPKS1_PKS2_PKT3_PKT4_S6_PT5_21rocsparse_index_base_b,comdat
.Lfunc_end29:
	.size	_ZN9rocsparseL41csrmvn_lrb_medium_rows_warp_reduce_kernelILj256ELj64EiiddddEEvbT1_lPT2_S3_jNS_24const_host_device_scalarIT6_EEPKS1_PKS2_PKT3_PKT4_S6_PT5_21rocsparse_index_base_b, .Lfunc_end29-_ZN9rocsparseL41csrmvn_lrb_medium_rows_warp_reduce_kernelILj256ELj64EiiddddEEvbT1_lPT2_S3_jNS_24const_host_device_scalarIT6_EEPKS1_PKS2_PKT3_PKT4_S6_PT5_21rocsparse_index_base_b
                                        ; -- End function
	.section	.AMDGPU.csdata,"",@progbits
; Kernel info:
; codeLenInByte = 1024
; NumSgprs: 18
; NumVgprs: 16
; ScratchSize: 0
; MemoryBound: 0
; FloatMode: 240
; IeeeMode: 1
; LDSByteSize: 0 bytes/workgroup (compile time only)
; SGPRBlocks: 2
; VGPRBlocks: 1
; NumSGPRsForWavesPerEU: 18
; NumVGPRsForWavesPerEU: 16
; Occupancy: 16
; WaveLimiterHint : 1
; COMPUTE_PGM_RSRC2:SCRATCH_EN: 0
; COMPUTE_PGM_RSRC2:USER_SGPR: 15
; COMPUTE_PGM_RSRC2:TRAP_HANDLER: 0
; COMPUTE_PGM_RSRC2:TGID_X_EN: 1
; COMPUTE_PGM_RSRC2:TGID_Y_EN: 0
; COMPUTE_PGM_RSRC2:TGID_Z_EN: 0
; COMPUTE_PGM_RSRC2:TIDIG_COMP_CNT: 0
	.section	.text._ZN9rocsparseL29csrmvn_lrb_medium_rows_kernelILj256EiiddddEEvbT0_PT1_S3_jNS_24const_host_device_scalarIT5_EEPKS1_PKS2_PKT2_PKT3_S6_PT4_21rocsparse_index_base_b,"axG",@progbits,_ZN9rocsparseL29csrmvn_lrb_medium_rows_kernelILj256EiiddddEEvbT0_PT1_S3_jNS_24const_host_device_scalarIT5_EEPKS1_PKS2_PKT2_PKT3_S6_PT4_21rocsparse_index_base_b,comdat
	.globl	_ZN9rocsparseL29csrmvn_lrb_medium_rows_kernelILj256EiiddddEEvbT0_PT1_S3_jNS_24const_host_device_scalarIT5_EEPKS1_PKS2_PKT2_PKT3_S6_PT4_21rocsparse_index_base_b ; -- Begin function _ZN9rocsparseL29csrmvn_lrb_medium_rows_kernelILj256EiiddddEEvbT0_PT1_S3_jNS_24const_host_device_scalarIT5_EEPKS1_PKS2_PKT2_PKT3_S6_PT4_21rocsparse_index_base_b
	.p2align	8
	.type	_ZN9rocsparseL29csrmvn_lrb_medium_rows_kernelILj256EiiddddEEvbT0_PT1_S3_jNS_24const_host_device_scalarIT5_EEPKS1_PKS2_PKT2_PKT3_S6_PT4_21rocsparse_index_base_b,@function
_ZN9rocsparseL29csrmvn_lrb_medium_rows_kernelILj256EiiddddEEvbT0_PT1_S3_jNS_24const_host_device_scalarIT5_EEPKS1_PKS2_PKT2_PKT3_S6_PT4_21rocsparse_index_base_b: ; @_ZN9rocsparseL29csrmvn_lrb_medium_rows_kernelILj256EiiddddEEvbT0_PT1_S3_jNS_24const_host_device_scalarIT5_EEPKS1_PKS2_PKT2_PKT3_S6_PT4_21rocsparse_index_base_b
; %bb.0:
	s_clause 0x2
	s_load_b64 s[10:11], s[0:1], 0x58
	s_load_b64 s[4:5], s[0:1], 0x20
	;; [unrolled: 1-line block ×3, first 2 shown]
	s_waitcnt lgkmcnt(0)
	s_bitcmp1_b32 s11, 0
	v_dual_mov_b32 v3, s4 :: v_dual_mov_b32 v4, s5
	s_cselect_b32 s6, -1, 0
	s_delay_alu instid0(SALU_CYCLE_1)
	s_and_b32 vcc_lo, exec_lo, s6
	s_xor_b32 s6, s6, -1
	s_cbranch_vccnz .LBB30_2
; %bb.1:
	v_dual_mov_b32 v1, s4 :: v_dual_mov_b32 v2, s5
	flat_load_b64 v[3:4], v[1:2]
.LBB30_2:
	v_dual_mov_b32 v1, s2 :: v_dual_mov_b32 v2, s3
	s_and_not1_b32 vcc_lo, exec_lo, s6
	s_cbranch_vccnz .LBB30_4
; %bb.3:
	v_dual_mov_b32 v1, s2 :: v_dual_mov_b32 v2, s3
	flat_load_b64 v[1:2], v[1:2]
.LBB30_4:
	s_waitcnt vmcnt(0) lgkmcnt(0)
	v_cmp_neq_f64_e32 vcc_lo, 0, v[3:4]
	v_cmp_neq_f64_e64 s2, 1.0, v[1:2]
	s_delay_alu instid0(VALU_DEP_1) | instskip(NEXT) | instid1(SALU_CYCLE_1)
	s_or_b32 s2, vcc_lo, s2
	s_and_saveexec_b32 s3, s2
	s_cbranch_execz .LBB30_29
; %bb.5:
	s_clause 0x1
	s_load_b32 s12, s[0:1], 0x18
	s_load_b128 s[4:7], s[0:1], 0x8
	s_mov_b32 s13, 0
	v_subrev_nc_u32_e32 v5, s10, v0
	s_mov_b32 s11, exec_lo
	s_waitcnt lgkmcnt(0)
	s_lshl_b64 s[2:3], s[12:13], 2
	s_delay_alu instid0(SALU_CYCLE_1) | instskip(SKIP_4) | instid1(SALU_CYCLE_1)
	s_add_u32 s2, s6, s2
	s_addc_u32 s3, s7, s3
	s_load_b32 s2, s[2:3], 0x0
	s_waitcnt lgkmcnt(0)
	s_add_i32 s2, s2, s15
	s_ashr_i32 s3, s2, 31
	s_delay_alu instid0(SALU_CYCLE_1) | instskip(NEXT) | instid1(SALU_CYCLE_1)
	s_lshl_b64 s[2:3], s[2:3], 2
	s_add_u32 s2, s4, s2
	s_addc_u32 s3, s5, s3
	s_load_b32 s2, s[2:3], 0x0
	s_load_b64 s[4:5], s[0:1], 0x28
	s_waitcnt lgkmcnt(0)
	s_ashr_i32 s3, s2, 31
	s_delay_alu instid0(SALU_CYCLE_1) | instskip(NEXT) | instid1(SALU_CYCLE_1)
	s_lshl_b64 s[6:7], s[2:3], 2
	s_add_u32 s4, s4, s6
	s_addc_u32 s5, s5, s7
	s_load_b64 s[4:5], s[4:5], 0x0
	s_load_b64 s[8:9], s[0:1], 0x50
	s_waitcnt lgkmcnt(0)
	v_add_nc_u32_e32 v7, s4, v5
	v_mov_b32_e32 v5, 0
	v_mov_b32_e32 v6, 0
	s_sub_i32 s12, s5, s10
	s_delay_alu instid0(VALU_DEP_3) | instid1(SALU_CYCLE_1)
	v_cmpx_gt_i32_e64 s12, v7
	s_cbranch_execz .LBB30_9
; %bb.6:
	s_clause 0x1
	s_load_b128 s[4:7], s[0:1], 0x30
	s_load_b64 s[0:1], s[0:1], 0x40
	v_mov_b32_e32 v5, 0
	v_mov_b32_e32 v6, 0
	s_set_inst_prefetch_distance 0x1
	.p2align	6
.LBB30_7:                               ; =>This Inner Loop Header: Depth=1
	v_ashrrev_i32_e32 v8, 31, v7
	s_delay_alu instid0(VALU_DEP_1) | instskip(SKIP_1) | instid1(VALU_DEP_1)
	v_lshlrev_b64 v[9:10], 2, v[7:8]
	s_waitcnt lgkmcnt(0)
	v_add_co_u32 v9, vcc_lo, s4, v9
	s_delay_alu instid0(VALU_DEP_2) | instskip(SKIP_3) | instid1(VALU_DEP_2)
	v_add_co_ci_u32_e32 v10, vcc_lo, s5, v10, vcc_lo
	global_load_b32 v10, v[9:10], off
	v_lshlrev_b64 v[8:9], 3, v[7:8]
	v_add_nc_u32_e32 v7, 0x100, v7
	v_add_co_u32 v8, vcc_lo, s6, v8
	s_delay_alu instid0(VALU_DEP_3) | instskip(SKIP_3) | instid1(VALU_DEP_1)
	v_add_co_ci_u32_e32 v9, vcc_lo, s7, v9, vcc_lo
	global_load_b64 v[8:9], v[8:9], off
	s_waitcnt vmcnt(1)
	v_subrev_nc_u32_e32 v10, s10, v10
	v_ashrrev_i32_e32 v11, 31, v10
	s_delay_alu instid0(VALU_DEP_1) | instskip(SKIP_2) | instid1(VALU_DEP_2)
	v_lshlrev_b64 v[10:11], 3, v[10:11]
	s_waitcnt vmcnt(0)
	v_mul_f64 v[8:9], v[3:4], v[8:9]
	v_add_co_u32 v10, vcc_lo, s0, v10
	s_delay_alu instid0(VALU_DEP_3)
	v_add_co_ci_u32_e32 v11, vcc_lo, s1, v11, vcc_lo
	v_cmp_le_i32_e32 vcc_lo, s12, v7
	global_load_b64 v[10:11], v[10:11], off
	s_or_b32 s13, vcc_lo, s13
	s_waitcnt vmcnt(0)
	v_fma_f64 v[5:6], v[8:9], v[10:11], v[5:6]
	s_and_not1_b32 exec_lo, exec_lo, s13
	s_cbranch_execnz .LBB30_7
; %bb.8:
	s_set_inst_prefetch_distance 0x2
	s_or_b32 exec_lo, exec_lo, s13
.LBB30_9:
	s_delay_alu instid0(SALU_CYCLE_1)
	s_or_b32 exec_lo, exec_lo, s11
	v_lshlrev_b32_e32 v3, 3, v0
	s_mov_b32 s0, exec_lo
	ds_store_b64 v3, v[5:6]
	s_waitcnt lgkmcnt(0)
	s_barrier
	buffer_gl0_inv
	v_cmpx_gt_u32_e32 0x80, v0
	s_cbranch_execz .LBB30_11
; %bb.10:
	ds_load_2addr_stride64_b64 v[4:7], v3 offset1:2
	s_waitcnt lgkmcnt(0)
	v_add_f64 v[4:5], v[4:5], v[6:7]
	ds_store_b64 v3, v[4:5]
.LBB30_11:
	s_or_b32 exec_lo, exec_lo, s0
	s_delay_alu instid0(SALU_CYCLE_1)
	s_mov_b32 s0, exec_lo
	s_waitcnt lgkmcnt(0)
	s_barrier
	buffer_gl0_inv
	v_cmpx_gt_u32_e32 64, v0
	s_cbranch_execz .LBB30_13
; %bb.12:
	ds_load_2addr_stride64_b64 v[4:7], v3 offset1:1
	s_waitcnt lgkmcnt(0)
	v_add_f64 v[4:5], v[4:5], v[6:7]
	ds_store_b64 v3, v[4:5]
.LBB30_13:
	s_or_b32 exec_lo, exec_lo, s0
	s_delay_alu instid0(SALU_CYCLE_1)
	s_mov_b32 s0, exec_lo
	s_waitcnt lgkmcnt(0)
	s_barrier
	buffer_gl0_inv
	v_cmpx_gt_u32_e32 32, v0
	s_cbranch_execz .LBB30_15
; %bb.14:
	ds_load_2addr_b64 v[4:7], v3 offset1:32
	s_waitcnt lgkmcnt(0)
	v_add_f64 v[4:5], v[4:5], v[6:7]
	ds_store_b64 v3, v[4:5]
.LBB30_15:
	s_or_b32 exec_lo, exec_lo, s0
	s_delay_alu instid0(SALU_CYCLE_1)
	s_mov_b32 s0, exec_lo
	s_waitcnt lgkmcnt(0)
	s_barrier
	buffer_gl0_inv
	v_cmpx_gt_u32_e32 16, v0
	s_cbranch_execz .LBB30_17
; %bb.16:
	ds_load_2addr_b64 v[4:7], v3 offset1:16
	s_waitcnt lgkmcnt(0)
	v_add_f64 v[4:5], v[4:5], v[6:7]
	ds_store_b64 v3, v[4:5]
.LBB30_17:
	;; [unrolled: 14-line block ×5, first 2 shown]
	s_or_b32 exec_lo, exec_lo, s0
	v_cmp_eq_u32_e32 vcc_lo, 0, v0
	s_waitcnt lgkmcnt(0)
	s_barrier
	buffer_gl0_inv
	s_and_saveexec_b32 s0, vcc_lo
	s_cbranch_execz .LBB30_25
; %bb.24:
	v_mov_b32_e32 v0, 0
	ds_load_b128 v[3:6], v0
	s_waitcnt lgkmcnt(0)
	v_add_f64 v[3:4], v[3:4], v[5:6]
	ds_store_b64 v0, v[3:4]
.LBB30_25:
	s_or_b32 exec_lo, exec_lo, s0
	s_waitcnt lgkmcnt(0)
	s_barrier
	buffer_gl0_inv
	s_and_b32 exec_lo, exec_lo, vcc_lo
	s_cbranch_execz .LBB30_29
; %bb.26:
	v_mov_b32_e32 v0, 0
	s_mov_b32 s0, exec_lo
	ds_load_b64 v[3:4], v0
	v_cmpx_neq_f64_e32 0, v[1:2]
	s_cbranch_execz .LBB30_28
; %bb.27:
	s_lshl_b64 s[4:5], s[2:3], 3
	s_delay_alu instid0(SALU_CYCLE_1)
	s_add_u32 s4, s8, s4
	s_addc_u32 s5, s9, s5
	s_load_b64 s[4:5], s[4:5], 0x0
	s_waitcnt lgkmcnt(0)
	v_fma_f64 v[3:4], v[1:2], s[4:5], v[3:4]
.LBB30_28:
	s_or_b32 exec_lo, exec_lo, s0
	s_lshl_b64 s[0:1], s[2:3], 3
	s_delay_alu instid0(SALU_CYCLE_1)
	s_add_u32 s0, s8, s0
	s_addc_u32 s1, s9, s1
	s_waitcnt lgkmcnt(0)
	global_store_b64 v0, v[3:4], s[0:1]
.LBB30_29:
	s_nop 0
	s_sendmsg sendmsg(MSG_DEALLOC_VGPRS)
	s_endpgm
	.section	.rodata,"a",@progbits
	.p2align	6, 0x0
	.amdhsa_kernel _ZN9rocsparseL29csrmvn_lrb_medium_rows_kernelILj256EiiddddEEvbT0_PT1_S3_jNS_24const_host_device_scalarIT5_EEPKS1_PKS2_PKT2_PKT3_S6_PT4_21rocsparse_index_base_b
		.amdhsa_group_segment_fixed_size 2048
		.amdhsa_private_segment_fixed_size 0
		.amdhsa_kernarg_size 96
		.amdhsa_user_sgpr_count 15
		.amdhsa_user_sgpr_dispatch_ptr 0
		.amdhsa_user_sgpr_queue_ptr 0
		.amdhsa_user_sgpr_kernarg_segment_ptr 1
		.amdhsa_user_sgpr_dispatch_id 0
		.amdhsa_user_sgpr_private_segment_size 0
		.amdhsa_wavefront_size32 1
		.amdhsa_uses_dynamic_stack 0
		.amdhsa_enable_private_segment 0
		.amdhsa_system_sgpr_workgroup_id_x 1
		.amdhsa_system_sgpr_workgroup_id_y 0
		.amdhsa_system_sgpr_workgroup_id_z 0
		.amdhsa_system_sgpr_workgroup_info 0
		.amdhsa_system_vgpr_workitem_id 0
		.amdhsa_next_free_vgpr 12
		.amdhsa_next_free_sgpr 16
		.amdhsa_reserve_vcc 1
		.amdhsa_float_round_mode_32 0
		.amdhsa_float_round_mode_16_64 0
		.amdhsa_float_denorm_mode_32 3
		.amdhsa_float_denorm_mode_16_64 3
		.amdhsa_dx10_clamp 1
		.amdhsa_ieee_mode 1
		.amdhsa_fp16_overflow 0
		.amdhsa_workgroup_processor_mode 1
		.amdhsa_memory_ordered 1
		.amdhsa_forward_progress 0
		.amdhsa_shared_vgpr_count 0
		.amdhsa_exception_fp_ieee_invalid_op 0
		.amdhsa_exception_fp_denorm_src 0
		.amdhsa_exception_fp_ieee_div_zero 0
		.amdhsa_exception_fp_ieee_overflow 0
		.amdhsa_exception_fp_ieee_underflow 0
		.amdhsa_exception_fp_ieee_inexact 0
		.amdhsa_exception_int_div_zero 0
	.end_amdhsa_kernel
	.section	.text._ZN9rocsparseL29csrmvn_lrb_medium_rows_kernelILj256EiiddddEEvbT0_PT1_S3_jNS_24const_host_device_scalarIT5_EEPKS1_PKS2_PKT2_PKT3_S6_PT4_21rocsparse_index_base_b,"axG",@progbits,_ZN9rocsparseL29csrmvn_lrb_medium_rows_kernelILj256EiiddddEEvbT0_PT1_S3_jNS_24const_host_device_scalarIT5_EEPKS1_PKS2_PKT2_PKT3_S6_PT4_21rocsparse_index_base_b,comdat
.Lfunc_end30:
	.size	_ZN9rocsparseL29csrmvn_lrb_medium_rows_kernelILj256EiiddddEEvbT0_PT1_S3_jNS_24const_host_device_scalarIT5_EEPKS1_PKS2_PKT2_PKT3_S6_PT4_21rocsparse_index_base_b, .Lfunc_end30-_ZN9rocsparseL29csrmvn_lrb_medium_rows_kernelILj256EiiddddEEvbT0_PT1_S3_jNS_24const_host_device_scalarIT5_EEPKS1_PKS2_PKT2_PKT3_S6_PT4_21rocsparse_index_base_b
                                        ; -- End function
	.section	.AMDGPU.csdata,"",@progbits
; Kernel info:
; codeLenInByte = 1196
; NumSgprs: 18
; NumVgprs: 12
; ScratchSize: 0
; MemoryBound: 0
; FloatMode: 240
; IeeeMode: 1
; LDSByteSize: 2048 bytes/workgroup (compile time only)
; SGPRBlocks: 2
; VGPRBlocks: 1
; NumSGPRsForWavesPerEU: 18
; NumVGPRsForWavesPerEU: 12
; Occupancy: 16
; WaveLimiterHint : 1
; COMPUTE_PGM_RSRC2:SCRATCH_EN: 0
; COMPUTE_PGM_RSRC2:USER_SGPR: 15
; COMPUTE_PGM_RSRC2:TRAP_HANDLER: 0
; COMPUTE_PGM_RSRC2:TGID_X_EN: 1
; COMPUTE_PGM_RSRC2:TGID_Y_EN: 0
; COMPUTE_PGM_RSRC2:TGID_Z_EN: 0
; COMPUTE_PGM_RSRC2:TIDIG_COMP_CNT: 0
	.section	.text._ZN9rocsparseL27csrmvn_lrb_long_rows_kernelIiiddddEEvbT_PjPT0_S4_jNS_24const_host_device_scalarIT4_EEPKS1_PKS3_PKT1_PKT2_S7_PT3_21rocsparse_index_base_b,"axG",@progbits,_ZN9rocsparseL27csrmvn_lrb_long_rows_kernelIiiddddEEvbT_PjPT0_S4_jNS_24const_host_device_scalarIT4_EEPKS1_PKS3_PKT1_PKT2_S7_PT3_21rocsparse_index_base_b,comdat
	.globl	_ZN9rocsparseL27csrmvn_lrb_long_rows_kernelIiiddddEEvbT_PjPT0_S4_jNS_24const_host_device_scalarIT4_EEPKS1_PKS3_PKT1_PKT2_S7_PT3_21rocsparse_index_base_b ; -- Begin function _ZN9rocsparseL27csrmvn_lrb_long_rows_kernelIiiddddEEvbT_PjPT0_S4_jNS_24const_host_device_scalarIT4_EEPKS1_PKS3_PKT1_PKT2_S7_PT3_21rocsparse_index_base_b
	.p2align	8
	.type	_ZN9rocsparseL27csrmvn_lrb_long_rows_kernelIiiddddEEvbT_PjPT0_S4_jNS_24const_host_device_scalarIT4_EEPKS1_PKS3_PKT1_PKT2_S7_PT3_21rocsparse_index_base_b,@function
_ZN9rocsparseL27csrmvn_lrb_long_rows_kernelIiiddddEEvbT_PjPT0_S4_jNS_24const_host_device_scalarIT4_EEPKS1_PKS3_PKT1_PKT2_S7_PT3_21rocsparse_index_base_b: ; @_ZN9rocsparseL27csrmvn_lrb_long_rows_kernelIiiddddEEvbT_PjPT0_S4_jNS_24const_host_device_scalarIT4_EEPKS1_PKS3_PKT1_PKT2_S7_PT3_21rocsparse_index_base_b
; %bb.0:
	s_mov_b32 s8, s15
	s_clause 0x2
	s_load_b64 s[14:15], s[0:1], 0x60
	s_load_b64 s[4:5], s[0:1], 0x28
	;; [unrolled: 1-line block ×3, first 2 shown]
	s_waitcnt lgkmcnt(0)
	s_bitcmp1_b32 s15, 0
	v_dual_mov_b32 v1, s4 :: v_dual_mov_b32 v2, s5
	s_cselect_b32 s6, -1, 0
	s_delay_alu instid0(SALU_CYCLE_1)
	s_and_b32 vcc_lo, exec_lo, s6
	s_xor_b32 s6, s6, -1
	s_cbranch_vccnz .LBB31_2
; %bb.1:
	v_dual_mov_b32 v1, s4 :: v_dual_mov_b32 v2, s5
	flat_load_b64 v[1:2], v[1:2]
.LBB31_2:
	v_dual_mov_b32 v4, s3 :: v_dual_mov_b32 v3, s2
	s_and_not1_b32 vcc_lo, exec_lo, s6
	s_cbranch_vccnz .LBB31_4
; %bb.3:
	v_dual_mov_b32 v4, s3 :: v_dual_mov_b32 v3, s2
	flat_load_b64 v[3:4], v[3:4]
.LBB31_4:
	s_waitcnt vmcnt(0) lgkmcnt(0)
	v_cmp_neq_f64_e32 vcc_lo, 0, v[1:2]
	v_cmp_neq_f64_e64 s2, 1.0, v[3:4]
	s_delay_alu instid0(VALU_DEP_1) | instskip(NEXT) | instid1(SALU_CYCLE_1)
	s_or_b32 s2, vcc_lo, s2
	s_and_saveexec_b32 s3, s2
	s_cbranch_execz .LBB31_39
; %bb.5:
	s_clause 0x1
	s_load_b32 s2, s[0:1], 0x20
	s_load_b64 s[4:5], s[0:1], 0x18
	s_mov_b32 s3, 0
	s_mov_b32 s19, exec_lo
	s_waitcnt lgkmcnt(0)
	s_lshl_b64 s[6:7], s[2:3], 2
	s_delay_alu instid0(SALU_CYCLE_1)
	s_add_u32 s4, s4, s6
	s_addc_u32 s5, s5, s7
	s_lshl_b32 s2, -1, s2
	s_load_b32 s10, s[4:5], 0x0
	s_not_b32 s2, s2
	s_load_b128 s[4:7], s[0:1], 0x8
	s_mul_hi_u32 s2, s2, 0x2aaaaaab
	s_delay_alu instid0(SALU_CYCLE_1) | instskip(NEXT) | instid1(SALU_CYCLE_1)
	s_lshr_b32 s2, s2, 7
	s_add_i32 s9, s2, 1
	s_not_b32 s2, s2
	v_cvt_f32_u32_e32 v5, s9
	s_delay_alu instid0(VALU_DEP_1) | instskip(SKIP_2) | instid1(VALU_DEP_1)
	v_rcp_iflag_f32_e32 v5, v5
	s_waitcnt_depctr 0xfff
	v_mul_f32_e32 v5, 0x4f7ffffe, v5
	v_cvt_u32_f32_e32 v5, v5
	s_delay_alu instid0(VALU_DEP_1) | instskip(SKIP_2) | instid1(VALU_DEP_3)
	v_readfirstlane_b32 s3, v5
	v_mov_b32_e32 v5, 0
	v_mov_b32_e32 v6, 0
	s_mul_i32 s2, s2, s3
	s_delay_alu instid0(SALU_CYCLE_1) | instskip(NEXT) | instid1(SALU_CYCLE_1)
	s_mul_hi_u32 s2, s3, s2
	s_add_i32 s3, s3, s2
	s_delay_alu instid0(SALU_CYCLE_1) | instskip(NEXT) | instid1(SALU_CYCLE_1)
	s_mul_hi_u32 s2, s8, s3
	s_mul_i32 s3, s2, s9
	s_add_i32 s11, s2, 1
	s_sub_i32 s3, s8, s3
	s_delay_alu instid0(SALU_CYCLE_1)
	s_sub_i32 s12, s3, s9
	s_cmp_ge_u32 s3, s9
	s_cselect_b32 s2, s11, s2
	s_cselect_b32 s3, s12, s3
	s_add_i32 s11, s2, 1
	s_cmp_ge_u32 s3, s9
	s_cselect_b32 s11, s11, s2
	s_waitcnt lgkmcnt(0)
	s_add_i32 s2, s11, s10
	s_mul_i32 s12, s11, s9
	s_ashr_i32 s3, s2, 31
	s_sub_i32 s18, s8, s12
	s_lshl_b64 s[2:3], s[2:3], 2
	v_or_b32_e32 v7, s18, v0
	s_add_u32 s2, s6, s2
	s_addc_u32 s3, s7, s3
	s_load_b32 s6, s[2:3], 0x0
	s_load_b64 s[2:3], s[0:1], 0x30
	s_waitcnt lgkmcnt(0)
	s_ashr_i32 s7, s6, 31
	s_delay_alu instid0(SALU_CYCLE_1) | instskip(NEXT) | instid1(SALU_CYCLE_1)
	s_lshl_b64 s[10:11], s[6:7], 2
	s_add_u32 s2, s2, s10
	s_addc_u32 s3, s3, s11
	s_ashr_i32 s9, s8, 31
	s_delay_alu instid0(SALU_CYCLE_1)
	s_lshl_b64 s[10:11], s[8:9], 2
	s_load_b64 s[8:9], s[0:1], 0x58
	s_add_u32 s10, s4, s10
	s_addc_u32 s11, s5, s11
	s_load_b64 s[2:3], s[2:3], 0x0
	s_load_b32 s15, s[10:11], 0x0
	v_cmpx_eq_u32_e32 0, v7
	s_cbranch_execz .LBB31_9
; %bb.6:
	v_add_f64 v[3:4], v[3:4], -1.0
	s_lshl_b64 s[16:17], s[6:7], 3
	s_mov_b32 s20, exec_lo
	s_waitcnt lgkmcnt(0)
	s_add_u32 s16, s8, s16
	s_addc_u32 s17, s9, s17
	v_mbcnt_lo_u32_b32 v5, s20, 0
	s_load_b64 s[16:17], s[16:17], 0x0
	s_mov_b32 s21, exec_lo
	s_waitcnt vmcnt(0) expcnt(0) lgkmcnt(0)
	s_delay_alu instid0(VALU_DEP_1)
	v_cmpx_eq_u32_e32 0, v5
	s_cbranch_execz .LBB31_8
; %bb.7:
	s_ashr_i32 s13, s12, 31
	s_delay_alu instid0(SALU_CYCLE_1) | instskip(NEXT) | instid1(SALU_CYCLE_1)
	s_lshl_b64 s[22:23], s[12:13], 2
	s_add_u32 s22, s4, s22
	s_addc_u32 s23, s5, s23
	s_bcnt1_i32_b32 s13, s20
	s_delay_alu instid0(SALU_CYCLE_1) | instskip(NEXT) | instid1(SALU_CYCLE_1)
	s_and_b32 s13, s13, 1
	v_dual_mov_b32 v5, 0 :: v_dual_mov_b32 v6, s13
	global_atomic_xor_b32 v5, v6, s[22:23]
.LBB31_8:
	s_or_b32 exec_lo, exec_lo, s21
	s_delay_alu instid0(VALU_DEP_3)
	v_mul_f64 v[5:6], v[3:4], s[16:17]
.LBB31_9:
	s_or_b32 exec_lo, exec_lo, s19
	s_mul_i32 s13, s18, 0x300
	s_waitcnt lgkmcnt(0)
	s_sub_i32 s3, s3, s14
	s_sub_i32 s13, s13, s14
	s_delay_alu instid0(SALU_CYCLE_1) | instskip(SKIP_3) | instid1(SALU_CYCLE_1)
	s_add_i32 s2, s13, s2
	s_mov_b32 s13, exec_lo
	v_add_nc_u32_e32 v3, s2, v0
	s_addk_i32 s2, 0x300
	s_min_i32 s19, s2, s3
	s_delay_alu instid0(VALU_DEP_1) | instid1(SALU_CYCLE_1)
	v_cmpx_gt_i32_e64 s19, v3
	s_cbranch_execz .LBB31_13
; %bb.10:
	s_clause 0x1
	s_load_b64 s[16:17], s[0:1], 0x48
	s_load_b128 s[0:3], s[0:1], 0x38
	s_mov_b32 s20, 0
	s_set_inst_prefetch_distance 0x1
	.p2align	6
.LBB31_11:                              ; =>This Inner Loop Header: Depth=1
	v_ashrrev_i32_e32 v4, 31, v3
	s_delay_alu instid0(VALU_DEP_1) | instskip(SKIP_1) | instid1(VALU_DEP_1)
	v_lshlrev_b64 v[7:8], 2, v[3:4]
	s_waitcnt lgkmcnt(0)
	v_add_co_u32 v7, vcc_lo, s0, v7
	s_delay_alu instid0(VALU_DEP_2) | instskip(SKIP_3) | instid1(VALU_DEP_2)
	v_add_co_ci_u32_e32 v8, vcc_lo, s1, v8, vcc_lo
	global_load_b32 v9, v[7:8], off
	v_lshlrev_b64 v[7:8], 3, v[3:4]
	v_add_nc_u32_e32 v3, 0x100, v3
	v_add_co_u32 v7, vcc_lo, s2, v7
	s_delay_alu instid0(VALU_DEP_3) | instskip(SKIP_3) | instid1(VALU_DEP_1)
	v_add_co_ci_u32_e32 v8, vcc_lo, s3, v8, vcc_lo
	global_load_b64 v[7:8], v[7:8], off
	s_waitcnt vmcnt(1)
	v_subrev_nc_u32_e32 v9, s14, v9
	v_ashrrev_i32_e32 v10, 31, v9
	s_delay_alu instid0(VALU_DEP_1) | instskip(SKIP_2) | instid1(VALU_DEP_2)
	v_lshlrev_b64 v[9:10], 3, v[9:10]
	s_waitcnt vmcnt(0)
	v_mul_f64 v[7:8], v[1:2], v[7:8]
	v_add_co_u32 v9, vcc_lo, s16, v9
	s_delay_alu instid0(VALU_DEP_3)
	v_add_co_ci_u32_e32 v10, vcc_lo, s17, v10, vcc_lo
	v_cmp_le_i32_e32 vcc_lo, s19, v3
	global_load_b64 v[9:10], v[9:10], off
	s_or_b32 s20, vcc_lo, s20
	s_waitcnt vmcnt(0)
	v_fma_f64 v[5:6], v[7:8], v[9:10], v[5:6]
	s_and_not1_b32 exec_lo, exec_lo, s20
	s_cbranch_execnz .LBB31_11
; %bb.12:
	s_set_inst_prefetch_distance 0x2
	s_or_b32 exec_lo, exec_lo, s20
.LBB31_13:
	s_delay_alu instid0(SALU_CYCLE_1)
	s_or_b32 exec_lo, exec_lo, s13
	v_lshlrev_b32_e32 v1, 3, v0
	s_mov_b32 s0, exec_lo
	ds_store_b64 v1, v[5:6]
	s_waitcnt lgkmcnt(0)
	s_waitcnt_vscnt null, 0x0
	s_barrier
	buffer_gl0_inv
	v_cmpx_gt_u32_e32 0x80, v0
	s_cbranch_execz .LBB31_15
; %bb.14:
	ds_load_2addr_stride64_b64 v[2:5], v1 offset1:2
	s_waitcnt lgkmcnt(0)
	v_add_f64 v[2:3], v[2:3], v[4:5]
	ds_store_b64 v1, v[2:3]
.LBB31_15:
	s_or_b32 exec_lo, exec_lo, s0
	s_delay_alu instid0(SALU_CYCLE_1)
	s_mov_b32 s0, exec_lo
	s_waitcnt lgkmcnt(0)
	s_barrier
	buffer_gl0_inv
	v_cmpx_gt_u32_e32 64, v0
	s_cbranch_execz .LBB31_17
; %bb.16:
	ds_load_2addr_stride64_b64 v[2:5], v1 offset1:1
	s_waitcnt lgkmcnt(0)
	v_add_f64 v[2:3], v[2:3], v[4:5]
	ds_store_b64 v1, v[2:3]
.LBB31_17:
	s_or_b32 exec_lo, exec_lo, s0
	s_delay_alu instid0(SALU_CYCLE_1)
	s_mov_b32 s0, exec_lo
	s_waitcnt lgkmcnt(0)
	s_barrier
	buffer_gl0_inv
	v_cmpx_gt_u32_e32 32, v0
	s_cbranch_execz .LBB31_19
; %bb.18:
	ds_load_2addr_b64 v[2:5], v1 offset1:32
	s_waitcnt lgkmcnt(0)
	v_add_f64 v[2:3], v[2:3], v[4:5]
	ds_store_b64 v1, v[2:3]
.LBB31_19:
	s_or_b32 exec_lo, exec_lo, s0
	s_delay_alu instid0(SALU_CYCLE_1)
	s_mov_b32 s0, exec_lo
	s_waitcnt lgkmcnt(0)
	s_barrier
	buffer_gl0_inv
	v_cmpx_gt_u32_e32 16, v0
	s_cbranch_execz .LBB31_21
; %bb.20:
	ds_load_2addr_b64 v[2:5], v1 offset1:16
	s_waitcnt lgkmcnt(0)
	v_add_f64 v[2:3], v[2:3], v[4:5]
	ds_store_b64 v1, v[2:3]
.LBB31_21:
	;; [unrolled: 14-line block ×5, first 2 shown]
	s_or_b32 exec_lo, exec_lo, s0
	v_cmp_eq_u32_e32 vcc_lo, 0, v0
	s_waitcnt lgkmcnt(0)
	s_barrier
	buffer_gl0_inv
	s_and_saveexec_b32 s0, vcc_lo
	s_cbranch_execz .LBB31_29
; %bb.28:
	v_mov_b32_e32 v4, 0
	ds_load_b128 v[0:3], v4
	s_waitcnt lgkmcnt(0)
	v_add_f64 v[0:1], v[0:1], v[2:3]
	ds_store_b64 v4, v[0:1]
.LBB31_29:
	s_or_b32 exec_lo, exec_lo, s0
	s_waitcnt lgkmcnt(0)
	s_barrier
	buffer_gl0_inv
	s_and_b32 exec_lo, exec_lo, vcc_lo
	s_cbranch_execz .LBB31_39
; %bb.30:
	s_cmp_eq_u32 s18, 0
	s_cbranch_scc1 .LBB31_36
; %bb.31:
	s_ashr_i32 s13, s12, 31
	v_mov_b32_e32 v0, 0
	s_lshl_b64 s[0:1], s[12:13], 2
	s_delay_alu instid0(SALU_CYCLE_1)
	s_add_u32 s0, s4, s0
	s_addc_u32 s1, s5, s1
	s_branch .LBB31_33
.LBB31_32:                              ;   in Loop: Header=BB31_33 Depth=1
	s_or_b32 exec_lo, exec_lo, s2
	s_waitcnt vmcnt(0)
	v_readfirstlane_b32 s2, v1
	s_delay_alu instid0(VALU_DEP_1)
	s_cmp_eq_u32 s2, s15
	s_cbranch_scc0 .LBB31_35
.LBB31_33:                              ; =>This Inner Loop Header: Depth=1
	v_mbcnt_lo_u32_b32 v1, exec_lo, 0
	s_delay_alu instid0(VALU_DEP_1)
	v_cmp_eq_u32_e32 vcc_lo, 0, v1
                                        ; implicit-def: $vgpr1
	s_and_saveexec_b32 s2, vcc_lo
	s_cbranch_execz .LBB31_32
; %bb.34:                               ;   in Loop: Header=BB31_33 Depth=1
	global_load_b32 v1, v0, s[0:1] glc
	s_branch .LBB31_32
.LBB31_35:
	v_mov_b32_e32 v0, 0
	global_load_b32 v1, v0, s[10:11]
	s_waitcnt vmcnt(0)
	v_xor_b32_e32 v1, 1, v1
	global_store_b32 v0, v1, s[10:11]
.LBB31_36:
	s_mov_b32 s2, exec_lo
	s_delay_alu instid0(SALU_CYCLE_1) | instskip(NEXT) | instid1(VALU_DEP_1)
	v_mbcnt_lo_u32_b32 v0, s2, 0
	v_cmp_eq_u32_e32 vcc_lo, 0, v0
	s_and_b32 s0, exec_lo, vcc_lo
	s_delay_alu instid0(SALU_CYCLE_1)
	s_mov_b32 exec_lo, s0
	s_cbranch_execz .LBB31_39
; %bb.37:
	s_lshl_b64 s[0:1], s[6:7], 3
	v_mov_b32_e32 v6, 0
	s_add_u32 s0, s8, s0
	s_addc_u32 s1, s9, s1
	s_bcnt1_i32_b32 s2, s2
	global_load_b64 v[2:3], v6, s[0:1]
	ds_load_b64 v[4:5], v6
	v_cvt_f64_u32_e32 v[0:1], s2
	s_mov_b32 s2, 0
	s_waitcnt lgkmcnt(0)
	s_delay_alu instid0(VALU_DEP_1)
	v_mul_f64 v[4:5], v[4:5], v[0:1]
.LBB31_38:                              ; =>This Inner Loop Header: Depth=1
	s_waitcnt vmcnt(0)
	s_delay_alu instid0(VALU_DEP_1)
	v_add_f64 v[0:1], v[2:3], v[4:5]
	global_atomic_cmpswap_b64 v[0:1], v6, v[0:3], s[0:1] glc
	s_waitcnt vmcnt(0)
	v_cmp_eq_u64_e32 vcc_lo, v[0:1], v[2:3]
	v_dual_mov_b32 v3, v1 :: v_dual_mov_b32 v2, v0
	s_or_b32 s2, vcc_lo, s2
	s_delay_alu instid0(SALU_CYCLE_1)
	s_and_not1_b32 exec_lo, exec_lo, s2
	s_cbranch_execnz .LBB31_38
.LBB31_39:
	s_nop 0
	s_sendmsg sendmsg(MSG_DEALLOC_VGPRS)
	s_endpgm
	.section	.rodata,"a",@progbits
	.p2align	6, 0x0
	.amdhsa_kernel _ZN9rocsparseL27csrmvn_lrb_long_rows_kernelIiiddddEEvbT_PjPT0_S4_jNS_24const_host_device_scalarIT4_EEPKS1_PKS3_PKT1_PKT2_S7_PT3_21rocsparse_index_base_b
		.amdhsa_group_segment_fixed_size 2048
		.amdhsa_private_segment_fixed_size 0
		.amdhsa_kernarg_size 104
		.amdhsa_user_sgpr_count 15
		.amdhsa_user_sgpr_dispatch_ptr 0
		.amdhsa_user_sgpr_queue_ptr 0
		.amdhsa_user_sgpr_kernarg_segment_ptr 1
		.amdhsa_user_sgpr_dispatch_id 0
		.amdhsa_user_sgpr_private_segment_size 0
		.amdhsa_wavefront_size32 1
		.amdhsa_uses_dynamic_stack 0
		.amdhsa_enable_private_segment 0
		.amdhsa_system_sgpr_workgroup_id_x 1
		.amdhsa_system_sgpr_workgroup_id_y 0
		.amdhsa_system_sgpr_workgroup_id_z 0
		.amdhsa_system_sgpr_workgroup_info 0
		.amdhsa_system_vgpr_workitem_id 0
		.amdhsa_next_free_vgpr 11
		.amdhsa_next_free_sgpr 24
		.amdhsa_reserve_vcc 1
		.amdhsa_float_round_mode_32 0
		.amdhsa_float_round_mode_16_64 0
		.amdhsa_float_denorm_mode_32 3
		.amdhsa_float_denorm_mode_16_64 3
		.amdhsa_dx10_clamp 1
		.amdhsa_ieee_mode 1
		.amdhsa_fp16_overflow 0
		.amdhsa_workgroup_processor_mode 1
		.amdhsa_memory_ordered 1
		.amdhsa_forward_progress 0
		.amdhsa_shared_vgpr_count 0
		.amdhsa_exception_fp_ieee_invalid_op 0
		.amdhsa_exception_fp_denorm_src 0
		.amdhsa_exception_fp_ieee_div_zero 0
		.amdhsa_exception_fp_ieee_overflow 0
		.amdhsa_exception_fp_ieee_underflow 0
		.amdhsa_exception_fp_ieee_inexact 0
		.amdhsa_exception_int_div_zero 0
	.end_amdhsa_kernel
	.section	.text._ZN9rocsparseL27csrmvn_lrb_long_rows_kernelIiiddddEEvbT_PjPT0_S4_jNS_24const_host_device_scalarIT4_EEPKS1_PKS3_PKT1_PKT2_S7_PT3_21rocsparse_index_base_b,"axG",@progbits,_ZN9rocsparseL27csrmvn_lrb_long_rows_kernelIiiddddEEvbT_PjPT0_S4_jNS_24const_host_device_scalarIT4_EEPKS1_PKS3_PKT1_PKT2_S7_PT3_21rocsparse_index_base_b,comdat
.Lfunc_end31:
	.size	_ZN9rocsparseL27csrmvn_lrb_long_rows_kernelIiiddddEEvbT_PjPT0_S4_jNS_24const_host_device_scalarIT4_EEPKS1_PKS3_PKT1_PKT2_S7_PT3_21rocsparse_index_base_b, .Lfunc_end31-_ZN9rocsparseL27csrmvn_lrb_long_rows_kernelIiiddddEEvbT_PjPT0_S4_jNS_24const_host_device_scalarIT4_EEPKS1_PKS3_PKT1_PKT2_S7_PT3_21rocsparse_index_base_b
                                        ; -- End function
	.section	.AMDGPU.csdata,"",@progbits
; Kernel info:
; codeLenInByte = 1732
; NumSgprs: 26
; NumVgprs: 11
; ScratchSize: 0
; MemoryBound: 0
; FloatMode: 240
; IeeeMode: 1
; LDSByteSize: 2048 bytes/workgroup (compile time only)
; SGPRBlocks: 3
; VGPRBlocks: 1
; NumSGPRsForWavesPerEU: 26
; NumVGPRsForWavesPerEU: 11
; Occupancy: 16
; WaveLimiterHint : 1
; COMPUTE_PGM_RSRC2:SCRATCH_EN: 0
; COMPUTE_PGM_RSRC2:USER_SGPR: 15
; COMPUTE_PGM_RSRC2:TRAP_HANDLER: 0
; COMPUTE_PGM_RSRC2:TGID_X_EN: 1
; COMPUTE_PGM_RSRC2:TGID_Y_EN: 0
; COMPUTE_PGM_RSRC2:TGID_Z_EN: 0
; COMPUTE_PGM_RSRC2:TIDIG_COMP_CNT: 0
	.section	.text._ZN9rocsparseL28csrmvn_lrb_short_rows_kernelIliddddEEvbT_PT0_S3_jNS_24const_host_device_scalarIT4_EEPKS1_PKS2_PKT1_PKT2_S6_PT3_21rocsparse_index_base_b,"axG",@progbits,_ZN9rocsparseL28csrmvn_lrb_short_rows_kernelIliddddEEvbT_PT0_S3_jNS_24const_host_device_scalarIT4_EEPKS1_PKS2_PKT1_PKT2_S6_PT3_21rocsparse_index_base_b,comdat
	.globl	_ZN9rocsparseL28csrmvn_lrb_short_rows_kernelIliddddEEvbT_PT0_S3_jNS_24const_host_device_scalarIT4_EEPKS1_PKS2_PKT1_PKT2_S6_PT3_21rocsparse_index_base_b ; -- Begin function _ZN9rocsparseL28csrmvn_lrb_short_rows_kernelIliddddEEvbT_PT0_S3_jNS_24const_host_device_scalarIT4_EEPKS1_PKS2_PKT1_PKT2_S6_PT3_21rocsparse_index_base_b
	.p2align	8
	.type	_ZN9rocsparseL28csrmvn_lrb_short_rows_kernelIliddddEEvbT_PT0_S3_jNS_24const_host_device_scalarIT4_EEPKS1_PKS2_PKT1_PKT2_S6_PT3_21rocsparse_index_base_b,@function
_ZN9rocsparseL28csrmvn_lrb_short_rows_kernelIliddddEEvbT_PT0_S3_jNS_24const_host_device_scalarIT4_EEPKS1_PKS2_PKT1_PKT2_S6_PT3_21rocsparse_index_base_b: ; @_ZN9rocsparseL28csrmvn_lrb_short_rows_kernelIliddddEEvbT_PT0_S3_jNS_24const_host_device_scalarIT4_EEPKS1_PKS2_PKT1_PKT2_S6_PT3_21rocsparse_index_base_b
; %bb.0:
	s_clause 0x2
	s_load_b64 s[12:13], s[0:1], 0x60
	s_load_b64 s[4:5], s[0:1], 0x28
	;; [unrolled: 1-line block ×3, first 2 shown]
	s_waitcnt lgkmcnt(0)
	s_bitcmp1_b32 s13, 0
	v_dual_mov_b32 v8, s5 :: v_dual_mov_b32 v7, s4
	s_cselect_b32 s6, -1, 0
	s_delay_alu instid0(SALU_CYCLE_1)
	s_and_b32 vcc_lo, exec_lo, s6
	s_xor_b32 s6, s6, -1
	s_cbranch_vccnz .LBB32_2
; %bb.1:
	v_dual_mov_b32 v1, s4 :: v_dual_mov_b32 v2, s5
	flat_load_b64 v[7:8], v[1:2]
.LBB32_2:
	v_dual_mov_b32 v6, s3 :: v_dual_mov_b32 v5, s2
	s_and_not1_b32 vcc_lo, exec_lo, s6
	s_cbranch_vccnz .LBB32_4
; %bb.3:
	v_dual_mov_b32 v1, s2 :: v_dual_mov_b32 v2, s3
	flat_load_b64 v[5:6], v[1:2]
.LBB32_4:
	s_waitcnt vmcnt(0) lgkmcnt(0)
	v_cmp_neq_f64_e32 vcc_lo, 0, v[7:8]
	v_cmp_neq_f64_e64 s2, 1.0, v[5:6]
	s_delay_alu instid0(VALU_DEP_1) | instskip(NEXT) | instid1(SALU_CYCLE_1)
	s_or_b32 s2, vcc_lo, s2
	s_and_saveexec_b32 s3, s2
	s_cbranch_execz .LBB32_18
; %bb.5:
	s_clause 0x1
	s_load_b32 s2, s[0:1], 0x20
	s_load_b128 s[16:19], s[0:1], 0x10
	s_mov_b32 s3, 0
	s_delay_alu instid0(SALU_CYCLE_1) | instskip(SKIP_2) | instid1(SALU_CYCLE_1)
	s_mov_b32 s7, s3
	s_waitcnt lgkmcnt(0)
	s_lshl_b64 s[4:5], s[2:3], 2
	s_add_u32 s4, s18, s4
	s_addc_u32 s5, s19, s5
	s_add_i32 s6, s2, 1
	s_delay_alu instid0(SALU_CYCLE_1) | instskip(NEXT) | instid1(SALU_CYCLE_1)
	s_lshl_b64 s[6:7], s[6:7], 2
	s_add_u32 s6, s18, s6
	s_addc_u32 s7, s19, s7
	s_clause 0x1
	s_load_b32 s13, s[4:5], 0x0
	s_load_b32 s4, s[6:7], 0x0
	s_lshl_b32 s14, s15, 8
	s_delay_alu instid0(SALU_CYCLE_1) | instskip(SKIP_2) | instid1(SALU_CYCLE_1)
	s_add_i32 s5, s14, 0x100
	s_waitcnt lgkmcnt(0)
	s_sub_i32 s4, s4, s13
	s_min_u32 s15, s4, s5
	s_cmp_gt_u32 s2, 23
	s_cbranch_scc1 .LBB32_12
; %bb.6:
	s_load_b256 s[4:11], s[0:1], 0x30
	v_mov_b32_e32 v10, 0
	v_bfe_u32 v11, v0, 0, s2
	v_lshl_add_u32 v13, v0, 3, 0
	s_lshl_b32 s18, 0x100, s2
	s_delay_alu instid0(VALU_DEP_3)
	v_mov_b32_e32 v12, v10
	s_branch .LBB32_9
.LBB32_7:                               ;   in Loop: Header=BB32_9 Depth=1
	s_or_b32 exec_lo, exec_lo, s20
	ds_store_b64 v13, v[3:4]
.LBB32_8:                               ;   in Loop: Header=BB32_9 Depth=1
	s_or_b32 exec_lo, exec_lo, s19
	v_add_nc_u32_e32 v13, 0x800, v13
	s_addk_i32 s3, 0x100
	s_delay_alu instid0(SALU_CYCLE_1)
	s_cmp_ge_u32 s3, s18
	s_cbranch_scc1 .LBB32_12
.LBB32_9:                               ; =>This Inner Loop Header: Depth=1
	v_add_nc_u32_e32 v1, s3, v0
	s_mov_b32 s19, exec_lo
	s_delay_alu instid0(VALU_DEP_1) | instskip(NEXT) | instid1(VALU_DEP_1)
	v_lshrrev_b32_e32 v1, s2, v1
	v_add_nc_u32_e32 v1, s14, v1
	s_delay_alu instid0(VALU_DEP_1)
	v_cmpx_gt_u32_e64 s15, v1
	s_cbranch_execz .LBB32_8
; %bb.10:                               ;   in Loop: Header=BB32_9 Depth=1
	v_add_nc_u32_e32 v9, s13, v1
	s_delay_alu instid0(VALU_DEP_1) | instskip(NEXT) | instid1(VALU_DEP_1)
	v_lshlrev_b64 v[1:2], 2, v[9:10]
	v_add_co_u32 v1, vcc_lo, s16, v1
	s_delay_alu instid0(VALU_DEP_2) | instskip(SKIP_3) | instid1(VALU_DEP_1)
	v_add_co_ci_u32_e32 v2, vcc_lo, s17, v2, vcc_lo
	global_load_b32 v1, v[1:2], off
	s_waitcnt vmcnt(0)
	v_ashrrev_i32_e32 v2, 31, v1
	v_lshlrev_b64 v[1:2], 3, v[1:2]
	s_waitcnt lgkmcnt(0)
	s_delay_alu instid0(VALU_DEP_1) | instskip(NEXT) | instid1(VALU_DEP_2)
	v_add_co_u32 v1, vcc_lo, s4, v1
	v_add_co_ci_u32_e32 v2, vcc_lo, s5, v2, vcc_lo
	global_load_b128 v[1:4], v[1:2], off
	s_waitcnt vmcnt(0)
	v_sub_co_u32 v3, vcc_lo, v3, v1
	v_sub_co_ci_u32_e32 v4, vcc_lo, v4, v2, vcc_lo
	s_delay_alu instid0(VALU_DEP_1)
	v_cmp_gt_i64_e32 vcc_lo, v[3:4], v[11:12]
	v_mov_b32_e32 v3, 0
	v_mov_b32_e32 v4, 0
	s_and_saveexec_b32 s20, vcc_lo
	s_cbranch_execz .LBB32_7
; %bb.11:                               ;   in Loop: Header=BB32_9 Depth=1
	v_sub_co_u32 v1, vcc_lo, v1, s12
	v_subrev_co_ci_u32_e32 v2, vcc_lo, 0, v2, vcc_lo
	s_delay_alu instid0(VALU_DEP_2) | instskip(NEXT) | instid1(VALU_DEP_2)
	v_add_co_u32 v1, vcc_lo, v1, v11
	v_add_co_ci_u32_e32 v2, vcc_lo, 0, v2, vcc_lo
	s_delay_alu instid0(VALU_DEP_1) | instskip(SKIP_1) | instid1(VALU_DEP_2)
	v_lshlrev_b64 v[3:4], 2, v[1:2]
	v_lshlrev_b64 v[1:2], 3, v[1:2]
	v_add_co_u32 v3, vcc_lo, s6, v3
	s_delay_alu instid0(VALU_DEP_3) | instskip(NEXT) | instid1(VALU_DEP_3)
	v_add_co_ci_u32_e32 v4, vcc_lo, s7, v4, vcc_lo
	v_add_co_u32 v1, vcc_lo, s8, v1
	s_delay_alu instid0(VALU_DEP_4)
	v_add_co_ci_u32_e32 v2, vcc_lo, s9, v2, vcc_lo
	global_load_b32 v3, v[3:4], off
	global_load_b64 v[1:2], v[1:2], off
	s_waitcnt vmcnt(1)
	v_subrev_nc_u32_e32 v3, s12, v3
	s_waitcnt vmcnt(0)
	v_mul_f64 v[1:2], v[7:8], v[1:2]
	s_delay_alu instid0(VALU_DEP_2) | instskip(NEXT) | instid1(VALU_DEP_1)
	v_ashrrev_i32_e32 v4, 31, v3
	v_lshlrev_b64 v[3:4], 3, v[3:4]
	s_delay_alu instid0(VALU_DEP_1) | instskip(NEXT) | instid1(VALU_DEP_2)
	v_add_co_u32 v3, vcc_lo, s10, v3
	v_add_co_ci_u32_e32 v4, vcc_lo, s11, v4, vcc_lo
	global_load_b64 v[3:4], v[3:4], off
	s_waitcnt vmcnt(0)
	v_mul_f64 v[3:4], v[1:2], v[3:4]
	s_branch .LBB32_7
.LBB32_12:
	s_sub_i32 s3, s15, s14
	s_waitcnt lgkmcnt(0)
	v_cmp_gt_u32_e32 vcc_lo, s3, v0
	s_barrier
	buffer_gl0_inv
	s_and_b32 exec_lo, exec_lo, vcc_lo
	s_cbranch_execz .LBB32_18
; %bb.13:
	v_add3_u32 v1, s13, s14, v0
	v_dual_mov_b32 v2, 0 :: v_dual_lshlrev_b32 v3, s2, v0
	s_load_b64 s[0:1], s[0:1], 0x58
	s_mov_b32 s3, 1
	s_delay_alu instid0(VALU_DEP_1) | instskip(NEXT) | instid1(VALU_DEP_2)
	v_lshlrev_b64 v[1:2], 2, v[1:2]
	v_lshl_add_u32 v3, v3, 3, 0
	s_delay_alu instid0(VALU_DEP_2) | instskip(NEXT) | instid1(VALU_DEP_3)
	v_add_co_u32 v1, vcc_lo, s16, v1
	v_add_co_ci_u32_e32 v2, vcc_lo, s17, v2, vcc_lo
	global_load_b32 v2, v[1:2], off
	v_mov_b32_e32 v0, 0
	v_mov_b32_e32 v1, 0
.LBB32_14:                              ; =>This Inner Loop Header: Depth=1
	ds_load_b64 v[7:8], v3
	v_add_nc_u32_e32 v3, 8, v3
	s_lshr_b32 s4, s3, s2
	s_add_i32 s3, s3, 1
	s_cmp_lg_u32 s4, 0
	s_waitcnt lgkmcnt(0)
	v_add_f64 v[0:1], v[0:1], v[7:8]
	s_cbranch_scc0 .LBB32_14
; %bb.15:
	s_waitcnt vmcnt(0)
	v_ashrrev_i32_e32 v3, 31, v2
	s_mov_b32 s2, exec_lo
	s_delay_alu instid0(VALU_DEP_1)
	v_lshlrev_b64 v[2:3], 3, v[2:3]
	v_cmpx_neq_f64_e32 0, v[5:6]
	s_cbranch_execz .LBB32_17
; %bb.16:
	s_delay_alu instid0(VALU_DEP_2) | instskip(NEXT) | instid1(VALU_DEP_3)
	v_add_co_u32 v7, vcc_lo, s0, v2
	v_add_co_ci_u32_e32 v8, vcc_lo, s1, v3, vcc_lo
	global_load_b64 v[7:8], v[7:8], off
	s_waitcnt vmcnt(0)
	v_fma_f64 v[0:1], v[5:6], v[7:8], v[0:1]
.LBB32_17:
	s_or_b32 exec_lo, exec_lo, s2
	s_delay_alu instid0(VALU_DEP_2) | instskip(NEXT) | instid1(VALU_DEP_3)
	v_add_co_u32 v2, vcc_lo, s0, v2
	v_add_co_ci_u32_e32 v3, vcc_lo, s1, v3, vcc_lo
	global_store_b64 v[2:3], v[0:1], off
.LBB32_18:
	s_nop 0
	s_sendmsg sendmsg(MSG_DEALLOC_VGPRS)
	s_endpgm
	.section	.rodata,"a",@progbits
	.p2align	6, 0x0
	.amdhsa_kernel _ZN9rocsparseL28csrmvn_lrb_short_rows_kernelIliddddEEvbT_PT0_S3_jNS_24const_host_device_scalarIT4_EEPKS1_PKS2_PKT1_PKT2_S6_PT3_21rocsparse_index_base_b
		.amdhsa_group_segment_fixed_size 0
		.amdhsa_private_segment_fixed_size 0
		.amdhsa_kernarg_size 104
		.amdhsa_user_sgpr_count 15
		.amdhsa_user_sgpr_dispatch_ptr 0
		.amdhsa_user_sgpr_queue_ptr 0
		.amdhsa_user_sgpr_kernarg_segment_ptr 1
		.amdhsa_user_sgpr_dispatch_id 0
		.amdhsa_user_sgpr_private_segment_size 0
		.amdhsa_wavefront_size32 1
		.amdhsa_uses_dynamic_stack 0
		.amdhsa_enable_private_segment 0
		.amdhsa_system_sgpr_workgroup_id_x 1
		.amdhsa_system_sgpr_workgroup_id_y 0
		.amdhsa_system_sgpr_workgroup_id_z 0
		.amdhsa_system_sgpr_workgroup_info 0
		.amdhsa_system_vgpr_workitem_id 0
		.amdhsa_next_free_vgpr 14
		.amdhsa_next_free_sgpr 21
		.amdhsa_reserve_vcc 1
		.amdhsa_float_round_mode_32 0
		.amdhsa_float_round_mode_16_64 0
		.amdhsa_float_denorm_mode_32 3
		.amdhsa_float_denorm_mode_16_64 3
		.amdhsa_dx10_clamp 1
		.amdhsa_ieee_mode 1
		.amdhsa_fp16_overflow 0
		.amdhsa_workgroup_processor_mode 1
		.amdhsa_memory_ordered 1
		.amdhsa_forward_progress 0
		.amdhsa_shared_vgpr_count 0
		.amdhsa_exception_fp_ieee_invalid_op 0
		.amdhsa_exception_fp_denorm_src 0
		.amdhsa_exception_fp_ieee_div_zero 0
		.amdhsa_exception_fp_ieee_overflow 0
		.amdhsa_exception_fp_ieee_underflow 0
		.amdhsa_exception_fp_ieee_inexact 0
		.amdhsa_exception_int_div_zero 0
	.end_amdhsa_kernel
	.section	.text._ZN9rocsparseL28csrmvn_lrb_short_rows_kernelIliddddEEvbT_PT0_S3_jNS_24const_host_device_scalarIT4_EEPKS1_PKS2_PKT1_PKT2_S6_PT3_21rocsparse_index_base_b,"axG",@progbits,_ZN9rocsparseL28csrmvn_lrb_short_rows_kernelIliddddEEvbT_PT0_S3_jNS_24const_host_device_scalarIT4_EEPKS1_PKS2_PKT1_PKT2_S6_PT3_21rocsparse_index_base_b,comdat
.Lfunc_end32:
	.size	_ZN9rocsparseL28csrmvn_lrb_short_rows_kernelIliddddEEvbT_PT0_S3_jNS_24const_host_device_scalarIT4_EEPKS1_PKS2_PKT1_PKT2_S6_PT3_21rocsparse_index_base_b, .Lfunc_end32-_ZN9rocsparseL28csrmvn_lrb_short_rows_kernelIliddddEEvbT_PT0_S3_jNS_24const_host_device_scalarIT4_EEPKS1_PKS2_PKT1_PKT2_S6_PT3_21rocsparse_index_base_b
                                        ; -- End function
	.section	.AMDGPU.csdata,"",@progbits
; Kernel info:
; codeLenInByte = 948
; NumSgprs: 23
; NumVgprs: 14
; ScratchSize: 0
; MemoryBound: 0
; FloatMode: 240
; IeeeMode: 1
; LDSByteSize: 0 bytes/workgroup (compile time only)
; SGPRBlocks: 2
; VGPRBlocks: 1
; NumSGPRsForWavesPerEU: 23
; NumVGPRsForWavesPerEU: 14
; Occupancy: 16
; WaveLimiterHint : 1
; COMPUTE_PGM_RSRC2:SCRATCH_EN: 0
; COMPUTE_PGM_RSRC2:USER_SGPR: 15
; COMPUTE_PGM_RSRC2:TRAP_HANDLER: 0
; COMPUTE_PGM_RSRC2:TGID_X_EN: 1
; COMPUTE_PGM_RSRC2:TGID_Y_EN: 0
; COMPUTE_PGM_RSRC2:TGID_Z_EN: 0
; COMPUTE_PGM_RSRC2:TIDIG_COMP_CNT: 0
	.section	.text._ZN9rocsparseL30csrmvn_lrb_short_rows_2_kernelIliddddEEvbT_PT0_S3_jNS_24const_host_device_scalarIT4_EEPKS1_PKS2_PKT1_PKT2_S6_PT3_21rocsparse_index_base_b,"axG",@progbits,_ZN9rocsparseL30csrmvn_lrb_short_rows_2_kernelIliddddEEvbT_PT0_S3_jNS_24const_host_device_scalarIT4_EEPKS1_PKS2_PKT1_PKT2_S6_PT3_21rocsparse_index_base_b,comdat
	.globl	_ZN9rocsparseL30csrmvn_lrb_short_rows_2_kernelIliddddEEvbT_PT0_S3_jNS_24const_host_device_scalarIT4_EEPKS1_PKS2_PKT1_PKT2_S6_PT3_21rocsparse_index_base_b ; -- Begin function _ZN9rocsparseL30csrmvn_lrb_short_rows_2_kernelIliddddEEvbT_PT0_S3_jNS_24const_host_device_scalarIT4_EEPKS1_PKS2_PKT1_PKT2_S6_PT3_21rocsparse_index_base_b
	.p2align	8
	.type	_ZN9rocsparseL30csrmvn_lrb_short_rows_2_kernelIliddddEEvbT_PT0_S3_jNS_24const_host_device_scalarIT4_EEPKS1_PKS2_PKT1_PKT2_S6_PT3_21rocsparse_index_base_b,@function
_ZN9rocsparseL30csrmvn_lrb_short_rows_2_kernelIliddddEEvbT_PT0_S3_jNS_24const_host_device_scalarIT4_EEPKS1_PKS2_PKT1_PKT2_S6_PT3_21rocsparse_index_base_b: ; @_ZN9rocsparseL30csrmvn_lrb_short_rows_2_kernelIliddddEEvbT_PT0_S3_jNS_24const_host_device_scalarIT4_EEPKS1_PKS2_PKT1_PKT2_S6_PT3_21rocsparse_index_base_b
; %bb.0:
	s_clause 0x2
	s_load_b64 s[16:17], s[0:1], 0x60
	s_load_b64 s[4:5], s[0:1], 0x28
	;; [unrolled: 1-line block ×3, first 2 shown]
	s_waitcnt lgkmcnt(0)
	s_bitcmp1_b32 s17, 0
	v_dual_mov_b32 v8, s5 :: v_dual_mov_b32 v7, s4
	s_cselect_b32 s6, -1, 0
	s_delay_alu instid0(SALU_CYCLE_1)
	s_and_b32 vcc_lo, exec_lo, s6
	s_xor_b32 s6, s6, -1
	s_cbranch_vccnz .LBB33_2
; %bb.1:
	v_dual_mov_b32 v1, s4 :: v_dual_mov_b32 v2, s5
	flat_load_b64 v[7:8], v[1:2]
.LBB33_2:
	v_dual_mov_b32 v6, s3 :: v_dual_mov_b32 v5, s2
	s_and_not1_b32 vcc_lo, exec_lo, s6
	s_cbranch_vccnz .LBB33_4
; %bb.3:
	v_dual_mov_b32 v1, s2 :: v_dual_mov_b32 v2, s3
	flat_load_b64 v[5:6], v[1:2]
.LBB33_4:
	s_waitcnt vmcnt(0) lgkmcnt(0)
	v_cmp_neq_f64_e32 vcc_lo, 0, v[7:8]
	v_cmp_neq_f64_e64 s2, 1.0, v[5:6]
	s_delay_alu instid0(VALU_DEP_1) | instskip(NEXT) | instid1(SALU_CYCLE_1)
	s_or_b32 s2, vcc_lo, s2
	s_and_saveexec_b32 s3, s2
	s_cbranch_execz .LBB33_30
; %bb.5:
	s_clause 0x1
	s_load_b32 s12, s[0:1], 0x20
	s_load_b128 s[8:11], s[0:1], 0x10
	s_mov_b32 s13, 0
	v_mov_b32_e32 v10, 0
	s_mov_b32 s5, s13
	s_waitcnt lgkmcnt(0)
	s_lshl_b64 s[2:3], s[12:13], 2
	v_lshrrev_b32_e32 v1, s12, v0
	s_add_u32 s2, s10, s2
	s_addc_u32 s3, s11, s3
	s_add_i32 s4, s12, 1
	v_bfe_u32 v9, v0, 0, s12
	s_lshl_b64 s[4:5], s[4:5], 2
	s_delay_alu instid0(SALU_CYCLE_1)
	s_add_u32 s4, s10, s4
	s_addc_u32 s5, s11, s5
	s_clause 0x1
	s_load_b32 s14, s[2:3], 0x0
	s_load_b32 s17, s[4:5], 0x0
	s_clause 0x1
	s_load_b64 s[10:11], s[0:1], 0x58
	s_load_b256 s[0:7], s[0:1], 0x30
	s_lshr_b32 s13, 0x400, s12
	s_delay_alu instid0(SALU_CYCLE_1) | instskip(NEXT) | instid1(SALU_CYCLE_1)
	s_mul_i32 s15, s13, s15
	v_add_nc_u32_e32 v1, s15, v1
	s_add_i32 s18, s15, s13
	s_waitcnt lgkmcnt(0)
	s_sub_i32 s17, s17, s14
	s_delay_alu instid0(SALU_CYCLE_1)
	s_min_u32 s17, s17, s18
	s_mov_b32 s18, exec_lo
	v_cmpx_gt_u32_e64 s17, v1
	s_cbranch_execz .LBB33_9
; %bb.6:
	v_dual_mov_b32 v2, v10 :: v_dual_add_nc_u32 v1, s14, v1
	s_delay_alu instid0(VALU_DEP_1) | instskip(NEXT) | instid1(VALU_DEP_1)
	v_lshlrev_b64 v[1:2], 2, v[1:2]
	v_add_co_u32 v1, vcc_lo, s8, v1
	s_delay_alu instid0(VALU_DEP_2) | instskip(SKIP_3) | instid1(VALU_DEP_1)
	v_add_co_ci_u32_e32 v2, vcc_lo, s9, v2, vcc_lo
	global_load_b32 v1, v[1:2], off
	s_waitcnt vmcnt(0)
	v_ashrrev_i32_e32 v2, 31, v1
	v_lshlrev_b64 v[1:2], 3, v[1:2]
	s_delay_alu instid0(VALU_DEP_1) | instskip(NEXT) | instid1(VALU_DEP_2)
	v_add_co_u32 v1, vcc_lo, s0, v1
	v_add_co_ci_u32_e32 v2, vcc_lo, s1, v2, vcc_lo
	global_load_b128 v[1:4], v[1:2], off
	s_waitcnt vmcnt(0)
	v_sub_co_u32 v3, vcc_lo, v3, v1
	v_sub_co_ci_u32_e32 v4, vcc_lo, v4, v2, vcc_lo
	s_delay_alu instid0(VALU_DEP_1)
	v_cmp_gt_i64_e32 vcc_lo, v[3:4], v[9:10]
	v_mov_b32_e32 v3, 0
	v_mov_b32_e32 v4, 0
	s_and_saveexec_b32 s19, vcc_lo
	s_cbranch_execz .LBB33_8
; %bb.7:
	v_sub_co_u32 v1, vcc_lo, v1, s16
	v_subrev_co_ci_u32_e32 v2, vcc_lo, 0, v2, vcc_lo
	s_delay_alu instid0(VALU_DEP_2) | instskip(NEXT) | instid1(VALU_DEP_2)
	v_add_co_u32 v1, vcc_lo, v1, v9
	v_add_co_ci_u32_e32 v2, vcc_lo, 0, v2, vcc_lo
	s_delay_alu instid0(VALU_DEP_1) | instskip(SKIP_1) | instid1(VALU_DEP_2)
	v_lshlrev_b64 v[3:4], 2, v[1:2]
	v_lshlrev_b64 v[1:2], 3, v[1:2]
	v_add_co_u32 v3, vcc_lo, s2, v3
	s_delay_alu instid0(VALU_DEP_3) | instskip(NEXT) | instid1(VALU_DEP_3)
	v_add_co_ci_u32_e32 v4, vcc_lo, s3, v4, vcc_lo
	v_add_co_u32 v1, vcc_lo, s4, v1
	s_delay_alu instid0(VALU_DEP_4)
	v_add_co_ci_u32_e32 v2, vcc_lo, s5, v2, vcc_lo
	global_load_b32 v3, v[3:4], off
	global_load_b64 v[1:2], v[1:2], off
	s_waitcnt vmcnt(1)
	v_subrev_nc_u32_e32 v3, s16, v3
	s_waitcnt vmcnt(0)
	v_mul_f64 v[1:2], v[7:8], v[1:2]
	s_delay_alu instid0(VALU_DEP_2) | instskip(NEXT) | instid1(VALU_DEP_1)
	v_ashrrev_i32_e32 v4, 31, v3
	v_lshlrev_b64 v[3:4], 3, v[3:4]
	s_delay_alu instid0(VALU_DEP_1) | instskip(NEXT) | instid1(VALU_DEP_2)
	v_add_co_u32 v3, vcc_lo, s6, v3
	v_add_co_ci_u32_e32 v4, vcc_lo, s7, v4, vcc_lo
	global_load_b64 v[3:4], v[3:4], off
	s_waitcnt vmcnt(0)
	v_mul_f64 v[3:4], v[1:2], v[3:4]
.LBB33_8:
	s_or_b32 exec_lo, exec_lo, s19
	v_lshlrev_b32_e32 v1, 3, v0
	ds_store_b64 v1, v[3:4]
.LBB33_9:
	s_or_b32 exec_lo, exec_lo, s18
	v_or_b32_e32 v1, 0x100, v0
	s_mov_b32 s18, exec_lo
	s_delay_alu instid0(VALU_DEP_1) | instskip(NEXT) | instid1(VALU_DEP_1)
	v_lshrrev_b32_e32 v1, s12, v1
	v_add_nc_u32_e32 v1, s15, v1
	s_delay_alu instid0(VALU_DEP_1)
	v_cmpx_gt_u32_e64 s17, v1
	s_cbranch_execz .LBB33_13
; %bb.10:
	v_dual_mov_b32 v2, 0 :: v_dual_add_nc_u32 v1, s14, v1
	s_delay_alu instid0(VALU_DEP_1) | instskip(NEXT) | instid1(VALU_DEP_1)
	v_lshlrev_b64 v[1:2], 2, v[1:2]
	v_add_co_u32 v1, vcc_lo, s8, v1
	s_delay_alu instid0(VALU_DEP_2) | instskip(SKIP_3) | instid1(VALU_DEP_1)
	v_add_co_ci_u32_e32 v2, vcc_lo, s9, v2, vcc_lo
	global_load_b32 v1, v[1:2], off
	s_waitcnt vmcnt(0)
	v_ashrrev_i32_e32 v2, 31, v1
	v_lshlrev_b64 v[1:2], 3, v[1:2]
	s_delay_alu instid0(VALU_DEP_1) | instskip(NEXT) | instid1(VALU_DEP_2)
	v_add_co_u32 v1, vcc_lo, s0, v1
	v_add_co_ci_u32_e32 v2, vcc_lo, s1, v2, vcc_lo
	global_load_b128 v[1:4], v[1:2], off
	s_waitcnt vmcnt(0)
	v_sub_co_u32 v3, vcc_lo, v3, v1
	v_sub_co_ci_u32_e32 v4, vcc_lo, v4, v2, vcc_lo
	s_delay_alu instid0(VALU_DEP_1)
	v_cmp_gt_i64_e32 vcc_lo, v[3:4], v[9:10]
	v_mov_b32_e32 v3, 0
	v_mov_b32_e32 v4, 0
	s_and_saveexec_b32 s19, vcc_lo
	s_cbranch_execz .LBB33_12
; %bb.11:
	v_sub_co_u32 v1, vcc_lo, v1, s16
	v_subrev_co_ci_u32_e32 v2, vcc_lo, 0, v2, vcc_lo
	s_delay_alu instid0(VALU_DEP_2) | instskip(NEXT) | instid1(VALU_DEP_2)
	v_add_co_u32 v1, vcc_lo, v1, v9
	v_add_co_ci_u32_e32 v2, vcc_lo, 0, v2, vcc_lo
	s_delay_alu instid0(VALU_DEP_1) | instskip(SKIP_1) | instid1(VALU_DEP_2)
	v_lshlrev_b64 v[3:4], 2, v[1:2]
	v_lshlrev_b64 v[1:2], 3, v[1:2]
	v_add_co_u32 v3, vcc_lo, s2, v3
	s_delay_alu instid0(VALU_DEP_3) | instskip(NEXT) | instid1(VALU_DEP_3)
	v_add_co_ci_u32_e32 v4, vcc_lo, s3, v4, vcc_lo
	v_add_co_u32 v1, vcc_lo, s4, v1
	s_delay_alu instid0(VALU_DEP_4)
	v_add_co_ci_u32_e32 v2, vcc_lo, s5, v2, vcc_lo
	global_load_b32 v3, v[3:4], off
	global_load_b64 v[1:2], v[1:2], off
	s_waitcnt vmcnt(1)
	v_subrev_nc_u32_e32 v3, s16, v3
	s_waitcnt vmcnt(0)
	v_mul_f64 v[1:2], v[7:8], v[1:2]
	s_delay_alu instid0(VALU_DEP_2) | instskip(NEXT) | instid1(VALU_DEP_1)
	v_ashrrev_i32_e32 v4, 31, v3
	v_lshlrev_b64 v[3:4], 3, v[3:4]
	s_delay_alu instid0(VALU_DEP_1) | instskip(NEXT) | instid1(VALU_DEP_2)
	v_add_co_u32 v3, vcc_lo, s6, v3
	v_add_co_ci_u32_e32 v4, vcc_lo, s7, v4, vcc_lo
	global_load_b64 v[3:4], v[3:4], off
	s_waitcnt vmcnt(0)
	v_mul_f64 v[3:4], v[1:2], v[3:4]
.LBB33_12:
	s_or_b32 exec_lo, exec_lo, s19
	v_lshlrev_b32_e32 v1, 3, v0
	ds_store_b64 v1, v[3:4] offset:2048
.LBB33_13:
	s_or_b32 exec_lo, exec_lo, s18
	v_or_b32_e32 v1, 0x200, v0
	s_mov_b32 s18, exec_lo
	s_delay_alu instid0(VALU_DEP_1) | instskip(NEXT) | instid1(VALU_DEP_1)
	v_lshrrev_b32_e32 v1, s12, v1
	v_add_nc_u32_e32 v1, s15, v1
	s_delay_alu instid0(VALU_DEP_1)
	v_cmpx_gt_u32_e64 s17, v1
	s_cbranch_execz .LBB33_17
; %bb.14:
	v_dual_mov_b32 v2, 0 :: v_dual_add_nc_u32 v1, s14, v1
	s_delay_alu instid0(VALU_DEP_1) | instskip(NEXT) | instid1(VALU_DEP_1)
	v_lshlrev_b64 v[1:2], 2, v[1:2]
	v_add_co_u32 v1, vcc_lo, s8, v1
	s_delay_alu instid0(VALU_DEP_2) | instskip(SKIP_3) | instid1(VALU_DEP_1)
	v_add_co_ci_u32_e32 v2, vcc_lo, s9, v2, vcc_lo
	global_load_b32 v1, v[1:2], off
	s_waitcnt vmcnt(0)
	v_ashrrev_i32_e32 v2, 31, v1
	v_lshlrev_b64 v[1:2], 3, v[1:2]
	s_delay_alu instid0(VALU_DEP_1) | instskip(NEXT) | instid1(VALU_DEP_2)
	v_add_co_u32 v1, vcc_lo, s0, v1
	v_add_co_ci_u32_e32 v2, vcc_lo, s1, v2, vcc_lo
	global_load_b128 v[1:4], v[1:2], off
	s_waitcnt vmcnt(0)
	v_sub_co_u32 v3, vcc_lo, v3, v1
	v_sub_co_ci_u32_e32 v4, vcc_lo, v4, v2, vcc_lo
	s_delay_alu instid0(VALU_DEP_1)
	v_cmp_gt_i64_e32 vcc_lo, v[3:4], v[9:10]
	v_mov_b32_e32 v3, 0
	v_mov_b32_e32 v4, 0
	s_and_saveexec_b32 s19, vcc_lo
	s_cbranch_execz .LBB33_16
; %bb.15:
	v_sub_co_u32 v1, vcc_lo, v1, s16
	v_subrev_co_ci_u32_e32 v2, vcc_lo, 0, v2, vcc_lo
	s_delay_alu instid0(VALU_DEP_2) | instskip(NEXT) | instid1(VALU_DEP_2)
	v_add_co_u32 v1, vcc_lo, v1, v9
	v_add_co_ci_u32_e32 v2, vcc_lo, 0, v2, vcc_lo
	s_delay_alu instid0(VALU_DEP_1) | instskip(SKIP_1) | instid1(VALU_DEP_2)
	v_lshlrev_b64 v[3:4], 2, v[1:2]
	v_lshlrev_b64 v[1:2], 3, v[1:2]
	v_add_co_u32 v3, vcc_lo, s2, v3
	s_delay_alu instid0(VALU_DEP_3) | instskip(NEXT) | instid1(VALU_DEP_3)
	v_add_co_ci_u32_e32 v4, vcc_lo, s3, v4, vcc_lo
	v_add_co_u32 v1, vcc_lo, s4, v1
	s_delay_alu instid0(VALU_DEP_4)
	v_add_co_ci_u32_e32 v2, vcc_lo, s5, v2, vcc_lo
	global_load_b32 v3, v[3:4], off
	global_load_b64 v[1:2], v[1:2], off
	s_waitcnt vmcnt(1)
	v_subrev_nc_u32_e32 v3, s16, v3
	s_waitcnt vmcnt(0)
	v_mul_f64 v[1:2], v[7:8], v[1:2]
	s_delay_alu instid0(VALU_DEP_2) | instskip(NEXT) | instid1(VALU_DEP_1)
	v_ashrrev_i32_e32 v4, 31, v3
	v_lshlrev_b64 v[3:4], 3, v[3:4]
	s_delay_alu instid0(VALU_DEP_1) | instskip(NEXT) | instid1(VALU_DEP_2)
	v_add_co_u32 v3, vcc_lo, s6, v3
	v_add_co_ci_u32_e32 v4, vcc_lo, s7, v4, vcc_lo
	global_load_b64 v[3:4], v[3:4], off
	s_waitcnt vmcnt(0)
	v_mul_f64 v[3:4], v[1:2], v[3:4]
.LBB33_16:
	s_or_b32 exec_lo, exec_lo, s19
	v_lshlrev_b32_e32 v1, 3, v0
	ds_store_b64 v1, v[3:4] offset:4096
.LBB33_17:
	s_or_b32 exec_lo, exec_lo, s18
	v_or_b32_e32 v1, 0x300, v0
	s_mov_b32 s18, exec_lo
	s_delay_alu instid0(VALU_DEP_1) | instskip(NEXT) | instid1(VALU_DEP_1)
	v_lshrrev_b32_e32 v1, s12, v1
	v_add_nc_u32_e32 v1, s15, v1
	s_delay_alu instid0(VALU_DEP_1)
	v_cmpx_gt_u32_e64 s17, v1
	s_cbranch_execz .LBB33_21
; %bb.18:
	v_dual_mov_b32 v2, 0 :: v_dual_add_nc_u32 v1, s14, v1
	s_delay_alu instid0(VALU_DEP_1) | instskip(NEXT) | instid1(VALU_DEP_1)
	v_lshlrev_b64 v[1:2], 2, v[1:2]
	v_add_co_u32 v1, vcc_lo, s8, v1
	s_delay_alu instid0(VALU_DEP_2) | instskip(SKIP_3) | instid1(VALU_DEP_1)
	v_add_co_ci_u32_e32 v2, vcc_lo, s9, v2, vcc_lo
	global_load_b32 v1, v[1:2], off
	s_waitcnt vmcnt(0)
	v_ashrrev_i32_e32 v2, 31, v1
	v_lshlrev_b64 v[1:2], 3, v[1:2]
	s_delay_alu instid0(VALU_DEP_1) | instskip(NEXT) | instid1(VALU_DEP_2)
	v_add_co_u32 v1, vcc_lo, s0, v1
	v_add_co_ci_u32_e32 v2, vcc_lo, s1, v2, vcc_lo
	global_load_b128 v[1:4], v[1:2], off
	s_waitcnt vmcnt(0)
	v_sub_co_u32 v3, vcc_lo, v3, v1
	v_sub_co_ci_u32_e32 v4, vcc_lo, v4, v2, vcc_lo
	s_delay_alu instid0(VALU_DEP_1)
	v_cmp_gt_i64_e32 vcc_lo, v[3:4], v[9:10]
	v_mov_b32_e32 v3, 0
	v_mov_b32_e32 v4, 0
	s_and_saveexec_b32 s0, vcc_lo
	s_cbranch_execz .LBB33_20
; %bb.19:
	v_sub_co_u32 v1, vcc_lo, v1, s16
	v_subrev_co_ci_u32_e32 v2, vcc_lo, 0, v2, vcc_lo
	s_delay_alu instid0(VALU_DEP_2) | instskip(NEXT) | instid1(VALU_DEP_2)
	v_add_co_u32 v1, vcc_lo, v1, v9
	v_add_co_ci_u32_e32 v2, vcc_lo, 0, v2, vcc_lo
	s_delay_alu instid0(VALU_DEP_1) | instskip(SKIP_1) | instid1(VALU_DEP_2)
	v_lshlrev_b64 v[3:4], 2, v[1:2]
	v_lshlrev_b64 v[1:2], 3, v[1:2]
	v_add_co_u32 v3, vcc_lo, s2, v3
	s_delay_alu instid0(VALU_DEP_3) | instskip(NEXT) | instid1(VALU_DEP_3)
	v_add_co_ci_u32_e32 v4, vcc_lo, s3, v4, vcc_lo
	v_add_co_u32 v1, vcc_lo, s4, v1
	s_delay_alu instid0(VALU_DEP_4)
	v_add_co_ci_u32_e32 v2, vcc_lo, s5, v2, vcc_lo
	global_load_b32 v3, v[3:4], off
	global_load_b64 v[1:2], v[1:2], off
	s_waitcnt vmcnt(1)
	v_subrev_nc_u32_e32 v3, s16, v3
	s_waitcnt vmcnt(0)
	v_mul_f64 v[1:2], v[7:8], v[1:2]
	s_delay_alu instid0(VALU_DEP_2) | instskip(NEXT) | instid1(VALU_DEP_1)
	v_ashrrev_i32_e32 v4, 31, v3
	v_lshlrev_b64 v[3:4], 3, v[3:4]
	s_delay_alu instid0(VALU_DEP_1) | instskip(NEXT) | instid1(VALU_DEP_2)
	v_add_co_u32 v3, vcc_lo, s6, v3
	v_add_co_ci_u32_e32 v4, vcc_lo, s7, v4, vcc_lo
	global_load_b64 v[3:4], v[3:4], off
	s_waitcnt vmcnt(0)
	v_mul_f64 v[3:4], v[1:2], v[3:4]
.LBB33_20:
	s_or_b32 exec_lo, exec_lo, s0
	v_lshlrev_b32_e32 v1, 3, v0
	ds_store_b64 v1, v[3:4] offset:6144
.LBB33_21:
	s_or_b32 exec_lo, exec_lo, s18
	s_cmp_lt_u32 s12, 11
	s_waitcnt lgkmcnt(0)
	s_barrier
	buffer_gl0_inv
	s_cbranch_scc0 .LBB33_30
; %bb.22:
	v_cmp_neq_f64_e32 vcc_lo, 0, v[5:6]
	v_mov_b32_e32 v2, 0
	s_sub_i32 s1, s17, s15
	s_add_i32 s14, s14, s15
	s_mov_b32 s2, 0
	s_branch .LBB33_25
.LBB33_23:                              ;   in Loop: Header=BB33_25 Depth=1
	s_or_b32 exec_lo, exec_lo, s4
	s_delay_alu instid0(VALU_DEP_1) | instskip(NEXT) | instid1(VALU_DEP_1)
	v_add_co_u32 v7, s0, s10, v7
	v_add_co_ci_u32_e64 v8, s0, s11, v8, s0
	global_store_b64 v[7:8], v[3:4], off
.LBB33_24:                              ;   in Loop: Header=BB33_25 Depth=1
	s_or_b32 exec_lo, exec_lo, s3
	s_addk_i32 s2, 0x100
	s_delay_alu instid0(SALU_CYCLE_1)
	s_cmp_lt_u32 s2, s13
	s_cbranch_scc0 .LBB33_30
.LBB33_25:                              ; =>This Loop Header: Depth=1
                                        ;     Child Loop BB33_27 Depth 2
	v_add_nc_u32_e32 v3, s2, v0
	s_mov_b32 s3, exec_lo
	s_delay_alu instid0(VALU_DEP_1)
	v_cmpx_gt_u32_e64 s1, v3
	s_cbranch_execz .LBB33_24
; %bb.26:                               ;   in Loop: Header=BB33_25 Depth=1
	v_add_nc_u32_e32 v1, s14, v3
	s_delay_alu instid0(VALU_DEP_1) | instskip(SKIP_2) | instid1(VALU_DEP_2)
	v_lshlrev_b64 v[7:8], 2, v[1:2]
	v_lshlrev_b32_e32 v1, s12, v3
	v_mov_b32_e32 v3, 0
	v_dual_mov_b32 v4, 0 :: v_dual_lshlrev_b32 v1, 3, v1
	s_delay_alu instid0(VALU_DEP_4) | instskip(NEXT) | instid1(VALU_DEP_1)
	v_add_co_u32 v7, s0, s8, v7
	v_add_co_ci_u32_e64 v8, s0, s9, v8, s0
	s_mov_b32 s0, 1
	global_load_b32 v7, v[7:8], off
.LBB33_27:                              ;   Parent Loop BB33_25 Depth=1
                                        ; =>  This Inner Loop Header: Depth=2
	ds_load_b64 v[8:9], v1
	v_add_nc_u32_e32 v1, 8, v1
	s_lshr_b32 s4, s0, s12
	s_add_i32 s0, s0, 1
	s_cmp_lg_u32 s4, 0
	s_waitcnt lgkmcnt(0)
	v_add_f64 v[3:4], v[3:4], v[8:9]
	s_cbranch_scc0 .LBB33_27
; %bb.28:                               ;   in Loop: Header=BB33_25 Depth=1
	s_waitcnt vmcnt(0)
	v_ashrrev_i32_e32 v8, 31, v7
	s_delay_alu instid0(VALU_DEP_1)
	v_lshlrev_b64 v[7:8], 3, v[7:8]
	s_and_saveexec_b32 s4, vcc_lo
	s_cbranch_execz .LBB33_23
; %bb.29:                               ;   in Loop: Header=BB33_25 Depth=1
	s_delay_alu instid0(VALU_DEP_1) | instskip(NEXT) | instid1(VALU_DEP_1)
	v_add_co_u32 v9, s0, s10, v7
	v_add_co_ci_u32_e64 v10, s0, s11, v8, s0
	global_load_b64 v[9:10], v[9:10], off
	s_waitcnt vmcnt(0)
	v_fma_f64 v[3:4], v[5:6], v[9:10], v[3:4]
	s_branch .LBB33_23
.LBB33_30:
	s_nop 0
	s_sendmsg sendmsg(MSG_DEALLOC_VGPRS)
	s_endpgm
	.section	.rodata,"a",@progbits
	.p2align	6, 0x0
	.amdhsa_kernel _ZN9rocsparseL30csrmvn_lrb_short_rows_2_kernelIliddddEEvbT_PT0_S3_jNS_24const_host_device_scalarIT4_EEPKS1_PKS2_PKT1_PKT2_S6_PT3_21rocsparse_index_base_b
		.amdhsa_group_segment_fixed_size 8192
		.amdhsa_private_segment_fixed_size 0
		.amdhsa_kernarg_size 104
		.amdhsa_user_sgpr_count 15
		.amdhsa_user_sgpr_dispatch_ptr 0
		.amdhsa_user_sgpr_queue_ptr 0
		.amdhsa_user_sgpr_kernarg_segment_ptr 1
		.amdhsa_user_sgpr_dispatch_id 0
		.amdhsa_user_sgpr_private_segment_size 0
		.amdhsa_wavefront_size32 1
		.amdhsa_uses_dynamic_stack 0
		.amdhsa_enable_private_segment 0
		.amdhsa_system_sgpr_workgroup_id_x 1
		.amdhsa_system_sgpr_workgroup_id_y 0
		.amdhsa_system_sgpr_workgroup_id_z 0
		.amdhsa_system_sgpr_workgroup_info 0
		.amdhsa_system_vgpr_workitem_id 0
		.amdhsa_next_free_vgpr 11
		.amdhsa_next_free_sgpr 20
		.amdhsa_reserve_vcc 1
		.amdhsa_float_round_mode_32 0
		.amdhsa_float_round_mode_16_64 0
		.amdhsa_float_denorm_mode_32 3
		.amdhsa_float_denorm_mode_16_64 3
		.amdhsa_dx10_clamp 1
		.amdhsa_ieee_mode 1
		.amdhsa_fp16_overflow 0
		.amdhsa_workgroup_processor_mode 1
		.amdhsa_memory_ordered 1
		.amdhsa_forward_progress 0
		.amdhsa_shared_vgpr_count 0
		.amdhsa_exception_fp_ieee_invalid_op 0
		.amdhsa_exception_fp_denorm_src 0
		.amdhsa_exception_fp_ieee_div_zero 0
		.amdhsa_exception_fp_ieee_overflow 0
		.amdhsa_exception_fp_ieee_underflow 0
		.amdhsa_exception_fp_ieee_inexact 0
		.amdhsa_exception_int_div_zero 0
	.end_amdhsa_kernel
	.section	.text._ZN9rocsparseL30csrmvn_lrb_short_rows_2_kernelIliddddEEvbT_PT0_S3_jNS_24const_host_device_scalarIT4_EEPKS1_PKS2_PKT1_PKT2_S6_PT3_21rocsparse_index_base_b,"axG",@progbits,_ZN9rocsparseL30csrmvn_lrb_short_rows_2_kernelIliddddEEvbT_PT0_S3_jNS_24const_host_device_scalarIT4_EEPKS1_PKS2_PKT1_PKT2_S6_PT3_21rocsparse_index_base_b,comdat
.Lfunc_end33:
	.size	_ZN9rocsparseL30csrmvn_lrb_short_rows_2_kernelIliddddEEvbT_PT0_S3_jNS_24const_host_device_scalarIT4_EEPKS1_PKS2_PKT1_PKT2_S6_PT3_21rocsparse_index_base_b, .Lfunc_end33-_ZN9rocsparseL30csrmvn_lrb_short_rows_2_kernelIliddddEEvbT_PT0_S3_jNS_24const_host_device_scalarIT4_EEPKS1_PKS2_PKT1_PKT2_S6_PT3_21rocsparse_index_base_b
                                        ; -- End function
	.section	.AMDGPU.csdata,"",@progbits
; Kernel info:
; codeLenInByte = 2000
; NumSgprs: 22
; NumVgprs: 11
; ScratchSize: 0
; MemoryBound: 0
; FloatMode: 240
; IeeeMode: 1
; LDSByteSize: 8192 bytes/workgroup (compile time only)
; SGPRBlocks: 2
; VGPRBlocks: 1
; NumSGPRsForWavesPerEU: 22
; NumVGPRsForWavesPerEU: 11
; Occupancy: 16
; WaveLimiterHint : 1
; COMPUTE_PGM_RSRC2:SCRATCH_EN: 0
; COMPUTE_PGM_RSRC2:USER_SGPR: 15
; COMPUTE_PGM_RSRC2:TRAP_HANDLER: 0
; COMPUTE_PGM_RSRC2:TGID_X_EN: 1
; COMPUTE_PGM_RSRC2:TGID_Y_EN: 0
; COMPUTE_PGM_RSRC2:TGID_Z_EN: 0
; COMPUTE_PGM_RSRC2:TIDIG_COMP_CNT: 0
	.section	.text._ZN9rocsparseL41csrmvn_lrb_medium_rows_warp_reduce_kernelILj256ELj32EliddddEEvbT1_lPT2_S3_jNS_24const_host_device_scalarIT6_EEPKS1_PKS2_PKT3_PKT4_S6_PT5_21rocsparse_index_base_b,"axG",@progbits,_ZN9rocsparseL41csrmvn_lrb_medium_rows_warp_reduce_kernelILj256ELj32EliddddEEvbT1_lPT2_S3_jNS_24const_host_device_scalarIT6_EEPKS1_PKS2_PKT3_PKT4_S6_PT5_21rocsparse_index_base_b,comdat
	.globl	_ZN9rocsparseL41csrmvn_lrb_medium_rows_warp_reduce_kernelILj256ELj32EliddddEEvbT1_lPT2_S3_jNS_24const_host_device_scalarIT6_EEPKS1_PKS2_PKT3_PKT4_S6_PT5_21rocsparse_index_base_b ; -- Begin function _ZN9rocsparseL41csrmvn_lrb_medium_rows_warp_reduce_kernelILj256ELj32EliddddEEvbT1_lPT2_S3_jNS_24const_host_device_scalarIT6_EEPKS1_PKS2_PKT3_PKT4_S6_PT5_21rocsparse_index_base_b
	.p2align	8
	.type	_ZN9rocsparseL41csrmvn_lrb_medium_rows_warp_reduce_kernelILj256ELj32EliddddEEvbT1_lPT2_S3_jNS_24const_host_device_scalarIT6_EEPKS1_PKS2_PKT3_PKT4_S6_PT5_21rocsparse_index_base_b,@function
_ZN9rocsparseL41csrmvn_lrb_medium_rows_warp_reduce_kernelILj256ELj32EliddddEEvbT1_lPT2_S3_jNS_24const_host_device_scalarIT6_EEPKS1_PKS2_PKT3_PKT4_S6_PT5_21rocsparse_index_base_b: ; @_ZN9rocsparseL41csrmvn_lrb_medium_rows_warp_reduce_kernelILj256ELj32EliddddEEvbT1_lPT2_S3_jNS_24const_host_device_scalarIT6_EEPKS1_PKS2_PKT3_PKT4_S6_PT5_21rocsparse_index_base_b
; %bb.0:
	s_clause 0x2
	s_load_b64 s[4:5], s[0:1], 0x68
	s_load_b64 s[6:7], s[0:1], 0x30
	;; [unrolled: 1-line block ×3, first 2 shown]
	s_waitcnt lgkmcnt(0)
	s_bitcmp1_b32 s5, 0
	v_dual_mov_b32 v5, s6 :: v_dual_mov_b32 v6, s7
	s_cselect_b32 s5, -1, 0
	s_delay_alu instid0(SALU_CYCLE_1)
	s_and_b32 vcc_lo, exec_lo, s5
	s_xor_b32 s5, s5, -1
	s_cbranch_vccnz .LBB34_2
; %bb.1:
	v_dual_mov_b32 v1, s6 :: v_dual_mov_b32 v2, s7
	flat_load_b64 v[5:6], v[1:2]
.LBB34_2:
	v_dual_mov_b32 v1, s2 :: v_dual_mov_b32 v2, s3
	s_and_not1_b32 vcc_lo, exec_lo, s5
	s_cbranch_vccnz .LBB34_4
; %bb.3:
	v_dual_mov_b32 v1, s2 :: v_dual_mov_b32 v2, s3
	flat_load_b64 v[1:2], v[1:2]
.LBB34_4:
	s_waitcnt vmcnt(0) lgkmcnt(0)
	v_cmp_neq_f64_e32 vcc_lo, 0, v[5:6]
	v_cmp_neq_f64_e64 s2, 1.0, v[1:2]
	s_delay_alu instid0(VALU_DEP_1) | instskip(NEXT) | instid1(SALU_CYCLE_1)
	s_or_b32 s2, vcc_lo, s2
	s_and_saveexec_b32 s3, s2
	s_cbranch_execz .LBB34_14
; %bb.5:
	s_load_b64 s[2:3], s[0:1], 0x10
	v_lshrrev_b32_e32 v3, 5, v0
	s_delay_alu instid0(VALU_DEP_1) | instskip(NEXT) | instid1(VALU_DEP_1)
	v_lshl_or_b32 v3, s15, 3, v3
	v_ashrrev_i32_e32 v4, 31, v3
	s_waitcnt lgkmcnt(0)
	s_delay_alu instid0(VALU_DEP_1)
	v_cmp_gt_i64_e32 vcc_lo, s[2:3], v[3:4]
	s_and_b32 exec_lo, exec_lo, vcc_lo
	s_cbranch_execz .LBB34_14
; %bb.6:
	s_clause 0x1
	s_load_b32 s6, s[0:1], 0x28
	s_load_b128 s[8:11], s[0:1], 0x18
	s_mov_b32 s7, 0
	v_and_b32_e32 v0, 31, v0
	s_waitcnt lgkmcnt(0)
	s_lshl_b64 s[2:3], s[6:7], 2
	s_delay_alu instid0(SALU_CYCLE_1)
	s_add_u32 s2, s10, s2
	s_addc_u32 s3, s11, s3
	s_load_b32 s2, s[2:3], 0x0
	s_waitcnt lgkmcnt(0)
	v_add_nc_u32_e32 v3, s2, v3
	s_load_b64 s[2:3], s[0:1], 0x38
	s_delay_alu instid0(VALU_DEP_1) | instskip(NEXT) | instid1(VALU_DEP_1)
	v_ashrrev_i32_e32 v4, 31, v3
	v_lshlrev_b64 v[3:4], 2, v[3:4]
	s_delay_alu instid0(VALU_DEP_1) | instskip(NEXT) | instid1(VALU_DEP_2)
	v_add_co_u32 v3, vcc_lo, s8, v3
	v_add_co_ci_u32_e32 v4, vcc_lo, s9, v4, vcc_lo
	global_load_b32 v3, v[3:4], off
	s_waitcnt vmcnt(0)
	v_ashrrev_i32_e32 v4, 31, v3
	s_delay_alu instid0(VALU_DEP_1) | instskip(SKIP_1) | instid1(VALU_DEP_1)
	v_lshlrev_b64 v[3:4], 3, v[3:4]
	s_waitcnt lgkmcnt(0)
	v_add_co_u32 v7, vcc_lo, s2, v3
	s_delay_alu instid0(VALU_DEP_2)
	v_add_co_ci_u32_e32 v8, vcc_lo, s3, v4, vcc_lo
	s_load_b64 s[2:3], s[0:1], 0x60
	global_load_b128 v[9:12], v[7:8], off
	s_waitcnt vmcnt(0)
	v_sub_co_u32 v7, vcc_lo, v11, s4
	v_subrev_co_ci_u32_e32 v8, vcc_lo, 0, v12, vcc_lo
	v_mov_b32_e32 v11, 0
	v_mov_b32_e32 v12, 0
	v_sub_co_u32 v13, s5, v0, s4
	s_delay_alu instid0(VALU_DEP_1) | instskip(SKIP_1) | instid1(VALU_DEP_2)
	v_sub_co_ci_u32_e64 v14, null, 0, 0, s5
	s_mov_b32 s5, exec_lo
	v_add_co_u32 v9, vcc_lo, v9, v13
	s_delay_alu instid0(VALU_DEP_2) | instskip(NEXT) | instid1(VALU_DEP_1)
	v_add_co_ci_u32_e32 v10, vcc_lo, v10, v14, vcc_lo
	v_cmpx_lt_i64_e64 v[9:10], v[7:8]
	s_cbranch_execz .LBB34_10
; %bb.7:
	s_clause 0x1
	s_load_b128 s[12:15], s[0:1], 0x40
	s_load_b64 s[8:9], s[0:1], 0x50
	v_lshlrev_b64 v[13:14], 3, v[9:10]
	v_lshlrev_b64 v[15:16], 2, v[9:10]
	v_mov_b32_e32 v11, 0
	v_mov_b32_e32 v12, 0
	s_waitcnt lgkmcnt(0)
	s_delay_alu instid0(VALU_DEP_4)
	v_add_co_u32 v13, vcc_lo, s14, v13
	v_add_co_ci_u32_e32 v14, vcc_lo, s15, v14, vcc_lo
	v_add_co_u32 v15, vcc_lo, s12, v15
	v_add_co_ci_u32_e32 v16, vcc_lo, s13, v16, vcc_lo
	s_set_inst_prefetch_distance 0x1
	.p2align	6
.LBB34_8:                               ; =>This Inner Loop Header: Depth=1
	global_load_b32 v19, v[15:16], off
	global_load_b64 v[17:18], v[13:14], off
	v_add_co_u32 v15, s0, 0x80, v15
	s_delay_alu instid0(VALU_DEP_1) | instskip(SKIP_4) | instid1(VALU_DEP_2)
	v_add_co_ci_u32_e64 v16, s0, 0, v16, s0
	s_waitcnt vmcnt(1)
	v_subrev_nc_u32_e32 v19, s4, v19
	s_waitcnt vmcnt(0)
	v_mul_f64 v[17:18], v[5:6], v[17:18]
	v_ashrrev_i32_e32 v20, 31, v19
	s_delay_alu instid0(VALU_DEP_1) | instskip(NEXT) | instid1(VALU_DEP_1)
	v_lshlrev_b64 v[19:20], 3, v[19:20]
	v_add_co_u32 v19, vcc_lo, s8, v19
	s_delay_alu instid0(VALU_DEP_2)
	v_add_co_ci_u32_e32 v20, vcc_lo, s9, v20, vcc_lo
	v_add_co_u32 v9, vcc_lo, v9, 32
	v_add_co_ci_u32_e32 v10, vcc_lo, 0, v10, vcc_lo
	global_load_b64 v[19:20], v[19:20], off
	v_add_co_u32 v13, vcc_lo, 0x100, v13
	v_add_co_ci_u32_e32 v14, vcc_lo, 0, v14, vcc_lo
	v_cmp_ge_i64_e32 vcc_lo, v[9:10], v[7:8]
	s_or_b32 s7, vcc_lo, s7
	s_waitcnt vmcnt(0)
	v_fma_f64 v[11:12], v[17:18], v[19:20], v[11:12]
	s_and_not1_b32 exec_lo, exec_lo, s7
	s_cbranch_execnz .LBB34_8
; %bb.9:
	s_set_inst_prefetch_distance 0x2
	s_or_b32 exec_lo, exec_lo, s7
.LBB34_10:
	s_delay_alu instid0(SALU_CYCLE_1) | instskip(SKIP_1) | instid1(VALU_DEP_1)
	s_or_b32 exec_lo, exec_lo, s5
	v_mbcnt_lo_u32_b32 v9, -1, 0
	v_xor_b32_e32 v5, 16, v9
	v_xor_b32_e32 v7, 8, v9
	s_delay_alu instid0(VALU_DEP_2) | instskip(SKIP_1) | instid1(VALU_DEP_3)
	v_cmp_gt_i32_e32 vcc_lo, 32, v5
	v_cndmask_b32_e32 v5, v9, v5, vcc_lo
	v_cmp_gt_i32_e32 vcc_lo, 32, v7
	v_cndmask_b32_e32 v7, v9, v7, vcc_lo
	s_delay_alu instid0(VALU_DEP_1) | instskip(NEXT) | instid1(VALU_DEP_4)
	v_lshlrev_b32_e32 v8, 2, v7
	v_lshlrev_b32_e32 v6, 2, v5
	ds_bpermute_b32 v5, v6, v11
	ds_bpermute_b32 v6, v6, v12
	s_waitcnt lgkmcnt(0)
	v_add_f64 v[5:6], v[11:12], v[5:6]
	ds_bpermute_b32 v7, v8, v5
	ds_bpermute_b32 v8, v8, v6
	s_waitcnt lgkmcnt(0)
	v_add_f64 v[5:6], v[5:6], v[7:8]
	v_xor_b32_e32 v7, 4, v9
	s_delay_alu instid0(VALU_DEP_1) | instskip(SKIP_1) | instid1(VALU_DEP_1)
	v_cmp_gt_i32_e32 vcc_lo, 32, v7
	v_cndmask_b32_e32 v7, v9, v7, vcc_lo
	v_lshlrev_b32_e32 v8, 2, v7
	ds_bpermute_b32 v7, v8, v5
	ds_bpermute_b32 v8, v8, v6
	s_waitcnt lgkmcnt(0)
	v_add_f64 v[5:6], v[5:6], v[7:8]
	v_xor_b32_e32 v7, 2, v9
	s_delay_alu instid0(VALU_DEP_1) | instskip(SKIP_1) | instid1(VALU_DEP_1)
	v_cmp_gt_i32_e32 vcc_lo, 32, v7
	v_cndmask_b32_e32 v7, v9, v7, vcc_lo
	v_lshlrev_b32_e32 v8, 2, v7
	ds_bpermute_b32 v7, v8, v5
	ds_bpermute_b32 v8, v8, v6
	s_waitcnt lgkmcnt(0)
	v_add_f64 v[5:6], v[5:6], v[7:8]
	v_xor_b32_e32 v7, 1, v9
	s_delay_alu instid0(VALU_DEP_1) | instskip(SKIP_2) | instid1(VALU_DEP_2)
	v_cmp_gt_i32_e32 vcc_lo, 32, v7
	v_cndmask_b32_e32 v7, v9, v7, vcc_lo
	v_cmp_eq_u32_e32 vcc_lo, 31, v0
	v_lshlrev_b32_e32 v8, 2, v7
	ds_bpermute_b32 v7, v8, v5
	ds_bpermute_b32 v8, v8, v6
	s_and_b32 exec_lo, exec_lo, vcc_lo
	s_cbranch_execz .LBB34_14
; %bb.11:
	s_waitcnt lgkmcnt(0)
	v_add_f64 v[5:6], v[5:6], v[7:8]
	s_mov_b32 s0, exec_lo
	v_cmpx_neq_f64_e32 0, v[1:2]
	s_cbranch_execz .LBB34_13
; %bb.12:
	v_add_co_u32 v7, vcc_lo, s2, v3
	v_add_co_ci_u32_e32 v8, vcc_lo, s3, v4, vcc_lo
	global_load_b64 v[7:8], v[7:8], off
	s_waitcnt vmcnt(0)
	v_fma_f64 v[5:6], v[1:2], v[7:8], v[5:6]
.LBB34_13:
	s_or_b32 exec_lo, exec_lo, s0
	v_add_co_u32 v0, vcc_lo, s2, v3
	v_add_co_ci_u32_e32 v1, vcc_lo, s3, v4, vcc_lo
	global_store_b64 v[0:1], v[5:6], off
.LBB34_14:
	s_nop 0
	s_sendmsg sendmsg(MSG_DEALLOC_VGPRS)
	s_endpgm
	.section	.rodata,"a",@progbits
	.p2align	6, 0x0
	.amdhsa_kernel _ZN9rocsparseL41csrmvn_lrb_medium_rows_warp_reduce_kernelILj256ELj32EliddddEEvbT1_lPT2_S3_jNS_24const_host_device_scalarIT6_EEPKS1_PKS2_PKT3_PKT4_S6_PT5_21rocsparse_index_base_b
		.amdhsa_group_segment_fixed_size 0
		.amdhsa_private_segment_fixed_size 0
		.amdhsa_kernarg_size 112
		.amdhsa_user_sgpr_count 15
		.amdhsa_user_sgpr_dispatch_ptr 0
		.amdhsa_user_sgpr_queue_ptr 0
		.amdhsa_user_sgpr_kernarg_segment_ptr 1
		.amdhsa_user_sgpr_dispatch_id 0
		.amdhsa_user_sgpr_private_segment_size 0
		.amdhsa_wavefront_size32 1
		.amdhsa_uses_dynamic_stack 0
		.amdhsa_enable_private_segment 0
		.amdhsa_system_sgpr_workgroup_id_x 1
		.amdhsa_system_sgpr_workgroup_id_y 0
		.amdhsa_system_sgpr_workgroup_id_z 0
		.amdhsa_system_sgpr_workgroup_info 0
		.amdhsa_system_vgpr_workitem_id 0
		.amdhsa_next_free_vgpr 21
		.amdhsa_next_free_sgpr 16
		.amdhsa_reserve_vcc 1
		.amdhsa_float_round_mode_32 0
		.amdhsa_float_round_mode_16_64 0
		.amdhsa_float_denorm_mode_32 3
		.amdhsa_float_denorm_mode_16_64 3
		.amdhsa_dx10_clamp 1
		.amdhsa_ieee_mode 1
		.amdhsa_fp16_overflow 0
		.amdhsa_workgroup_processor_mode 1
		.amdhsa_memory_ordered 1
		.amdhsa_forward_progress 0
		.amdhsa_shared_vgpr_count 0
		.amdhsa_exception_fp_ieee_invalid_op 0
		.amdhsa_exception_fp_denorm_src 0
		.amdhsa_exception_fp_ieee_div_zero 0
		.amdhsa_exception_fp_ieee_overflow 0
		.amdhsa_exception_fp_ieee_underflow 0
		.amdhsa_exception_fp_ieee_inexact 0
		.amdhsa_exception_int_div_zero 0
	.end_amdhsa_kernel
	.section	.text._ZN9rocsparseL41csrmvn_lrb_medium_rows_warp_reduce_kernelILj256ELj32EliddddEEvbT1_lPT2_S3_jNS_24const_host_device_scalarIT6_EEPKS1_PKS2_PKT3_PKT4_S6_PT5_21rocsparse_index_base_b,"axG",@progbits,_ZN9rocsparseL41csrmvn_lrb_medium_rows_warp_reduce_kernelILj256ELj32EliddddEEvbT1_lPT2_S3_jNS_24const_host_device_scalarIT6_EEPKS1_PKS2_PKT3_PKT4_S6_PT5_21rocsparse_index_base_b,comdat
.Lfunc_end34:
	.size	_ZN9rocsparseL41csrmvn_lrb_medium_rows_warp_reduce_kernelILj256ELj32EliddddEEvbT1_lPT2_S3_jNS_24const_host_device_scalarIT6_EEPKS1_PKS2_PKT3_PKT4_S6_PT5_21rocsparse_index_base_b, .Lfunc_end34-_ZN9rocsparseL41csrmvn_lrb_medium_rows_warp_reduce_kernelILj256ELj32EliddddEEvbT1_lPT2_S3_jNS_24const_host_device_scalarIT6_EEPKS1_PKS2_PKT3_PKT4_S6_PT5_21rocsparse_index_base_b
                                        ; -- End function
	.section	.AMDGPU.csdata,"",@progbits
; Kernel info:
; codeLenInByte = 1028
; NumSgprs: 18
; NumVgprs: 21
; ScratchSize: 0
; MemoryBound: 0
; FloatMode: 240
; IeeeMode: 1
; LDSByteSize: 0 bytes/workgroup (compile time only)
; SGPRBlocks: 2
; VGPRBlocks: 2
; NumSGPRsForWavesPerEU: 18
; NumVGPRsForWavesPerEU: 21
; Occupancy: 16
; WaveLimiterHint : 1
; COMPUTE_PGM_RSRC2:SCRATCH_EN: 0
; COMPUTE_PGM_RSRC2:USER_SGPR: 15
; COMPUTE_PGM_RSRC2:TRAP_HANDLER: 0
; COMPUTE_PGM_RSRC2:TGID_X_EN: 1
; COMPUTE_PGM_RSRC2:TGID_Y_EN: 0
; COMPUTE_PGM_RSRC2:TGID_Z_EN: 0
; COMPUTE_PGM_RSRC2:TIDIG_COMP_CNT: 0
	.section	.text._ZN9rocsparseL41csrmvn_lrb_medium_rows_warp_reduce_kernelILj256ELj64EliddddEEvbT1_lPT2_S3_jNS_24const_host_device_scalarIT6_EEPKS1_PKS2_PKT3_PKT4_S6_PT5_21rocsparse_index_base_b,"axG",@progbits,_ZN9rocsparseL41csrmvn_lrb_medium_rows_warp_reduce_kernelILj256ELj64EliddddEEvbT1_lPT2_S3_jNS_24const_host_device_scalarIT6_EEPKS1_PKS2_PKT3_PKT4_S6_PT5_21rocsparse_index_base_b,comdat
	.globl	_ZN9rocsparseL41csrmvn_lrb_medium_rows_warp_reduce_kernelILj256ELj64EliddddEEvbT1_lPT2_S3_jNS_24const_host_device_scalarIT6_EEPKS1_PKS2_PKT3_PKT4_S6_PT5_21rocsparse_index_base_b ; -- Begin function _ZN9rocsparseL41csrmvn_lrb_medium_rows_warp_reduce_kernelILj256ELj64EliddddEEvbT1_lPT2_S3_jNS_24const_host_device_scalarIT6_EEPKS1_PKS2_PKT3_PKT4_S6_PT5_21rocsparse_index_base_b
	.p2align	8
	.type	_ZN9rocsparseL41csrmvn_lrb_medium_rows_warp_reduce_kernelILj256ELj64EliddddEEvbT1_lPT2_S3_jNS_24const_host_device_scalarIT6_EEPKS1_PKS2_PKT3_PKT4_S6_PT5_21rocsparse_index_base_b,@function
_ZN9rocsparseL41csrmvn_lrb_medium_rows_warp_reduce_kernelILj256ELj64EliddddEEvbT1_lPT2_S3_jNS_24const_host_device_scalarIT6_EEPKS1_PKS2_PKT3_PKT4_S6_PT5_21rocsparse_index_base_b: ; @_ZN9rocsparseL41csrmvn_lrb_medium_rows_warp_reduce_kernelILj256ELj64EliddddEEvbT1_lPT2_S3_jNS_24const_host_device_scalarIT6_EEPKS1_PKS2_PKT3_PKT4_S6_PT5_21rocsparse_index_base_b
; %bb.0:
	s_clause 0x2
	s_load_b64 s[4:5], s[0:1], 0x68
	s_load_b64 s[6:7], s[0:1], 0x30
	;; [unrolled: 1-line block ×3, first 2 shown]
	s_waitcnt lgkmcnt(0)
	s_bitcmp1_b32 s5, 0
	v_dual_mov_b32 v5, s6 :: v_dual_mov_b32 v6, s7
	s_cselect_b32 s5, -1, 0
	s_delay_alu instid0(SALU_CYCLE_1)
	s_and_b32 vcc_lo, exec_lo, s5
	s_xor_b32 s5, s5, -1
	s_cbranch_vccnz .LBB35_2
; %bb.1:
	v_dual_mov_b32 v1, s6 :: v_dual_mov_b32 v2, s7
	flat_load_b64 v[5:6], v[1:2]
.LBB35_2:
	v_dual_mov_b32 v1, s2 :: v_dual_mov_b32 v2, s3
	s_and_not1_b32 vcc_lo, exec_lo, s5
	s_cbranch_vccnz .LBB35_4
; %bb.3:
	v_dual_mov_b32 v1, s2 :: v_dual_mov_b32 v2, s3
	flat_load_b64 v[1:2], v[1:2]
.LBB35_4:
	s_waitcnt vmcnt(0) lgkmcnt(0)
	v_cmp_neq_f64_e32 vcc_lo, 0, v[5:6]
	v_cmp_neq_f64_e64 s2, 1.0, v[1:2]
	s_delay_alu instid0(VALU_DEP_1) | instskip(NEXT) | instid1(SALU_CYCLE_1)
	s_or_b32 s2, vcc_lo, s2
	s_and_saveexec_b32 s3, s2
	s_cbranch_execz .LBB35_14
; %bb.5:
	s_load_b64 s[2:3], s[0:1], 0x10
	v_lshrrev_b32_e32 v3, 6, v0
	s_delay_alu instid0(VALU_DEP_1) | instskip(NEXT) | instid1(VALU_DEP_1)
	v_lshl_or_b32 v3, s15, 2, v3
	v_ashrrev_i32_e32 v4, 31, v3
	s_waitcnt lgkmcnt(0)
	s_delay_alu instid0(VALU_DEP_1)
	v_cmp_gt_i64_e32 vcc_lo, s[2:3], v[3:4]
	s_and_b32 exec_lo, exec_lo, vcc_lo
	s_cbranch_execz .LBB35_14
; %bb.6:
	s_clause 0x1
	s_load_b32 s6, s[0:1], 0x28
	s_load_b128 s[8:11], s[0:1], 0x18
	s_mov_b32 s7, 0
	v_and_b32_e32 v0, 63, v0
	s_waitcnt lgkmcnt(0)
	s_lshl_b64 s[2:3], s[6:7], 2
	s_delay_alu instid0(SALU_CYCLE_1)
	s_add_u32 s2, s10, s2
	s_addc_u32 s3, s11, s3
	s_load_b32 s2, s[2:3], 0x0
	s_waitcnt lgkmcnt(0)
	v_add_nc_u32_e32 v3, s2, v3
	s_load_b64 s[2:3], s[0:1], 0x38
	s_delay_alu instid0(VALU_DEP_1) | instskip(NEXT) | instid1(VALU_DEP_1)
	v_ashrrev_i32_e32 v4, 31, v3
	v_lshlrev_b64 v[3:4], 2, v[3:4]
	s_delay_alu instid0(VALU_DEP_1) | instskip(NEXT) | instid1(VALU_DEP_2)
	v_add_co_u32 v3, vcc_lo, s8, v3
	v_add_co_ci_u32_e32 v4, vcc_lo, s9, v4, vcc_lo
	global_load_b32 v3, v[3:4], off
	s_waitcnt vmcnt(0)
	v_ashrrev_i32_e32 v4, 31, v3
	s_delay_alu instid0(VALU_DEP_1) | instskip(SKIP_1) | instid1(VALU_DEP_1)
	v_lshlrev_b64 v[3:4], 3, v[3:4]
	s_waitcnt lgkmcnt(0)
	v_add_co_u32 v7, vcc_lo, s2, v3
	s_delay_alu instid0(VALU_DEP_2)
	v_add_co_ci_u32_e32 v8, vcc_lo, s3, v4, vcc_lo
	s_load_b64 s[2:3], s[0:1], 0x60
	global_load_b128 v[9:12], v[7:8], off
	s_waitcnt vmcnt(0)
	v_sub_co_u32 v7, vcc_lo, v11, s4
	v_subrev_co_ci_u32_e32 v8, vcc_lo, 0, v12, vcc_lo
	v_mov_b32_e32 v11, 0
	v_mov_b32_e32 v12, 0
	v_sub_co_u32 v13, s5, v0, s4
	s_delay_alu instid0(VALU_DEP_1) | instskip(SKIP_1) | instid1(VALU_DEP_2)
	v_sub_co_ci_u32_e64 v14, null, 0, 0, s5
	s_mov_b32 s5, exec_lo
	v_add_co_u32 v9, vcc_lo, v9, v13
	s_delay_alu instid0(VALU_DEP_2) | instskip(NEXT) | instid1(VALU_DEP_1)
	v_add_co_ci_u32_e32 v10, vcc_lo, v10, v14, vcc_lo
	v_cmpx_lt_i64_e64 v[9:10], v[7:8]
	s_cbranch_execz .LBB35_10
; %bb.7:
	s_clause 0x1
	s_load_b128 s[12:15], s[0:1], 0x40
	s_load_b64 s[8:9], s[0:1], 0x50
	v_lshlrev_b64 v[13:14], 3, v[9:10]
	v_lshlrev_b64 v[15:16], 2, v[9:10]
	v_mov_b32_e32 v11, 0
	v_mov_b32_e32 v12, 0
	s_waitcnt lgkmcnt(0)
	s_delay_alu instid0(VALU_DEP_4)
	v_add_co_u32 v13, vcc_lo, s14, v13
	v_add_co_ci_u32_e32 v14, vcc_lo, s15, v14, vcc_lo
	v_add_co_u32 v15, vcc_lo, s12, v15
	v_add_co_ci_u32_e32 v16, vcc_lo, s13, v16, vcc_lo
	s_set_inst_prefetch_distance 0x1
	.p2align	6
.LBB35_8:                               ; =>This Inner Loop Header: Depth=1
	global_load_b32 v19, v[15:16], off
	global_load_b64 v[17:18], v[13:14], off
	v_add_co_u32 v15, s0, 0x100, v15
	s_delay_alu instid0(VALU_DEP_1) | instskip(SKIP_4) | instid1(VALU_DEP_2)
	v_add_co_ci_u32_e64 v16, s0, 0, v16, s0
	s_waitcnt vmcnt(1)
	v_subrev_nc_u32_e32 v19, s4, v19
	s_waitcnt vmcnt(0)
	v_mul_f64 v[17:18], v[5:6], v[17:18]
	v_ashrrev_i32_e32 v20, 31, v19
	s_delay_alu instid0(VALU_DEP_1) | instskip(NEXT) | instid1(VALU_DEP_1)
	v_lshlrev_b64 v[19:20], 3, v[19:20]
	v_add_co_u32 v19, vcc_lo, s8, v19
	s_delay_alu instid0(VALU_DEP_2)
	v_add_co_ci_u32_e32 v20, vcc_lo, s9, v20, vcc_lo
	v_add_co_u32 v9, vcc_lo, v9, 64
	v_add_co_ci_u32_e32 v10, vcc_lo, 0, v10, vcc_lo
	global_load_b64 v[19:20], v[19:20], off
	v_add_co_u32 v13, vcc_lo, 0x200, v13
	v_add_co_ci_u32_e32 v14, vcc_lo, 0, v14, vcc_lo
	v_cmp_ge_i64_e32 vcc_lo, v[9:10], v[7:8]
	s_or_b32 s7, vcc_lo, s7
	s_waitcnt vmcnt(0)
	v_fma_f64 v[11:12], v[17:18], v[19:20], v[11:12]
	s_and_not1_b32 exec_lo, exec_lo, s7
	s_cbranch_execnz .LBB35_8
; %bb.9:
	s_set_inst_prefetch_distance 0x2
	s_or_b32 exec_lo, exec_lo, s7
.LBB35_10:
	s_delay_alu instid0(SALU_CYCLE_1) | instskip(SKIP_1) | instid1(VALU_DEP_1)
	s_or_b32 exec_lo, exec_lo, s5
	v_mbcnt_lo_u32_b32 v9, -1, 0
	v_or_b32_e32 v5, 32, v9
	v_xor_b32_e32 v7, 16, v9
	s_delay_alu instid0(VALU_DEP_2) | instskip(SKIP_1) | instid1(VALU_DEP_3)
	v_cmp_gt_i32_e32 vcc_lo, 32, v5
	v_cndmask_b32_e32 v5, v9, v5, vcc_lo
	v_cmp_gt_i32_e32 vcc_lo, 32, v7
	v_cndmask_b32_e32 v7, v9, v7, vcc_lo
	s_delay_alu instid0(VALU_DEP_1) | instskip(NEXT) | instid1(VALU_DEP_4)
	v_lshlrev_b32_e32 v8, 2, v7
	v_lshlrev_b32_e32 v6, 2, v5
	ds_bpermute_b32 v5, v6, v11
	ds_bpermute_b32 v6, v6, v12
	s_waitcnt lgkmcnt(0)
	v_add_f64 v[5:6], v[11:12], v[5:6]
	ds_bpermute_b32 v7, v8, v5
	ds_bpermute_b32 v8, v8, v6
	s_waitcnt lgkmcnt(0)
	v_add_f64 v[5:6], v[5:6], v[7:8]
	v_xor_b32_e32 v7, 8, v9
	s_delay_alu instid0(VALU_DEP_1) | instskip(SKIP_1) | instid1(VALU_DEP_1)
	v_cmp_gt_i32_e32 vcc_lo, 32, v7
	v_cndmask_b32_e32 v7, v9, v7, vcc_lo
	v_lshlrev_b32_e32 v8, 2, v7
	ds_bpermute_b32 v7, v8, v5
	ds_bpermute_b32 v8, v8, v6
	s_waitcnt lgkmcnt(0)
	v_add_f64 v[5:6], v[5:6], v[7:8]
	v_xor_b32_e32 v7, 4, v9
	s_delay_alu instid0(VALU_DEP_1) | instskip(SKIP_1) | instid1(VALU_DEP_1)
	v_cmp_gt_i32_e32 vcc_lo, 32, v7
	v_cndmask_b32_e32 v7, v9, v7, vcc_lo
	v_lshlrev_b32_e32 v8, 2, v7
	;; [unrolled: 9-line block ×3, first 2 shown]
	ds_bpermute_b32 v7, v8, v5
	ds_bpermute_b32 v8, v8, v6
	s_waitcnt lgkmcnt(0)
	v_add_f64 v[5:6], v[5:6], v[7:8]
	v_xor_b32_e32 v7, 1, v9
	s_delay_alu instid0(VALU_DEP_1) | instskip(SKIP_2) | instid1(VALU_DEP_2)
	v_cmp_gt_i32_e32 vcc_lo, 32, v7
	v_cndmask_b32_e32 v7, v9, v7, vcc_lo
	v_cmp_eq_u32_e32 vcc_lo, 63, v0
	v_lshlrev_b32_e32 v8, 2, v7
	ds_bpermute_b32 v7, v8, v5
	ds_bpermute_b32 v8, v8, v6
	s_and_b32 exec_lo, exec_lo, vcc_lo
	s_cbranch_execz .LBB35_14
; %bb.11:
	s_waitcnt lgkmcnt(0)
	v_add_f64 v[5:6], v[5:6], v[7:8]
	s_mov_b32 s0, exec_lo
	v_cmpx_neq_f64_e32 0, v[1:2]
	s_cbranch_execz .LBB35_13
; %bb.12:
	v_add_co_u32 v7, vcc_lo, s2, v3
	v_add_co_ci_u32_e32 v8, vcc_lo, s3, v4, vcc_lo
	global_load_b64 v[7:8], v[7:8], off
	s_waitcnt vmcnt(0)
	v_fma_f64 v[5:6], v[1:2], v[7:8], v[5:6]
.LBB35_13:
	s_or_b32 exec_lo, exec_lo, s0
	v_add_co_u32 v0, vcc_lo, s2, v3
	v_add_co_ci_u32_e32 v1, vcc_lo, s3, v4, vcc_lo
	global_store_b64 v[0:1], v[5:6], off
.LBB35_14:
	s_nop 0
	s_sendmsg sendmsg(MSG_DEALLOC_VGPRS)
	s_endpgm
	.section	.rodata,"a",@progbits
	.p2align	6, 0x0
	.amdhsa_kernel _ZN9rocsparseL41csrmvn_lrb_medium_rows_warp_reduce_kernelILj256ELj64EliddddEEvbT1_lPT2_S3_jNS_24const_host_device_scalarIT6_EEPKS1_PKS2_PKT3_PKT4_S6_PT5_21rocsparse_index_base_b
		.amdhsa_group_segment_fixed_size 0
		.amdhsa_private_segment_fixed_size 0
		.amdhsa_kernarg_size 112
		.amdhsa_user_sgpr_count 15
		.amdhsa_user_sgpr_dispatch_ptr 0
		.amdhsa_user_sgpr_queue_ptr 0
		.amdhsa_user_sgpr_kernarg_segment_ptr 1
		.amdhsa_user_sgpr_dispatch_id 0
		.amdhsa_user_sgpr_private_segment_size 0
		.amdhsa_wavefront_size32 1
		.amdhsa_uses_dynamic_stack 0
		.amdhsa_enable_private_segment 0
		.amdhsa_system_sgpr_workgroup_id_x 1
		.amdhsa_system_sgpr_workgroup_id_y 0
		.amdhsa_system_sgpr_workgroup_id_z 0
		.amdhsa_system_sgpr_workgroup_info 0
		.amdhsa_system_vgpr_workitem_id 0
		.amdhsa_next_free_vgpr 21
		.amdhsa_next_free_sgpr 16
		.amdhsa_reserve_vcc 1
		.amdhsa_float_round_mode_32 0
		.amdhsa_float_round_mode_16_64 0
		.amdhsa_float_denorm_mode_32 3
		.amdhsa_float_denorm_mode_16_64 3
		.amdhsa_dx10_clamp 1
		.amdhsa_ieee_mode 1
		.amdhsa_fp16_overflow 0
		.amdhsa_workgroup_processor_mode 1
		.amdhsa_memory_ordered 1
		.amdhsa_forward_progress 0
		.amdhsa_shared_vgpr_count 0
		.amdhsa_exception_fp_ieee_invalid_op 0
		.amdhsa_exception_fp_denorm_src 0
		.amdhsa_exception_fp_ieee_div_zero 0
		.amdhsa_exception_fp_ieee_overflow 0
		.amdhsa_exception_fp_ieee_underflow 0
		.amdhsa_exception_fp_ieee_inexact 0
		.amdhsa_exception_int_div_zero 0
	.end_amdhsa_kernel
	.section	.text._ZN9rocsparseL41csrmvn_lrb_medium_rows_warp_reduce_kernelILj256ELj64EliddddEEvbT1_lPT2_S3_jNS_24const_host_device_scalarIT6_EEPKS1_PKS2_PKT3_PKT4_S6_PT5_21rocsparse_index_base_b,"axG",@progbits,_ZN9rocsparseL41csrmvn_lrb_medium_rows_warp_reduce_kernelILj256ELj64EliddddEEvbT1_lPT2_S3_jNS_24const_host_device_scalarIT6_EEPKS1_PKS2_PKT3_PKT4_S6_PT5_21rocsparse_index_base_b,comdat
.Lfunc_end35:
	.size	_ZN9rocsparseL41csrmvn_lrb_medium_rows_warp_reduce_kernelILj256ELj64EliddddEEvbT1_lPT2_S3_jNS_24const_host_device_scalarIT6_EEPKS1_PKS2_PKT3_PKT4_S6_PT5_21rocsparse_index_base_b, .Lfunc_end35-_ZN9rocsparseL41csrmvn_lrb_medium_rows_warp_reduce_kernelILj256ELj64EliddddEEvbT1_lPT2_S3_jNS_24const_host_device_scalarIT6_EEPKS1_PKS2_PKT3_PKT4_S6_PT5_21rocsparse_index_base_b
                                        ; -- End function
	.section	.AMDGPU.csdata,"",@progbits
; Kernel info:
; codeLenInByte = 1076
; NumSgprs: 18
; NumVgprs: 21
; ScratchSize: 0
; MemoryBound: 0
; FloatMode: 240
; IeeeMode: 1
; LDSByteSize: 0 bytes/workgroup (compile time only)
; SGPRBlocks: 2
; VGPRBlocks: 2
; NumSGPRsForWavesPerEU: 18
; NumVGPRsForWavesPerEU: 21
; Occupancy: 16
; WaveLimiterHint : 1
; COMPUTE_PGM_RSRC2:SCRATCH_EN: 0
; COMPUTE_PGM_RSRC2:USER_SGPR: 15
; COMPUTE_PGM_RSRC2:TRAP_HANDLER: 0
; COMPUTE_PGM_RSRC2:TGID_X_EN: 1
; COMPUTE_PGM_RSRC2:TGID_Y_EN: 0
; COMPUTE_PGM_RSRC2:TGID_Z_EN: 0
; COMPUTE_PGM_RSRC2:TIDIG_COMP_CNT: 0
	.section	.text._ZN9rocsparseL29csrmvn_lrb_medium_rows_kernelILj256EliddddEEvbT0_PT1_S3_jNS_24const_host_device_scalarIT5_EEPKS1_PKS2_PKT2_PKT3_S6_PT4_21rocsparse_index_base_b,"axG",@progbits,_ZN9rocsparseL29csrmvn_lrb_medium_rows_kernelILj256EliddddEEvbT0_PT1_S3_jNS_24const_host_device_scalarIT5_EEPKS1_PKS2_PKT2_PKT3_S6_PT4_21rocsparse_index_base_b,comdat
	.globl	_ZN9rocsparseL29csrmvn_lrb_medium_rows_kernelILj256EliddddEEvbT0_PT1_S3_jNS_24const_host_device_scalarIT5_EEPKS1_PKS2_PKT2_PKT3_S6_PT4_21rocsparse_index_base_b ; -- Begin function _ZN9rocsparseL29csrmvn_lrb_medium_rows_kernelILj256EliddddEEvbT0_PT1_S3_jNS_24const_host_device_scalarIT5_EEPKS1_PKS2_PKT2_PKT3_S6_PT4_21rocsparse_index_base_b
	.p2align	8
	.type	_ZN9rocsparseL29csrmvn_lrb_medium_rows_kernelILj256EliddddEEvbT0_PT1_S3_jNS_24const_host_device_scalarIT5_EEPKS1_PKS2_PKT2_PKT3_S6_PT4_21rocsparse_index_base_b,@function
_ZN9rocsparseL29csrmvn_lrb_medium_rows_kernelILj256EliddddEEvbT0_PT1_S3_jNS_24const_host_device_scalarIT5_EEPKS1_PKS2_PKT2_PKT3_S6_PT4_21rocsparse_index_base_b: ; @_ZN9rocsparseL29csrmvn_lrb_medium_rows_kernelILj256EliddddEEvbT0_PT1_S3_jNS_24const_host_device_scalarIT5_EEPKS1_PKS2_PKT2_PKT3_S6_PT4_21rocsparse_index_base_b
; %bb.0:
	s_clause 0x2
	s_load_b64 s[6:7], s[0:1], 0x60
	s_load_b64 s[4:5], s[0:1], 0x28
	;; [unrolled: 1-line block ×3, first 2 shown]
	s_waitcnt lgkmcnt(0)
	s_bitcmp1_b32 s7, 0
	v_dual_mov_b32 v3, s4 :: v_dual_mov_b32 v4, s5
	s_cselect_b32 s7, -1, 0
	s_delay_alu instid0(SALU_CYCLE_1)
	s_and_b32 vcc_lo, exec_lo, s7
	s_xor_b32 s7, s7, -1
	s_cbranch_vccnz .LBB36_2
; %bb.1:
	v_dual_mov_b32 v1, s4 :: v_dual_mov_b32 v2, s5
	flat_load_b64 v[3:4], v[1:2]
.LBB36_2:
	v_dual_mov_b32 v1, s2 :: v_dual_mov_b32 v2, s3
	s_and_not1_b32 vcc_lo, exec_lo, s7
	s_cbranch_vccnz .LBB36_4
; %bb.3:
	v_dual_mov_b32 v1, s2 :: v_dual_mov_b32 v2, s3
	flat_load_b64 v[1:2], v[1:2]
.LBB36_4:
	s_waitcnt vmcnt(0) lgkmcnt(0)
	v_cmp_neq_f64_e32 vcc_lo, 0, v[3:4]
	v_cmp_neq_f64_e64 s2, 1.0, v[1:2]
	s_delay_alu instid0(VALU_DEP_1) | instskip(NEXT) | instid1(SALU_CYCLE_1)
	s_or_b32 s2, vcc_lo, s2
	s_and_saveexec_b32 s3, s2
	s_cbranch_execz .LBB36_29
; %bb.5:
	s_clause 0x1
	s_load_b32 s8, s[0:1], 0x20
	s_load_b128 s[16:19], s[0:1], 0x10
	s_mov_b32 s9, 0
	v_sub_co_u32 v5, s7, v0, s6
	s_delay_alu instid0(VALU_DEP_1)
	v_sub_co_ci_u32_e64 v6, null, 0, 0, s7
	v_mov_b32_e32 v7, 0
	v_mov_b32_e32 v8, 0
	s_mov_b32 s7, exec_lo
	s_waitcnt lgkmcnt(0)
	s_lshl_b64 s[2:3], s[8:9], 2
	s_delay_alu instid0(SALU_CYCLE_1) | instskip(SKIP_4) | instid1(SALU_CYCLE_1)
	s_add_u32 s2, s18, s2
	s_addc_u32 s3, s19, s3
	s_load_b32 s2, s[2:3], 0x0
	s_waitcnt lgkmcnt(0)
	s_add_i32 s2, s2, s15
	s_ashr_i32 s3, s2, 31
	s_delay_alu instid0(SALU_CYCLE_1) | instskip(NEXT) | instid1(SALU_CYCLE_1)
	s_lshl_b64 s[2:3], s[2:3], 2
	s_add_u32 s2, s16, s2
	s_addc_u32 s3, s17, s3
	s_load_b32 s2, s[2:3], 0x0
	s_load_b64 s[4:5], s[0:1], 0x30
	s_waitcnt lgkmcnt(0)
	s_ashr_i32 s3, s2, 31
	s_delay_alu instid0(SALU_CYCLE_1) | instskip(NEXT) | instid1(SALU_CYCLE_1)
	s_lshl_b64 s[2:3], s[2:3], 3
	s_add_u32 s4, s4, s2
	s_addc_u32 s5, s5, s3
	s_load_b128 s[12:15], s[4:5], 0x0
	s_load_b64 s[4:5], s[0:1], 0x58
	s_waitcnt lgkmcnt(0)
	v_add_co_u32 v5, vcc_lo, s12, v5
	v_add_co_ci_u32_e32 v6, vcc_lo, s13, v6, vcc_lo
	s_sub_u32 s10, s14, s6
	s_subb_u32 s11, s15, 0
	s_delay_alu instid0(VALU_DEP_1) | instid1(SALU_CYCLE_1)
	v_cmpx_gt_i64_e64 s[10:11], v[5:6]
	s_cbranch_execz .LBB36_9
; %bb.6:
	s_clause 0x1
	s_load_b128 s[16:19], s[0:1], 0x38
	s_load_b64 s[12:13], s[0:1], 0x48
	v_lshlrev_b64 v[9:10], 3, v[5:6]
	v_lshlrev_b64 v[11:12], 2, v[5:6]
	v_mov_b32_e32 v7, 0
	v_mov_b32_e32 v8, 0
	s_waitcnt lgkmcnt(0)
	s_delay_alu instid0(VALU_DEP_4)
	v_add_co_u32 v9, vcc_lo, s18, v9
	v_add_co_ci_u32_e32 v10, vcc_lo, s19, v10, vcc_lo
	v_add_co_u32 v11, vcc_lo, s16, v11
	v_add_co_ci_u32_e32 v12, vcc_lo, s17, v12, vcc_lo
	s_set_inst_prefetch_distance 0x1
	.p2align	6
.LBB36_7:                               ; =>This Inner Loop Header: Depth=1
	global_load_b32 v15, v[11:12], off
	global_load_b64 v[13:14], v[9:10], off
	v_add_co_u32 v11, s0, 0x400, v11
	s_delay_alu instid0(VALU_DEP_1) | instskip(SKIP_4) | instid1(VALU_DEP_2)
	v_add_co_ci_u32_e64 v12, s0, 0, v12, s0
	s_waitcnt vmcnt(1)
	v_subrev_nc_u32_e32 v15, s6, v15
	s_waitcnt vmcnt(0)
	v_mul_f64 v[13:14], v[3:4], v[13:14]
	v_ashrrev_i32_e32 v16, 31, v15
	s_delay_alu instid0(VALU_DEP_1) | instskip(NEXT) | instid1(VALU_DEP_1)
	v_lshlrev_b64 v[15:16], 3, v[15:16]
	v_add_co_u32 v15, vcc_lo, s12, v15
	s_delay_alu instid0(VALU_DEP_2)
	v_add_co_ci_u32_e32 v16, vcc_lo, s13, v16, vcc_lo
	v_add_co_u32 v5, vcc_lo, 0x100, v5
	v_add_co_ci_u32_e32 v6, vcc_lo, 0, v6, vcc_lo
	global_load_b64 v[15:16], v[15:16], off
	v_add_co_u32 v9, vcc_lo, 0x800, v9
	v_add_co_ci_u32_e32 v10, vcc_lo, 0, v10, vcc_lo
	v_cmp_le_i64_e32 vcc_lo, s[10:11], v[5:6]
	s_or_b32 s9, vcc_lo, s9
	s_waitcnt vmcnt(0)
	v_fma_f64 v[7:8], v[13:14], v[15:16], v[7:8]
	s_and_not1_b32 exec_lo, exec_lo, s9
	s_cbranch_execnz .LBB36_7
; %bb.8:
	s_set_inst_prefetch_distance 0x2
	s_or_b32 exec_lo, exec_lo, s9
.LBB36_9:
	s_delay_alu instid0(SALU_CYCLE_1)
	s_or_b32 exec_lo, exec_lo, s7
	v_lshlrev_b32_e32 v3, 3, v0
	s_mov_b32 s0, exec_lo
	ds_store_b64 v3, v[7:8]
	s_waitcnt lgkmcnt(0)
	s_barrier
	buffer_gl0_inv
	v_cmpx_gt_u32_e32 0x80, v0
	s_cbranch_execz .LBB36_11
; %bb.10:
	ds_load_2addr_stride64_b64 v[4:7], v3 offset1:2
	s_waitcnt lgkmcnt(0)
	v_add_f64 v[4:5], v[4:5], v[6:7]
	ds_store_b64 v3, v[4:5]
.LBB36_11:
	s_or_b32 exec_lo, exec_lo, s0
	s_delay_alu instid0(SALU_CYCLE_1)
	s_mov_b32 s0, exec_lo
	s_waitcnt lgkmcnt(0)
	s_barrier
	buffer_gl0_inv
	v_cmpx_gt_u32_e32 64, v0
	s_cbranch_execz .LBB36_13
; %bb.12:
	ds_load_2addr_stride64_b64 v[4:7], v3 offset1:1
	s_waitcnt lgkmcnt(0)
	v_add_f64 v[4:5], v[4:5], v[6:7]
	ds_store_b64 v3, v[4:5]
.LBB36_13:
	s_or_b32 exec_lo, exec_lo, s0
	s_delay_alu instid0(SALU_CYCLE_1)
	s_mov_b32 s0, exec_lo
	s_waitcnt lgkmcnt(0)
	s_barrier
	buffer_gl0_inv
	v_cmpx_gt_u32_e32 32, v0
	s_cbranch_execz .LBB36_15
; %bb.14:
	ds_load_2addr_b64 v[4:7], v3 offset1:32
	s_waitcnt lgkmcnt(0)
	v_add_f64 v[4:5], v[4:5], v[6:7]
	ds_store_b64 v3, v[4:5]
.LBB36_15:
	s_or_b32 exec_lo, exec_lo, s0
	s_delay_alu instid0(SALU_CYCLE_1)
	s_mov_b32 s0, exec_lo
	s_waitcnt lgkmcnt(0)
	s_barrier
	buffer_gl0_inv
	v_cmpx_gt_u32_e32 16, v0
	s_cbranch_execz .LBB36_17
; %bb.16:
	ds_load_2addr_b64 v[4:7], v3 offset1:16
	s_waitcnt lgkmcnt(0)
	v_add_f64 v[4:5], v[4:5], v[6:7]
	ds_store_b64 v3, v[4:5]
.LBB36_17:
	;; [unrolled: 14-line block ×5, first 2 shown]
	s_or_b32 exec_lo, exec_lo, s0
	v_cmp_eq_u32_e32 vcc_lo, 0, v0
	s_waitcnt lgkmcnt(0)
	s_barrier
	buffer_gl0_inv
	s_and_saveexec_b32 s0, vcc_lo
	s_cbranch_execz .LBB36_25
; %bb.24:
	v_mov_b32_e32 v0, 0
	ds_load_b128 v[3:6], v0
	s_waitcnt lgkmcnt(0)
	v_add_f64 v[3:4], v[3:4], v[5:6]
	ds_store_b64 v0, v[3:4]
.LBB36_25:
	s_or_b32 exec_lo, exec_lo, s0
	s_waitcnt lgkmcnt(0)
	s_barrier
	buffer_gl0_inv
	s_and_b32 exec_lo, exec_lo, vcc_lo
	s_cbranch_execz .LBB36_29
; %bb.26:
	v_mov_b32_e32 v0, 0
	s_mov_b32 s0, exec_lo
	ds_load_b64 v[3:4], v0
	v_cmpx_neq_f64_e32 0, v[1:2]
	s_cbranch_execz .LBB36_28
; %bb.27:
	s_add_u32 s6, s4, s2
	s_addc_u32 s7, s5, s3
	s_load_b64 s[6:7], s[6:7], 0x0
	s_waitcnt lgkmcnt(0)
	v_fma_f64 v[3:4], v[1:2], s[6:7], v[3:4]
.LBB36_28:
	s_or_b32 exec_lo, exec_lo, s0
	s_add_u32 s0, s4, s2
	s_addc_u32 s1, s5, s3
	s_waitcnt lgkmcnt(0)
	global_store_b64 v0, v[3:4], s[0:1]
.LBB36_29:
	s_nop 0
	s_sendmsg sendmsg(MSG_DEALLOC_VGPRS)
	s_endpgm
	.section	.rodata,"a",@progbits
	.p2align	6, 0x0
	.amdhsa_kernel _ZN9rocsparseL29csrmvn_lrb_medium_rows_kernelILj256EliddddEEvbT0_PT1_S3_jNS_24const_host_device_scalarIT5_EEPKS1_PKS2_PKT2_PKT3_S6_PT4_21rocsparse_index_base_b
		.amdhsa_group_segment_fixed_size 2048
		.amdhsa_private_segment_fixed_size 0
		.amdhsa_kernarg_size 104
		.amdhsa_user_sgpr_count 15
		.amdhsa_user_sgpr_dispatch_ptr 0
		.amdhsa_user_sgpr_queue_ptr 0
		.amdhsa_user_sgpr_kernarg_segment_ptr 1
		.amdhsa_user_sgpr_dispatch_id 0
		.amdhsa_user_sgpr_private_segment_size 0
		.amdhsa_wavefront_size32 1
		.amdhsa_uses_dynamic_stack 0
		.amdhsa_enable_private_segment 0
		.amdhsa_system_sgpr_workgroup_id_x 1
		.amdhsa_system_sgpr_workgroup_id_y 0
		.amdhsa_system_sgpr_workgroup_id_z 0
		.amdhsa_system_sgpr_workgroup_info 0
		.amdhsa_system_vgpr_workitem_id 0
		.amdhsa_next_free_vgpr 17
		.amdhsa_next_free_sgpr 20
		.amdhsa_reserve_vcc 1
		.amdhsa_float_round_mode_32 0
		.amdhsa_float_round_mode_16_64 0
		.amdhsa_float_denorm_mode_32 3
		.amdhsa_float_denorm_mode_16_64 3
		.amdhsa_dx10_clamp 1
		.amdhsa_ieee_mode 1
		.amdhsa_fp16_overflow 0
		.amdhsa_workgroup_processor_mode 1
		.amdhsa_memory_ordered 1
		.amdhsa_forward_progress 0
		.amdhsa_shared_vgpr_count 0
		.amdhsa_exception_fp_ieee_invalid_op 0
		.amdhsa_exception_fp_denorm_src 0
		.amdhsa_exception_fp_ieee_div_zero 0
		.amdhsa_exception_fp_ieee_overflow 0
		.amdhsa_exception_fp_ieee_underflow 0
		.amdhsa_exception_fp_ieee_inexact 0
		.amdhsa_exception_int_div_zero 0
	.end_amdhsa_kernel
	.section	.text._ZN9rocsparseL29csrmvn_lrb_medium_rows_kernelILj256EliddddEEvbT0_PT1_S3_jNS_24const_host_device_scalarIT5_EEPKS1_PKS2_PKT2_PKT3_S6_PT4_21rocsparse_index_base_b,"axG",@progbits,_ZN9rocsparseL29csrmvn_lrb_medium_rows_kernelILj256EliddddEEvbT0_PT1_S3_jNS_24const_host_device_scalarIT5_EEPKS1_PKS2_PKT2_PKT3_S6_PT4_21rocsparse_index_base_b,comdat
.Lfunc_end36:
	.size	_ZN9rocsparseL29csrmvn_lrb_medium_rows_kernelILj256EliddddEEvbT0_PT1_S3_jNS_24const_host_device_scalarIT5_EEPKS1_PKS2_PKT2_PKT3_S6_PT4_21rocsparse_index_base_b, .Lfunc_end36-_ZN9rocsparseL29csrmvn_lrb_medium_rows_kernelILj256EliddddEEvbT0_PT1_S3_jNS_24const_host_device_scalarIT5_EEPKS1_PKS2_PKT2_PKT3_S6_PT4_21rocsparse_index_base_b
                                        ; -- End function
	.section	.AMDGPU.csdata,"",@progbits
; Kernel info:
; codeLenInByte = 1244
; NumSgprs: 22
; NumVgprs: 17
; ScratchSize: 0
; MemoryBound: 0
; FloatMode: 240
; IeeeMode: 1
; LDSByteSize: 2048 bytes/workgroup (compile time only)
; SGPRBlocks: 2
; VGPRBlocks: 2
; NumSGPRsForWavesPerEU: 22
; NumVGPRsForWavesPerEU: 17
; Occupancy: 16
; WaveLimiterHint : 1
; COMPUTE_PGM_RSRC2:SCRATCH_EN: 0
; COMPUTE_PGM_RSRC2:USER_SGPR: 15
; COMPUTE_PGM_RSRC2:TRAP_HANDLER: 0
; COMPUTE_PGM_RSRC2:TGID_X_EN: 1
; COMPUTE_PGM_RSRC2:TGID_Y_EN: 0
; COMPUTE_PGM_RSRC2:TGID_Z_EN: 0
; COMPUTE_PGM_RSRC2:TIDIG_COMP_CNT: 0
	.section	.text._ZN9rocsparseL27csrmvn_lrb_long_rows_kernelIliddddEEvbT_PjPT0_S4_jNS_24const_host_device_scalarIT4_EEPKS1_PKS3_PKT1_PKT2_S7_PT3_21rocsparse_index_base_b,"axG",@progbits,_ZN9rocsparseL27csrmvn_lrb_long_rows_kernelIliddddEEvbT_PjPT0_S4_jNS_24const_host_device_scalarIT4_EEPKS1_PKS3_PKT1_PKT2_S7_PT3_21rocsparse_index_base_b,comdat
	.globl	_ZN9rocsparseL27csrmvn_lrb_long_rows_kernelIliddddEEvbT_PjPT0_S4_jNS_24const_host_device_scalarIT4_EEPKS1_PKS3_PKT1_PKT2_S7_PT3_21rocsparse_index_base_b ; -- Begin function _ZN9rocsparseL27csrmvn_lrb_long_rows_kernelIliddddEEvbT_PjPT0_S4_jNS_24const_host_device_scalarIT4_EEPKS1_PKS3_PKT1_PKT2_S7_PT3_21rocsparse_index_base_b
	.p2align	8
	.type	_ZN9rocsparseL27csrmvn_lrb_long_rows_kernelIliddddEEvbT_PjPT0_S4_jNS_24const_host_device_scalarIT4_EEPKS1_PKS3_PKT1_PKT2_S7_PT3_21rocsparse_index_base_b,@function
_ZN9rocsparseL27csrmvn_lrb_long_rows_kernelIliddddEEvbT_PjPT0_S4_jNS_24const_host_device_scalarIT4_EEPKS1_PKS3_PKT1_PKT2_S7_PT3_21rocsparse_index_base_b: ; @_ZN9rocsparseL27csrmvn_lrb_long_rows_kernelIliddddEEvbT_PjPT0_S4_jNS_24const_host_device_scalarIT4_EEPKS1_PKS3_PKT1_PKT2_S7_PT3_21rocsparse_index_base_b
; %bb.0:
	s_clause 0x2
	s_load_b64 s[16:17], s[0:1], 0x68
	s_load_b64 s[4:5], s[0:1], 0x30
	;; [unrolled: 1-line block ×3, first 2 shown]
	s_mov_b32 s8, s15
	s_waitcnt lgkmcnt(0)
	s_bitcmp1_b32 s17, 0
	v_dual_mov_b32 v1, s4 :: v_dual_mov_b32 v2, s5
	s_cselect_b32 s6, -1, 0
	s_delay_alu instid0(SALU_CYCLE_1)
	s_and_b32 vcc_lo, exec_lo, s6
	s_xor_b32 s6, s6, -1
	s_cbranch_vccnz .LBB37_2
; %bb.1:
	v_dual_mov_b32 v1, s4 :: v_dual_mov_b32 v2, s5
	flat_load_b64 v[1:2], v[1:2]
.LBB37_2:
	v_dual_mov_b32 v6, s3 :: v_dual_mov_b32 v5, s2
	s_and_not1_b32 vcc_lo, exec_lo, s6
	s_cbranch_vccnz .LBB37_4
; %bb.3:
	v_dual_mov_b32 v4, s3 :: v_dual_mov_b32 v3, s2
	flat_load_b64 v[5:6], v[3:4]
.LBB37_4:
	s_waitcnt vmcnt(0) lgkmcnt(0)
	v_cmp_neq_f64_e32 vcc_lo, 0, v[1:2]
	v_cmp_neq_f64_e64 s2, 1.0, v[5:6]
	s_delay_alu instid0(VALU_DEP_1) | instskip(NEXT) | instid1(SALU_CYCLE_1)
	s_or_b32 s2, vcc_lo, s2
	s_and_saveexec_b32 s3, s2
	s_cbranch_execz .LBB37_39
; %bb.5:
	s_clause 0x1
	s_load_b32 s18, s[0:1], 0x28
	s_load_b64 s[2:3], s[0:1], 0x20
	s_mov_b32 s19, 0
	s_waitcnt lgkmcnt(0)
	s_lshl_b64 s[4:5], s[18:19], 2
	s_delay_alu instid0(SALU_CYCLE_1)
	s_add_u32 s2, s2, s4
	s_addc_u32 s3, s3, s5
	s_lshl_b32 s4, -1, s18
	s_load_b32 s2, s[2:3], 0x0
	s_not_b32 s4, s4
	s_mov_b32 s18, exec_lo
	s_mul_hi_u32 s4, s4, 0x2aaaaaab
	s_delay_alu instid0(SALU_CYCLE_1) | instskip(NEXT) | instid1(SALU_CYCLE_1)
	s_lshr_b32 s4, s4, 7
	s_add_i32 s9, s4, 1
	s_not_b32 s4, s4
	v_cvt_f32_u32_e32 v3, s9
	s_delay_alu instid0(VALU_DEP_1) | instskip(SKIP_2) | instid1(VALU_DEP_1)
	v_rcp_iflag_f32_e32 v3, v3
	s_waitcnt_depctr 0xfff
	v_mul_f32_e32 v3, 0x4f7ffffe, v3
	v_cvt_u32_f32_e32 v3, v3
	s_delay_alu instid0(VALU_DEP_1) | instskip(SKIP_2) | instid1(VALU_DEP_3)
	v_readfirstlane_b32 s5, v3
	v_mov_b32_e32 v3, 0
	v_mov_b32_e32 v4, 0
	s_mul_i32 s4, s4, s5
	s_delay_alu instid0(SALU_CYCLE_1) | instskip(NEXT) | instid1(SALU_CYCLE_1)
	s_mul_hi_u32 s3, s5, s4
	s_add_i32 s5, s5, s3
	s_delay_alu instid0(SALU_CYCLE_1) | instskip(SKIP_4) | instid1(SALU_CYCLE_1)
	s_mul_hi_u32 s3, s8, s5
	s_load_b128 s[4:7], s[0:1], 0x10
	s_mul_i32 s10, s3, s9
	s_add_i32 s11, s3, 1
	s_sub_i32 s10, s8, s10
	s_sub_i32 s12, s10, s9
	s_cmp_ge_u32 s10, s9
	s_cselect_b32 s3, s11, s3
	s_cselect_b32 s10, s12, s10
	s_add_i32 s11, s3, 1
	s_cmp_ge_u32 s10, s9
	s_cselect_b32 s10, s11, s3
	s_waitcnt lgkmcnt(0)
	s_add_i32 s2, s10, s2
	s_mul_i32 s14, s10, s9
	s_ashr_i32 s3, s2, 31
	s_sub_i32 s22, s8, s14
	s_lshl_b64 s[2:3], s[2:3], 2
	v_or_b32_e32 v7, s22, v0
	s_add_u32 s2, s6, s2
	s_addc_u32 s3, s7, s3
	s_load_b32 s2, s[2:3], 0x0
	s_load_b64 s[6:7], s[0:1], 0x38
	s_waitcnt lgkmcnt(0)
	s_ashr_i32 s3, s2, 31
	s_delay_alu instid0(SALU_CYCLE_1) | instskip(NEXT) | instid1(SALU_CYCLE_1)
	s_lshl_b64 s[2:3], s[2:3], 3
	s_add_u32 s10, s6, s2
	s_addc_u32 s11, s7, s3
	s_ashr_i32 s9, s8, 31
	s_load_b64 s[6:7], s[0:1], 0x60
	s_lshl_b64 s[8:9], s[8:9], 2
	s_delay_alu instid0(SALU_CYCLE_1)
	s_add_u32 s12, s4, s8
	s_addc_u32 s13, s5, s9
	s_load_b128 s[8:11], s[10:11], 0x0
	s_load_b32 s17, s[12:13], 0x0
	v_cmpx_eq_u32_e32 0, v7
	s_cbranch_execz .LBB37_9
; %bb.6:
	v_add_f64 v[3:4], v[5:6], -1.0
	s_waitcnt lgkmcnt(0)
	s_add_u32 s20, s6, s2
	s_addc_u32 s21, s7, s3
	s_mov_b32 s23, exec_lo
	s_load_b64 s[20:21], s[20:21], 0x0
	v_mbcnt_lo_u32_b32 v5, s23, 0
	s_mov_b32 s24, exec_lo
	s_waitcnt vmcnt(0) expcnt(0) lgkmcnt(0)
	s_delay_alu instid0(VALU_DEP_1)
	v_cmpx_eq_u32_e32 0, v5
	s_cbranch_execz .LBB37_8
; %bb.7:
	s_ashr_i32 s15, s14, 31
	s_delay_alu instid0(SALU_CYCLE_1) | instskip(NEXT) | instid1(SALU_CYCLE_1)
	s_lshl_b64 s[26:27], s[14:15], 2
	s_add_u32 s26, s4, s26
	s_addc_u32 s27, s5, s27
	s_bcnt1_i32_b32 s15, s23
	s_delay_alu instid0(SALU_CYCLE_1) | instskip(NEXT) | instid1(SALU_CYCLE_1)
	s_and_b32 s15, s15, 1
	v_dual_mov_b32 v5, 0 :: v_dual_mov_b32 v6, s15
	global_atomic_xor_b32 v5, v6, s[26:27]
.LBB37_8:
	s_or_b32 exec_lo, exec_lo, s24
	s_delay_alu instid0(VALU_DEP_3)
	v_mul_f64 v[3:4], v[3:4], s[20:21]
.LBB37_9:
	s_or_b32 exec_lo, exec_lo, s18
	s_mul_i32 s18, s22, 3
	s_delay_alu instid0(SALU_CYCLE_1)
	s_lshl_b64 s[18:19], s[18:19], 8
	s_waitcnt lgkmcnt(0)
	s_sub_u32 s8, s8, s16
	s_subb_u32 s9, s9, 0
	s_add_u32 s15, s8, s18
	s_addc_u32 s18, s9, s19
	s_sub_u32 s8, s10, s16
	s_subb_u32 s9, s11, 0
	s_add_u32 s10, s15, 0x300
	s_addc_u32 s11, s18, 0
	v_add_co_u32 v5, s15, s15, v0
	v_cmp_lt_i64_e64 s19, s[10:11], s[8:9]
	v_add_co_ci_u32_e64 v6, null, s18, 0, s15
	s_delay_alu instid0(VALU_DEP_2)
	s_and_b32 s15, s19, exec_lo
	s_cselect_b32 s9, s11, s9
	s_cselect_b32 s8, s10, s8
	s_mov_b32 s15, exec_lo
	v_cmpx_gt_i64_e64 s[8:9], v[5:6]
	s_cbranch_execz .LBB37_13
; %bb.10:
	s_clause 0x1
	s_load_b128 s[24:27], s[0:1], 0x40
	s_load_b64 s[10:11], s[0:1], 0x50
	v_lshlrev_b64 v[7:8], 3, v[5:6]
	v_lshlrev_b64 v[9:10], 2, v[5:6]
	s_mov_b32 s1, 0
	s_waitcnt lgkmcnt(0)
	s_delay_alu instid0(VALU_DEP_2) | instskip(NEXT) | instid1(VALU_DEP_3)
	v_add_co_u32 v7, vcc_lo, s26, v7
	v_add_co_ci_u32_e32 v8, vcc_lo, s27, v8, vcc_lo
	s_delay_alu instid0(VALU_DEP_3)
	v_add_co_u32 v9, vcc_lo, s24, v9
	v_add_co_ci_u32_e32 v10, vcc_lo, s25, v10, vcc_lo
	s_set_inst_prefetch_distance 0x1
	.p2align	6
.LBB37_11:                              ; =>This Inner Loop Header: Depth=1
	global_load_b32 v13, v[9:10], off
	global_load_b64 v[11:12], v[7:8], off
	v_add_co_u32 v9, s0, 0x400, v9
	s_delay_alu instid0(VALU_DEP_1) | instskip(SKIP_4) | instid1(VALU_DEP_2)
	v_add_co_ci_u32_e64 v10, s0, 0, v10, s0
	s_waitcnt vmcnt(1)
	v_subrev_nc_u32_e32 v13, s16, v13
	s_waitcnt vmcnt(0)
	v_mul_f64 v[11:12], v[1:2], v[11:12]
	v_ashrrev_i32_e32 v14, 31, v13
	s_delay_alu instid0(VALU_DEP_1) | instskip(NEXT) | instid1(VALU_DEP_1)
	v_lshlrev_b64 v[13:14], 3, v[13:14]
	v_add_co_u32 v13, vcc_lo, s10, v13
	s_delay_alu instid0(VALU_DEP_2)
	v_add_co_ci_u32_e32 v14, vcc_lo, s11, v14, vcc_lo
	v_add_co_u32 v5, vcc_lo, 0x100, v5
	v_add_co_ci_u32_e32 v6, vcc_lo, 0, v6, vcc_lo
	global_load_b64 v[13:14], v[13:14], off
	v_add_co_u32 v7, vcc_lo, 0x800, v7
	v_add_co_ci_u32_e32 v8, vcc_lo, 0, v8, vcc_lo
	v_cmp_le_i64_e32 vcc_lo, s[8:9], v[5:6]
	s_or_b32 s1, vcc_lo, s1
	s_waitcnt vmcnt(0)
	v_fma_f64 v[3:4], v[11:12], v[13:14], v[3:4]
	s_and_not1_b32 exec_lo, exec_lo, s1
	s_cbranch_execnz .LBB37_11
; %bb.12:
	s_set_inst_prefetch_distance 0x2
	s_or_b32 exec_lo, exec_lo, s1
.LBB37_13:
	s_delay_alu instid0(SALU_CYCLE_1)
	s_or_b32 exec_lo, exec_lo, s15
	v_lshlrev_b32_e32 v1, 3, v0
	s_mov_b32 s0, exec_lo
	ds_store_b64 v1, v[3:4]
	s_waitcnt lgkmcnt(0)
	s_waitcnt_vscnt null, 0x0
	s_barrier
	buffer_gl0_inv
	v_cmpx_gt_u32_e32 0x80, v0
	s_cbranch_execz .LBB37_15
; %bb.14:
	ds_load_2addr_stride64_b64 v[2:5], v1 offset1:2
	s_waitcnt lgkmcnt(0)
	v_add_f64 v[2:3], v[2:3], v[4:5]
	ds_store_b64 v1, v[2:3]
.LBB37_15:
	s_or_b32 exec_lo, exec_lo, s0
	s_delay_alu instid0(SALU_CYCLE_1)
	s_mov_b32 s0, exec_lo
	s_waitcnt lgkmcnt(0)
	s_barrier
	buffer_gl0_inv
	v_cmpx_gt_u32_e32 64, v0
	s_cbranch_execz .LBB37_17
; %bb.16:
	ds_load_2addr_stride64_b64 v[2:5], v1 offset1:1
	s_waitcnt lgkmcnt(0)
	v_add_f64 v[2:3], v[2:3], v[4:5]
	ds_store_b64 v1, v[2:3]
.LBB37_17:
	s_or_b32 exec_lo, exec_lo, s0
	s_delay_alu instid0(SALU_CYCLE_1)
	s_mov_b32 s0, exec_lo
	s_waitcnt lgkmcnt(0)
	s_barrier
	buffer_gl0_inv
	v_cmpx_gt_u32_e32 32, v0
	s_cbranch_execz .LBB37_19
; %bb.18:
	ds_load_2addr_b64 v[2:5], v1 offset1:32
	s_waitcnt lgkmcnt(0)
	v_add_f64 v[2:3], v[2:3], v[4:5]
	ds_store_b64 v1, v[2:3]
.LBB37_19:
	s_or_b32 exec_lo, exec_lo, s0
	s_delay_alu instid0(SALU_CYCLE_1)
	s_mov_b32 s0, exec_lo
	s_waitcnt lgkmcnt(0)
	s_barrier
	buffer_gl0_inv
	v_cmpx_gt_u32_e32 16, v0
	s_cbranch_execz .LBB37_21
; %bb.20:
	ds_load_2addr_b64 v[2:5], v1 offset1:16
	s_waitcnt lgkmcnt(0)
	v_add_f64 v[2:3], v[2:3], v[4:5]
	ds_store_b64 v1, v[2:3]
.LBB37_21:
	;; [unrolled: 14-line block ×5, first 2 shown]
	s_or_b32 exec_lo, exec_lo, s0
	v_cmp_eq_u32_e32 vcc_lo, 0, v0
	s_waitcnt lgkmcnt(0)
	s_barrier
	buffer_gl0_inv
	s_and_saveexec_b32 s0, vcc_lo
	s_cbranch_execz .LBB37_29
; %bb.28:
	v_mov_b32_e32 v4, 0
	ds_load_b128 v[0:3], v4
	s_waitcnt lgkmcnt(0)
	v_add_f64 v[0:1], v[0:1], v[2:3]
	ds_store_b64 v4, v[0:1]
.LBB37_29:
	s_or_b32 exec_lo, exec_lo, s0
	s_waitcnt lgkmcnt(0)
	s_barrier
	buffer_gl0_inv
	s_and_b32 exec_lo, exec_lo, vcc_lo
	s_cbranch_execz .LBB37_39
; %bb.30:
	s_cmp_eq_u32 s22, 0
	s_cbranch_scc1 .LBB37_36
; %bb.31:
	s_ashr_i32 s15, s14, 31
	v_mov_b32_e32 v0, 0
	s_lshl_b64 s[0:1], s[14:15], 2
	s_delay_alu instid0(SALU_CYCLE_1)
	s_add_u32 s0, s4, s0
	s_addc_u32 s1, s5, s1
	s_branch .LBB37_33
.LBB37_32:                              ;   in Loop: Header=BB37_33 Depth=1
	s_or_b32 exec_lo, exec_lo, s4
	s_waitcnt vmcnt(0)
	v_readfirstlane_b32 s4, v1
	s_delay_alu instid0(VALU_DEP_1)
	s_cmp_eq_u32 s4, s17
	s_cbranch_scc0 .LBB37_35
.LBB37_33:                              ; =>This Inner Loop Header: Depth=1
	v_mbcnt_lo_u32_b32 v1, exec_lo, 0
	s_delay_alu instid0(VALU_DEP_1)
	v_cmp_eq_u32_e32 vcc_lo, 0, v1
                                        ; implicit-def: $vgpr1
	s_and_saveexec_b32 s4, vcc_lo
	s_cbranch_execz .LBB37_32
; %bb.34:                               ;   in Loop: Header=BB37_33 Depth=1
	global_load_b32 v1, v0, s[0:1] glc
	s_branch .LBB37_32
.LBB37_35:
	v_mov_b32_e32 v0, 0
	global_load_b32 v1, v0, s[12:13]
	s_waitcnt vmcnt(0)
	v_xor_b32_e32 v1, 1, v1
	global_store_b32 v0, v1, s[12:13]
.LBB37_36:
	s_mov_b32 s4, exec_lo
	s_delay_alu instid0(SALU_CYCLE_1) | instskip(NEXT) | instid1(VALU_DEP_1)
	v_mbcnt_lo_u32_b32 v0, s4, 0
	v_cmp_eq_u32_e32 vcc_lo, 0, v0
	s_and_b32 s0, exec_lo, vcc_lo
	s_delay_alu instid0(SALU_CYCLE_1)
	s_mov_b32 exec_lo, s0
	s_cbranch_execz .LBB37_39
; %bb.37:
	v_mov_b32_e32 v6, 0
	s_add_u32 s0, s6, s2
	s_addc_u32 s1, s7, s3
	s_bcnt1_i32_b32 s2, s4
	s_delay_alu instid0(SALU_CYCLE_1)
	v_cvt_f64_u32_e32 v[0:1], s2
	global_load_b64 v[2:3], v6, s[0:1]
	ds_load_b64 v[4:5], v6
	s_mov_b32 s2, 0
	s_waitcnt lgkmcnt(0)
	v_mul_f64 v[4:5], v[4:5], v[0:1]
.LBB37_38:                              ; =>This Inner Loop Header: Depth=1
	s_waitcnt vmcnt(0)
	s_delay_alu instid0(VALU_DEP_1)
	v_add_f64 v[0:1], v[2:3], v[4:5]
	global_atomic_cmpswap_b64 v[0:1], v6, v[0:3], s[0:1] glc
	s_waitcnt vmcnt(0)
	v_cmp_eq_u64_e32 vcc_lo, v[0:1], v[2:3]
	v_dual_mov_b32 v3, v1 :: v_dual_mov_b32 v2, v0
	s_or_b32 s2, vcc_lo, s2
	s_delay_alu instid0(SALU_CYCLE_1)
	s_and_not1_b32 exec_lo, exec_lo, s2
	s_cbranch_execnz .LBB37_38
.LBB37_39:
	s_nop 0
	s_sendmsg sendmsg(MSG_DEALLOC_VGPRS)
	s_endpgm
	.section	.rodata,"a",@progbits
	.p2align	6, 0x0
	.amdhsa_kernel _ZN9rocsparseL27csrmvn_lrb_long_rows_kernelIliddddEEvbT_PjPT0_S4_jNS_24const_host_device_scalarIT4_EEPKS1_PKS3_PKT1_PKT2_S7_PT3_21rocsparse_index_base_b
		.amdhsa_group_segment_fixed_size 2048
		.amdhsa_private_segment_fixed_size 0
		.amdhsa_kernarg_size 112
		.amdhsa_user_sgpr_count 15
		.amdhsa_user_sgpr_dispatch_ptr 0
		.amdhsa_user_sgpr_queue_ptr 0
		.amdhsa_user_sgpr_kernarg_segment_ptr 1
		.amdhsa_user_sgpr_dispatch_id 0
		.amdhsa_user_sgpr_private_segment_size 0
		.amdhsa_wavefront_size32 1
		.amdhsa_uses_dynamic_stack 0
		.amdhsa_enable_private_segment 0
		.amdhsa_system_sgpr_workgroup_id_x 1
		.amdhsa_system_sgpr_workgroup_id_y 0
		.amdhsa_system_sgpr_workgroup_id_z 0
		.amdhsa_system_sgpr_workgroup_info 0
		.amdhsa_system_vgpr_workitem_id 0
		.amdhsa_next_free_vgpr 15
		.amdhsa_next_free_sgpr 28
		.amdhsa_reserve_vcc 1
		.amdhsa_float_round_mode_32 0
		.amdhsa_float_round_mode_16_64 0
		.amdhsa_float_denorm_mode_32 3
		.amdhsa_float_denorm_mode_16_64 3
		.amdhsa_dx10_clamp 1
		.amdhsa_ieee_mode 1
		.amdhsa_fp16_overflow 0
		.amdhsa_workgroup_processor_mode 1
		.amdhsa_memory_ordered 1
		.amdhsa_forward_progress 0
		.amdhsa_shared_vgpr_count 0
		.amdhsa_exception_fp_ieee_invalid_op 0
		.amdhsa_exception_fp_denorm_src 0
		.amdhsa_exception_fp_ieee_div_zero 0
		.amdhsa_exception_fp_ieee_overflow 0
		.amdhsa_exception_fp_ieee_underflow 0
		.amdhsa_exception_fp_ieee_inexact 0
		.amdhsa_exception_int_div_zero 0
	.end_amdhsa_kernel
	.section	.text._ZN9rocsparseL27csrmvn_lrb_long_rows_kernelIliddddEEvbT_PjPT0_S4_jNS_24const_host_device_scalarIT4_EEPKS1_PKS3_PKT1_PKT2_S7_PT3_21rocsparse_index_base_b,"axG",@progbits,_ZN9rocsparseL27csrmvn_lrb_long_rows_kernelIliddddEEvbT_PjPT0_S4_jNS_24const_host_device_scalarIT4_EEPKS1_PKS3_PKT1_PKT2_S7_PT3_21rocsparse_index_base_b,comdat
.Lfunc_end37:
	.size	_ZN9rocsparseL27csrmvn_lrb_long_rows_kernelIliddddEEvbT_PjPT0_S4_jNS_24const_host_device_scalarIT4_EEPKS1_PKS3_PKT1_PKT2_S7_PT3_21rocsparse_index_base_b, .Lfunc_end37-_ZN9rocsparseL27csrmvn_lrb_long_rows_kernelIliddddEEvbT_PjPT0_S4_jNS_24const_host_device_scalarIT4_EEPKS1_PKS3_PKT1_PKT2_S7_PT3_21rocsparse_index_base_b
                                        ; -- End function
	.section	.AMDGPU.csdata,"",@progbits
; Kernel info:
; codeLenInByte = 1808
; NumSgprs: 30
; NumVgprs: 15
; ScratchSize: 0
; MemoryBound: 0
; FloatMode: 240
; IeeeMode: 1
; LDSByteSize: 2048 bytes/workgroup (compile time only)
; SGPRBlocks: 3
; VGPRBlocks: 1
; NumSGPRsForWavesPerEU: 30
; NumVGPRsForWavesPerEU: 15
; Occupancy: 16
; WaveLimiterHint : 1
; COMPUTE_PGM_RSRC2:SCRATCH_EN: 0
; COMPUTE_PGM_RSRC2:USER_SGPR: 15
; COMPUTE_PGM_RSRC2:TRAP_HANDLER: 0
; COMPUTE_PGM_RSRC2:TGID_X_EN: 1
; COMPUTE_PGM_RSRC2:TGID_Y_EN: 0
; COMPUTE_PGM_RSRC2:TGID_Z_EN: 0
; COMPUTE_PGM_RSRC2:TIDIG_COMP_CNT: 0
	.section	.text._ZN9rocsparseL28csrmvn_lrb_short_rows_kernelIllddddEEvbT_PT0_S3_jNS_24const_host_device_scalarIT4_EEPKS1_PKS2_PKT1_PKT2_S6_PT3_21rocsparse_index_base_b,"axG",@progbits,_ZN9rocsparseL28csrmvn_lrb_short_rows_kernelIllddddEEvbT_PT0_S3_jNS_24const_host_device_scalarIT4_EEPKS1_PKS2_PKT1_PKT2_S6_PT3_21rocsparse_index_base_b,comdat
	.globl	_ZN9rocsparseL28csrmvn_lrb_short_rows_kernelIllddddEEvbT_PT0_S3_jNS_24const_host_device_scalarIT4_EEPKS1_PKS2_PKT1_PKT2_S6_PT3_21rocsparse_index_base_b ; -- Begin function _ZN9rocsparseL28csrmvn_lrb_short_rows_kernelIllddddEEvbT_PT0_S3_jNS_24const_host_device_scalarIT4_EEPKS1_PKS2_PKT1_PKT2_S6_PT3_21rocsparse_index_base_b
	.p2align	8
	.type	_ZN9rocsparseL28csrmvn_lrb_short_rows_kernelIllddddEEvbT_PT0_S3_jNS_24const_host_device_scalarIT4_EEPKS1_PKS2_PKT1_PKT2_S6_PT3_21rocsparse_index_base_b,@function
_ZN9rocsparseL28csrmvn_lrb_short_rows_kernelIllddddEEvbT_PT0_S3_jNS_24const_host_device_scalarIT4_EEPKS1_PKS2_PKT1_PKT2_S6_PT3_21rocsparse_index_base_b: ; @_ZN9rocsparseL28csrmvn_lrb_short_rows_kernelIllddddEEvbT_PT0_S3_jNS_24const_host_device_scalarIT4_EEPKS1_PKS2_PKT1_PKT2_S6_PT3_21rocsparse_index_base_b
; %bb.0:
	s_clause 0x2
	s_load_b64 s[12:13], s[0:1], 0x60
	s_load_b64 s[4:5], s[0:1], 0x28
	s_load_b64 s[2:3], s[0:1], 0x50
	s_waitcnt lgkmcnt(0)
	s_bitcmp1_b32 s13, 0
	v_dual_mov_b32 v8, s5 :: v_dual_mov_b32 v7, s4
	s_cselect_b32 s6, -1, 0
	s_delay_alu instid0(SALU_CYCLE_1)
	s_and_b32 vcc_lo, exec_lo, s6
	s_xor_b32 s6, s6, -1
	s_cbranch_vccnz .LBB38_2
; %bb.1:
	v_dual_mov_b32 v1, s4 :: v_dual_mov_b32 v2, s5
	flat_load_b64 v[7:8], v[1:2]
.LBB38_2:
	v_dual_mov_b32 v6, s3 :: v_dual_mov_b32 v5, s2
	s_and_not1_b32 vcc_lo, exec_lo, s6
	s_cbranch_vccnz .LBB38_4
; %bb.3:
	v_dual_mov_b32 v1, s2 :: v_dual_mov_b32 v2, s3
	flat_load_b64 v[5:6], v[1:2]
.LBB38_4:
	s_waitcnt vmcnt(0) lgkmcnt(0)
	v_cmp_neq_f64_e32 vcc_lo, 0, v[7:8]
	v_cmp_neq_f64_e64 s2, 1.0, v[5:6]
	s_delay_alu instid0(VALU_DEP_1) | instskip(NEXT) | instid1(SALU_CYCLE_1)
	s_or_b32 s2, vcc_lo, s2
	s_and_saveexec_b32 s3, s2
	s_cbranch_execz .LBB38_18
; %bb.5:
	s_clause 0x1
	s_load_b32 s2, s[0:1], 0x20
	s_load_b128 s[16:19], s[0:1], 0x10
	s_mov_b32 s3, 0
	s_delay_alu instid0(SALU_CYCLE_1) | instskip(SKIP_2) | instid1(SALU_CYCLE_1)
	s_mov_b32 s7, s3
	s_waitcnt lgkmcnt(0)
	s_lshl_b64 s[4:5], s[2:3], 3
	s_add_u32 s4, s18, s4
	s_addc_u32 s5, s19, s5
	s_add_i32 s6, s2, 1
	s_delay_alu instid0(SALU_CYCLE_1) | instskip(NEXT) | instid1(SALU_CYCLE_1)
	s_lshl_b64 s[6:7], s[6:7], 3
	s_add_u32 s6, s18, s6
	s_addc_u32 s7, s19, s7
	s_clause 0x1
	s_load_b64 s[18:19], s[4:5], 0x0
	s_load_b32 s4, s[6:7], 0x0
	s_lshl_b32 s14, s15, 8
	s_delay_alu instid0(SALU_CYCLE_1) | instskip(SKIP_2) | instid1(SALU_CYCLE_1)
	s_add_i32 s5, s14, 0x100
	s_waitcnt lgkmcnt(0)
	s_sub_i32 s4, s4, s18
	s_min_u32 s13, s4, s5
	s_cmp_gt_u32 s2, 23
	s_cbranch_scc1 .LBB38_12
; %bb.6:
	s_load_b256 s[4:11], s[0:1], 0x30
	v_mov_b32_e32 v10, 0
	s_lshl_b64 s[20:21], s[18:19], 3
	v_bfe_u32 v11, v0, 0, s2
	v_lshl_add_u32 v13, v0, 3, 0
	s_lshl_b32 s15, 0x100, s2
	v_mov_b32_e32 v12, v10
	s_add_u32 s20, s16, s20
	s_addc_u32 s21, s17, s21
	s_branch .LBB38_9
.LBB38_7:                               ;   in Loop: Header=BB38_9 Depth=1
	s_or_b32 exec_lo, exec_lo, s23
	ds_store_b64 v13, v[3:4]
.LBB38_8:                               ;   in Loop: Header=BB38_9 Depth=1
	s_or_b32 exec_lo, exec_lo, s22
	v_add_nc_u32_e32 v13, 0x800, v13
	s_addk_i32 s3, 0x100
	s_delay_alu instid0(SALU_CYCLE_1)
	s_cmp_ge_u32 s3, s15
	s_cbranch_scc1 .LBB38_12
.LBB38_9:                               ; =>This Inner Loop Header: Depth=1
	v_add_nc_u32_e32 v1, s3, v0
	s_mov_b32 s22, exec_lo
	s_delay_alu instid0(VALU_DEP_1) | instskip(NEXT) | instid1(VALU_DEP_1)
	v_lshrrev_b32_e32 v1, s2, v1
	v_add_nc_u32_e32 v9, s14, v1
	s_delay_alu instid0(VALU_DEP_1)
	v_cmpx_gt_u32_e64 s13, v9
	s_cbranch_execz .LBB38_8
; %bb.10:                               ;   in Loop: Header=BB38_9 Depth=1
	v_lshlrev_b64 v[1:2], 3, v[9:10]
	s_delay_alu instid0(VALU_DEP_1) | instskip(NEXT) | instid1(VALU_DEP_2)
	v_add_co_u32 v1, vcc_lo, s20, v1
	v_add_co_ci_u32_e32 v2, vcc_lo, s21, v2, vcc_lo
	global_load_b64 v[1:2], v[1:2], off
	s_waitcnt vmcnt(0)
	v_lshlrev_b64 v[1:2], 3, v[1:2]
	s_waitcnt lgkmcnt(0)
	s_delay_alu instid0(VALU_DEP_1) | instskip(NEXT) | instid1(VALU_DEP_2)
	v_add_co_u32 v1, vcc_lo, s4, v1
	v_add_co_ci_u32_e32 v2, vcc_lo, s5, v2, vcc_lo
	global_load_b128 v[1:4], v[1:2], off
	s_waitcnt vmcnt(0)
	v_sub_co_u32 v3, vcc_lo, v3, v1
	v_sub_co_ci_u32_e32 v4, vcc_lo, v4, v2, vcc_lo
	s_delay_alu instid0(VALU_DEP_1)
	v_cmp_gt_i64_e32 vcc_lo, v[3:4], v[11:12]
	v_mov_b32_e32 v3, 0
	v_mov_b32_e32 v4, 0
	s_and_saveexec_b32 s23, vcc_lo
	s_cbranch_execz .LBB38_7
; %bb.11:                               ;   in Loop: Header=BB38_9 Depth=1
	v_sub_co_u32 v1, vcc_lo, v1, s12
	v_subrev_co_ci_u32_e32 v2, vcc_lo, 0, v2, vcc_lo
	s_delay_alu instid0(VALU_DEP_2) | instskip(NEXT) | instid1(VALU_DEP_2)
	v_add_co_u32 v1, vcc_lo, v1, v11
	v_add_co_ci_u32_e32 v2, vcc_lo, 0, v2, vcc_lo
	s_delay_alu instid0(VALU_DEP_1) | instskip(NEXT) | instid1(VALU_DEP_1)
	v_lshlrev_b64 v[1:2], 3, v[1:2]
	v_add_co_u32 v3, vcc_lo, s6, v1
	s_delay_alu instid0(VALU_DEP_2)
	v_add_co_ci_u32_e32 v4, vcc_lo, s7, v2, vcc_lo
	v_add_co_u32 v1, vcc_lo, s8, v1
	v_add_co_ci_u32_e32 v2, vcc_lo, s9, v2, vcc_lo
	global_load_b64 v[3:4], v[3:4], off
	global_load_b64 v[1:2], v[1:2], off
	s_waitcnt vmcnt(1)
	v_sub_co_u32 v3, vcc_lo, v3, s12
	v_subrev_co_ci_u32_e32 v4, vcc_lo, 0, v4, vcc_lo
	s_waitcnt vmcnt(0)
	v_mul_f64 v[1:2], v[7:8], v[1:2]
	s_delay_alu instid0(VALU_DEP_2) | instskip(NEXT) | instid1(VALU_DEP_1)
	v_lshlrev_b64 v[3:4], 3, v[3:4]
	v_add_co_u32 v3, vcc_lo, s10, v3
	s_delay_alu instid0(VALU_DEP_2)
	v_add_co_ci_u32_e32 v4, vcc_lo, s11, v4, vcc_lo
	global_load_b64 v[3:4], v[3:4], off
	s_waitcnt vmcnt(0)
	v_mul_f64 v[3:4], v[1:2], v[3:4]
	s_branch .LBB38_7
.LBB38_12:
	s_sub_i32 s3, s13, s14
	s_waitcnt lgkmcnt(0)
	v_cmp_gt_u32_e32 vcc_lo, s3, v0
	s_barrier
	buffer_gl0_inv
	s_and_b32 exec_lo, exec_lo, vcc_lo
	s_cbranch_execz .LBB38_18
; %bb.13:
	s_lshl_b64 s[4:5], s[18:19], 3
	s_mov_b32 s15, 0
	s_add_u32 s3, s16, s4
	s_addc_u32 s6, s17, s5
	s_lshl_b64 s[4:5], s[14:15], 3
	v_lshlrev_b32_e32 v1, 3, v0
	s_add_u32 s4, s3, s4
	s_addc_u32 s5, s6, s5
	s_load_b64 s[0:1], s[0:1], 0x58
	v_lshlrev_b32_e32 v4, s2, v0
	global_load_b64 v[2:3], v1, s[4:5]
	v_mov_b32_e32 v0, 0
	v_mov_b32_e32 v1, 0
	s_mov_b32 s3, 1
	v_lshl_add_u32 v4, v4, 3, 0
.LBB38_14:                              ; =>This Inner Loop Header: Depth=1
	ds_load_b64 v[7:8], v4
	v_add_nc_u32_e32 v4, 8, v4
	s_lshr_b32 s4, s3, s2
	s_add_i32 s3, s3, 1
	s_cmp_lg_u32 s4, 0
	s_waitcnt lgkmcnt(0)
	v_add_f64 v[0:1], v[0:1], v[7:8]
	s_cbranch_scc0 .LBB38_14
; %bb.15:
	s_waitcnt vmcnt(0)
	v_lshlrev_b64 v[2:3], 3, v[2:3]
	s_mov_b32 s2, exec_lo
	v_cmpx_neq_f64_e32 0, v[5:6]
	s_cbranch_execz .LBB38_17
; %bb.16:
	s_delay_alu instid0(VALU_DEP_2) | instskip(NEXT) | instid1(VALU_DEP_3)
	v_add_co_u32 v7, vcc_lo, s0, v2
	v_add_co_ci_u32_e32 v8, vcc_lo, s1, v3, vcc_lo
	global_load_b64 v[7:8], v[7:8], off
	s_waitcnt vmcnt(0)
	v_fma_f64 v[0:1], v[5:6], v[7:8], v[0:1]
.LBB38_17:
	s_or_b32 exec_lo, exec_lo, s2
	s_delay_alu instid0(VALU_DEP_2)
	v_add_co_u32 v2, vcc_lo, s0, v2
	v_add_co_ci_u32_e32 v3, vcc_lo, s1, v3, vcc_lo
	global_store_b64 v[2:3], v[0:1], off
.LBB38_18:
	s_nop 0
	s_sendmsg sendmsg(MSG_DEALLOC_VGPRS)
	s_endpgm
	.section	.rodata,"a",@progbits
	.p2align	6, 0x0
	.amdhsa_kernel _ZN9rocsparseL28csrmvn_lrb_short_rows_kernelIllddddEEvbT_PT0_S3_jNS_24const_host_device_scalarIT4_EEPKS1_PKS2_PKT1_PKT2_S6_PT3_21rocsparse_index_base_b
		.amdhsa_group_segment_fixed_size 0
		.amdhsa_private_segment_fixed_size 0
		.amdhsa_kernarg_size 104
		.amdhsa_user_sgpr_count 15
		.amdhsa_user_sgpr_dispatch_ptr 0
		.amdhsa_user_sgpr_queue_ptr 0
		.amdhsa_user_sgpr_kernarg_segment_ptr 1
		.amdhsa_user_sgpr_dispatch_id 0
		.amdhsa_user_sgpr_private_segment_size 0
		.amdhsa_wavefront_size32 1
		.amdhsa_uses_dynamic_stack 0
		.amdhsa_enable_private_segment 0
		.amdhsa_system_sgpr_workgroup_id_x 1
		.amdhsa_system_sgpr_workgroup_id_y 0
		.amdhsa_system_sgpr_workgroup_id_z 0
		.amdhsa_system_sgpr_workgroup_info 0
		.amdhsa_system_vgpr_workitem_id 0
		.amdhsa_next_free_vgpr 14
		.amdhsa_next_free_sgpr 24
		.amdhsa_reserve_vcc 1
		.amdhsa_float_round_mode_32 0
		.amdhsa_float_round_mode_16_64 0
		.amdhsa_float_denorm_mode_32 3
		.amdhsa_float_denorm_mode_16_64 3
		.amdhsa_dx10_clamp 1
		.amdhsa_ieee_mode 1
		.amdhsa_fp16_overflow 0
		.amdhsa_workgroup_processor_mode 1
		.amdhsa_memory_ordered 1
		.amdhsa_forward_progress 0
		.amdhsa_shared_vgpr_count 0
		.amdhsa_exception_fp_ieee_invalid_op 0
		.amdhsa_exception_fp_denorm_src 0
		.amdhsa_exception_fp_ieee_div_zero 0
		.amdhsa_exception_fp_ieee_overflow 0
		.amdhsa_exception_fp_ieee_underflow 0
		.amdhsa_exception_fp_ieee_inexact 0
		.amdhsa_exception_int_div_zero 0
	.end_amdhsa_kernel
	.section	.text._ZN9rocsparseL28csrmvn_lrb_short_rows_kernelIllddddEEvbT_PT0_S3_jNS_24const_host_device_scalarIT4_EEPKS1_PKS2_PKT1_PKT2_S6_PT3_21rocsparse_index_base_b,"axG",@progbits,_ZN9rocsparseL28csrmvn_lrb_short_rows_kernelIllddddEEvbT_PT0_S3_jNS_24const_host_device_scalarIT4_EEPKS1_PKS2_PKT1_PKT2_S6_PT3_21rocsparse_index_base_b,comdat
.Lfunc_end38:
	.size	_ZN9rocsparseL28csrmvn_lrb_short_rows_kernelIllddddEEvbT_PT0_S3_jNS_24const_host_device_scalarIT4_EEPKS1_PKS2_PKT1_PKT2_S6_PT3_21rocsparse_index_base_b, .Lfunc_end38-_ZN9rocsparseL28csrmvn_lrb_short_rows_kernelIllddddEEvbT_PT0_S3_jNS_24const_host_device_scalarIT4_EEPKS1_PKS2_PKT1_PKT2_S6_PT3_21rocsparse_index_base_b
                                        ; -- End function
	.section	.AMDGPU.csdata,"",@progbits
; Kernel info:
; codeLenInByte = 920
; NumSgprs: 26
; NumVgprs: 14
; ScratchSize: 0
; MemoryBound: 0
; FloatMode: 240
; IeeeMode: 1
; LDSByteSize: 0 bytes/workgroup (compile time only)
; SGPRBlocks: 3
; VGPRBlocks: 1
; NumSGPRsForWavesPerEU: 26
; NumVGPRsForWavesPerEU: 14
; Occupancy: 16
; WaveLimiterHint : 1
; COMPUTE_PGM_RSRC2:SCRATCH_EN: 0
; COMPUTE_PGM_RSRC2:USER_SGPR: 15
; COMPUTE_PGM_RSRC2:TRAP_HANDLER: 0
; COMPUTE_PGM_RSRC2:TGID_X_EN: 1
; COMPUTE_PGM_RSRC2:TGID_Y_EN: 0
; COMPUTE_PGM_RSRC2:TGID_Z_EN: 0
; COMPUTE_PGM_RSRC2:TIDIG_COMP_CNT: 0
	.section	.text._ZN9rocsparseL30csrmvn_lrb_short_rows_2_kernelIllddddEEvbT_PT0_S3_jNS_24const_host_device_scalarIT4_EEPKS1_PKS2_PKT1_PKT2_S6_PT3_21rocsparse_index_base_b,"axG",@progbits,_ZN9rocsparseL30csrmvn_lrb_short_rows_2_kernelIllddddEEvbT_PT0_S3_jNS_24const_host_device_scalarIT4_EEPKS1_PKS2_PKT1_PKT2_S6_PT3_21rocsparse_index_base_b,comdat
	.globl	_ZN9rocsparseL30csrmvn_lrb_short_rows_2_kernelIllddddEEvbT_PT0_S3_jNS_24const_host_device_scalarIT4_EEPKS1_PKS2_PKT1_PKT2_S6_PT3_21rocsparse_index_base_b ; -- Begin function _ZN9rocsparseL30csrmvn_lrb_short_rows_2_kernelIllddddEEvbT_PT0_S3_jNS_24const_host_device_scalarIT4_EEPKS1_PKS2_PKT1_PKT2_S6_PT3_21rocsparse_index_base_b
	.p2align	8
	.type	_ZN9rocsparseL30csrmvn_lrb_short_rows_2_kernelIllddddEEvbT_PT0_S3_jNS_24const_host_device_scalarIT4_EEPKS1_PKS2_PKT1_PKT2_S6_PT3_21rocsparse_index_base_b,@function
_ZN9rocsparseL30csrmvn_lrb_short_rows_2_kernelIllddddEEvbT_PT0_S3_jNS_24const_host_device_scalarIT4_EEPKS1_PKS2_PKT1_PKT2_S6_PT3_21rocsparse_index_base_b: ; @_ZN9rocsparseL30csrmvn_lrb_short_rows_2_kernelIllddddEEvbT_PT0_S3_jNS_24const_host_device_scalarIT4_EEPKS1_PKS2_PKT1_PKT2_S6_PT3_21rocsparse_index_base_b
; %bb.0:
	s_clause 0x2
	s_load_b64 s[16:17], s[0:1], 0x60
	s_load_b64 s[4:5], s[0:1], 0x28
	;; [unrolled: 1-line block ×3, first 2 shown]
	s_waitcnt lgkmcnt(0)
	s_bitcmp1_b32 s17, 0
	v_dual_mov_b32 v8, s5 :: v_dual_mov_b32 v7, s4
	s_cselect_b32 s6, -1, 0
	s_delay_alu instid0(SALU_CYCLE_1)
	s_and_b32 vcc_lo, exec_lo, s6
	s_xor_b32 s6, s6, -1
	s_cbranch_vccnz .LBB39_2
; %bb.1:
	v_dual_mov_b32 v1, s4 :: v_dual_mov_b32 v2, s5
	flat_load_b64 v[7:8], v[1:2]
.LBB39_2:
	v_dual_mov_b32 v6, s3 :: v_dual_mov_b32 v5, s2
	s_and_not1_b32 vcc_lo, exec_lo, s6
	s_cbranch_vccnz .LBB39_4
; %bb.3:
	v_dual_mov_b32 v1, s2 :: v_dual_mov_b32 v2, s3
	flat_load_b64 v[5:6], v[1:2]
.LBB39_4:
	s_waitcnt vmcnt(0) lgkmcnt(0)
	v_cmp_neq_f64_e32 vcc_lo, 0, v[7:8]
	v_cmp_neq_f64_e64 s2, 1.0, v[5:6]
	s_delay_alu instid0(VALU_DEP_1) | instskip(NEXT) | instid1(SALU_CYCLE_1)
	s_or_b32 s2, vcc_lo, s2
	s_and_saveexec_b32 s3, s2
	s_cbranch_execz .LBB39_30
; %bb.5:
	s_clause 0x1
	s_load_b32 s8, s[0:1], 0x20
	s_load_b128 s[20:23], s[0:1], 0x10
	s_mov_b32 s9, 0
	v_mov_b32_e32 v10, 0
	s_mov_b32 s5, s9
	s_waitcnt lgkmcnt(0)
	s_lshl_b64 s[2:3], s[8:9], 3
	v_lshrrev_b32_e32 v1, s8, v0
	s_add_u32 s2, s22, s2
	s_addc_u32 s3, s23, s3
	s_add_i32 s4, s8, 1
	v_bfe_u32 v9, v0, 0, s8
	s_lshl_b64 s[4:5], s[4:5], 3
	s_delay_alu instid0(SALU_CYCLE_1)
	s_add_u32 s4, s22, s4
	s_addc_u32 s5, s23, s5
	s_clause 0x1
	s_load_b64 s[18:19], s[2:3], 0x0
	s_load_b32 s13, s[4:5], 0x0
	s_clause 0x1
	s_load_b64 s[10:11], s[0:1], 0x58
	s_load_b256 s[0:7], s[0:1], 0x30
	s_lshr_b32 s9, 0x400, s8
	s_delay_alu instid0(SALU_CYCLE_1) | instskip(NEXT) | instid1(SALU_CYCLE_1)
	s_mul_i32 s12, s9, s15
	s_add_i32 s14, s12, s9
	v_add_nc_u32_e32 v1, s12, v1
	s_waitcnt lgkmcnt(0)
	s_sub_i32 s13, s13, s18
	s_lshl_b64 s[18:19], s[18:19], 3
	s_min_u32 s14, s13, s14
	s_add_u32 s15, s20, s18
	s_addc_u32 s17, s21, s19
	s_mov_b32 s13, exec_lo
	v_cmpx_gt_u32_e64 s14, v1
	s_cbranch_execz .LBB39_9
; %bb.6:
	v_mov_b32_e32 v2, v10
	s_delay_alu instid0(VALU_DEP_1) | instskip(NEXT) | instid1(VALU_DEP_1)
	v_lshlrev_b64 v[1:2], 3, v[1:2]
	v_add_co_u32 v1, vcc_lo, s15, v1
	s_delay_alu instid0(VALU_DEP_2) | instskip(SKIP_3) | instid1(VALU_DEP_1)
	v_add_co_ci_u32_e32 v2, vcc_lo, s17, v2, vcc_lo
	global_load_b64 v[1:2], v[1:2], off
	s_waitcnt vmcnt(0)
	v_lshlrev_b64 v[1:2], 3, v[1:2]
	v_add_co_u32 v1, vcc_lo, s0, v1
	s_delay_alu instid0(VALU_DEP_2) | instskip(SKIP_4) | instid1(VALU_DEP_1)
	v_add_co_ci_u32_e32 v2, vcc_lo, s1, v2, vcc_lo
	global_load_b128 v[1:4], v[1:2], off
	s_waitcnt vmcnt(0)
	v_sub_co_u32 v3, vcc_lo, v3, v1
	v_sub_co_ci_u32_e32 v4, vcc_lo, v4, v2, vcc_lo
	v_cmp_gt_i64_e32 vcc_lo, v[3:4], v[9:10]
	v_mov_b32_e32 v3, 0
	v_mov_b32_e32 v4, 0
	s_and_saveexec_b32 s18, vcc_lo
	s_cbranch_execz .LBB39_8
; %bb.7:
	v_sub_co_u32 v1, vcc_lo, v1, s16
	v_subrev_co_ci_u32_e32 v2, vcc_lo, 0, v2, vcc_lo
	s_delay_alu instid0(VALU_DEP_2) | instskip(NEXT) | instid1(VALU_DEP_2)
	v_add_co_u32 v1, vcc_lo, v1, v9
	v_add_co_ci_u32_e32 v2, vcc_lo, 0, v2, vcc_lo
	s_delay_alu instid0(VALU_DEP_1) | instskip(NEXT) | instid1(VALU_DEP_1)
	v_lshlrev_b64 v[1:2], 3, v[1:2]
	v_add_co_u32 v3, vcc_lo, s2, v1
	s_delay_alu instid0(VALU_DEP_2)
	v_add_co_ci_u32_e32 v4, vcc_lo, s3, v2, vcc_lo
	v_add_co_u32 v1, vcc_lo, s4, v1
	v_add_co_ci_u32_e32 v2, vcc_lo, s5, v2, vcc_lo
	global_load_b64 v[3:4], v[3:4], off
	global_load_b64 v[1:2], v[1:2], off
	s_waitcnt vmcnt(1)
	v_sub_co_u32 v3, vcc_lo, v3, s16
	v_subrev_co_ci_u32_e32 v4, vcc_lo, 0, v4, vcc_lo
	s_waitcnt vmcnt(0)
	v_mul_f64 v[1:2], v[7:8], v[1:2]
	s_delay_alu instid0(VALU_DEP_2) | instskip(NEXT) | instid1(VALU_DEP_1)
	v_lshlrev_b64 v[3:4], 3, v[3:4]
	v_add_co_u32 v3, vcc_lo, s6, v3
	s_delay_alu instid0(VALU_DEP_2)
	v_add_co_ci_u32_e32 v4, vcc_lo, s7, v4, vcc_lo
	global_load_b64 v[3:4], v[3:4], off
	s_waitcnt vmcnt(0)
	v_mul_f64 v[3:4], v[1:2], v[3:4]
.LBB39_8:
	s_or_b32 exec_lo, exec_lo, s18
	v_lshlrev_b32_e32 v1, 3, v0
	ds_store_b64 v1, v[3:4]
.LBB39_9:
	s_or_b32 exec_lo, exec_lo, s13
	v_or_b32_e32 v1, 0x100, v0
	s_mov_b32 s13, exec_lo
	s_delay_alu instid0(VALU_DEP_1) | instskip(NEXT) | instid1(VALU_DEP_1)
	v_lshrrev_b32_e32 v1, s8, v1
	v_add_nc_u32_e32 v1, s12, v1
	s_delay_alu instid0(VALU_DEP_1)
	v_cmpx_gt_u32_e64 s14, v1
	s_cbranch_execz .LBB39_13
; %bb.10:
	v_mov_b32_e32 v2, 0
	s_delay_alu instid0(VALU_DEP_1) | instskip(NEXT) | instid1(VALU_DEP_1)
	v_lshlrev_b64 v[1:2], 3, v[1:2]
	v_add_co_u32 v1, vcc_lo, s15, v1
	s_delay_alu instid0(VALU_DEP_2) | instskip(SKIP_3) | instid1(VALU_DEP_1)
	v_add_co_ci_u32_e32 v2, vcc_lo, s17, v2, vcc_lo
	global_load_b64 v[1:2], v[1:2], off
	s_waitcnt vmcnt(0)
	v_lshlrev_b64 v[1:2], 3, v[1:2]
	v_add_co_u32 v1, vcc_lo, s0, v1
	s_delay_alu instid0(VALU_DEP_2) | instskip(SKIP_4) | instid1(VALU_DEP_1)
	v_add_co_ci_u32_e32 v2, vcc_lo, s1, v2, vcc_lo
	global_load_b128 v[1:4], v[1:2], off
	s_waitcnt vmcnt(0)
	v_sub_co_u32 v3, vcc_lo, v3, v1
	v_sub_co_ci_u32_e32 v4, vcc_lo, v4, v2, vcc_lo
	v_cmp_gt_i64_e32 vcc_lo, v[3:4], v[9:10]
	v_mov_b32_e32 v3, 0
	v_mov_b32_e32 v4, 0
	s_and_saveexec_b32 s18, vcc_lo
	s_cbranch_execz .LBB39_12
; %bb.11:
	v_sub_co_u32 v1, vcc_lo, v1, s16
	v_subrev_co_ci_u32_e32 v2, vcc_lo, 0, v2, vcc_lo
	s_delay_alu instid0(VALU_DEP_2) | instskip(NEXT) | instid1(VALU_DEP_2)
	v_add_co_u32 v1, vcc_lo, v1, v9
	v_add_co_ci_u32_e32 v2, vcc_lo, 0, v2, vcc_lo
	s_delay_alu instid0(VALU_DEP_1) | instskip(NEXT) | instid1(VALU_DEP_1)
	v_lshlrev_b64 v[1:2], 3, v[1:2]
	v_add_co_u32 v3, vcc_lo, s2, v1
	s_delay_alu instid0(VALU_DEP_2)
	v_add_co_ci_u32_e32 v4, vcc_lo, s3, v2, vcc_lo
	v_add_co_u32 v1, vcc_lo, s4, v1
	v_add_co_ci_u32_e32 v2, vcc_lo, s5, v2, vcc_lo
	global_load_b64 v[3:4], v[3:4], off
	global_load_b64 v[1:2], v[1:2], off
	s_waitcnt vmcnt(1)
	v_sub_co_u32 v3, vcc_lo, v3, s16
	v_subrev_co_ci_u32_e32 v4, vcc_lo, 0, v4, vcc_lo
	s_waitcnt vmcnt(0)
	v_mul_f64 v[1:2], v[7:8], v[1:2]
	s_delay_alu instid0(VALU_DEP_2) | instskip(NEXT) | instid1(VALU_DEP_1)
	v_lshlrev_b64 v[3:4], 3, v[3:4]
	v_add_co_u32 v3, vcc_lo, s6, v3
	s_delay_alu instid0(VALU_DEP_2)
	v_add_co_ci_u32_e32 v4, vcc_lo, s7, v4, vcc_lo
	global_load_b64 v[3:4], v[3:4], off
	s_waitcnt vmcnt(0)
	v_mul_f64 v[3:4], v[1:2], v[3:4]
.LBB39_12:
	s_or_b32 exec_lo, exec_lo, s18
	v_lshlrev_b32_e32 v1, 3, v0
	ds_store_b64 v1, v[3:4] offset:2048
.LBB39_13:
	s_or_b32 exec_lo, exec_lo, s13
	v_or_b32_e32 v1, 0x200, v0
	s_mov_b32 s13, exec_lo
	s_delay_alu instid0(VALU_DEP_1) | instskip(NEXT) | instid1(VALU_DEP_1)
	v_lshrrev_b32_e32 v1, s8, v1
	v_add_nc_u32_e32 v1, s12, v1
	s_delay_alu instid0(VALU_DEP_1)
	v_cmpx_gt_u32_e64 s14, v1
	s_cbranch_execz .LBB39_17
; %bb.14:
	v_mov_b32_e32 v2, 0
	s_delay_alu instid0(VALU_DEP_1) | instskip(NEXT) | instid1(VALU_DEP_1)
	v_lshlrev_b64 v[1:2], 3, v[1:2]
	v_add_co_u32 v1, vcc_lo, s15, v1
	s_delay_alu instid0(VALU_DEP_2) | instskip(SKIP_3) | instid1(VALU_DEP_1)
	v_add_co_ci_u32_e32 v2, vcc_lo, s17, v2, vcc_lo
	global_load_b64 v[1:2], v[1:2], off
	s_waitcnt vmcnt(0)
	v_lshlrev_b64 v[1:2], 3, v[1:2]
	v_add_co_u32 v1, vcc_lo, s0, v1
	s_delay_alu instid0(VALU_DEP_2) | instskip(SKIP_4) | instid1(VALU_DEP_1)
	v_add_co_ci_u32_e32 v2, vcc_lo, s1, v2, vcc_lo
	global_load_b128 v[1:4], v[1:2], off
	s_waitcnt vmcnt(0)
	v_sub_co_u32 v3, vcc_lo, v3, v1
	v_sub_co_ci_u32_e32 v4, vcc_lo, v4, v2, vcc_lo
	v_cmp_gt_i64_e32 vcc_lo, v[3:4], v[9:10]
	v_mov_b32_e32 v3, 0
	v_mov_b32_e32 v4, 0
	s_and_saveexec_b32 s18, vcc_lo
	s_cbranch_execz .LBB39_16
; %bb.15:
	v_sub_co_u32 v1, vcc_lo, v1, s16
	v_subrev_co_ci_u32_e32 v2, vcc_lo, 0, v2, vcc_lo
	s_delay_alu instid0(VALU_DEP_2) | instskip(NEXT) | instid1(VALU_DEP_2)
	v_add_co_u32 v1, vcc_lo, v1, v9
	v_add_co_ci_u32_e32 v2, vcc_lo, 0, v2, vcc_lo
	s_delay_alu instid0(VALU_DEP_1) | instskip(NEXT) | instid1(VALU_DEP_1)
	v_lshlrev_b64 v[1:2], 3, v[1:2]
	v_add_co_u32 v3, vcc_lo, s2, v1
	s_delay_alu instid0(VALU_DEP_2)
	v_add_co_ci_u32_e32 v4, vcc_lo, s3, v2, vcc_lo
	v_add_co_u32 v1, vcc_lo, s4, v1
	v_add_co_ci_u32_e32 v2, vcc_lo, s5, v2, vcc_lo
	global_load_b64 v[3:4], v[3:4], off
	global_load_b64 v[1:2], v[1:2], off
	s_waitcnt vmcnt(1)
	v_sub_co_u32 v3, vcc_lo, v3, s16
	v_subrev_co_ci_u32_e32 v4, vcc_lo, 0, v4, vcc_lo
	s_waitcnt vmcnt(0)
	v_mul_f64 v[1:2], v[7:8], v[1:2]
	s_delay_alu instid0(VALU_DEP_2) | instskip(NEXT) | instid1(VALU_DEP_1)
	v_lshlrev_b64 v[3:4], 3, v[3:4]
	v_add_co_u32 v3, vcc_lo, s6, v3
	s_delay_alu instid0(VALU_DEP_2)
	v_add_co_ci_u32_e32 v4, vcc_lo, s7, v4, vcc_lo
	global_load_b64 v[3:4], v[3:4], off
	s_waitcnt vmcnt(0)
	v_mul_f64 v[3:4], v[1:2], v[3:4]
.LBB39_16:
	s_or_b32 exec_lo, exec_lo, s18
	v_lshlrev_b32_e32 v1, 3, v0
	ds_store_b64 v1, v[3:4] offset:4096
.LBB39_17:
	s_or_b32 exec_lo, exec_lo, s13
	v_or_b32_e32 v1, 0x300, v0
	s_mov_b32 s13, exec_lo
	s_delay_alu instid0(VALU_DEP_1) | instskip(NEXT) | instid1(VALU_DEP_1)
	v_lshrrev_b32_e32 v1, s8, v1
	v_add_nc_u32_e32 v1, s12, v1
	s_delay_alu instid0(VALU_DEP_1)
	v_cmpx_gt_u32_e64 s14, v1
	s_cbranch_execz .LBB39_21
; %bb.18:
	v_mov_b32_e32 v2, 0
	s_delay_alu instid0(VALU_DEP_1) | instskip(NEXT) | instid1(VALU_DEP_1)
	v_lshlrev_b64 v[1:2], 3, v[1:2]
	v_add_co_u32 v1, vcc_lo, s15, v1
	s_delay_alu instid0(VALU_DEP_2) | instskip(SKIP_3) | instid1(VALU_DEP_1)
	v_add_co_ci_u32_e32 v2, vcc_lo, s17, v2, vcc_lo
	global_load_b64 v[1:2], v[1:2], off
	s_waitcnt vmcnt(0)
	v_lshlrev_b64 v[1:2], 3, v[1:2]
	v_add_co_u32 v1, vcc_lo, s0, v1
	s_delay_alu instid0(VALU_DEP_2) | instskip(SKIP_4) | instid1(VALU_DEP_1)
	v_add_co_ci_u32_e32 v2, vcc_lo, s1, v2, vcc_lo
	global_load_b128 v[1:4], v[1:2], off
	s_waitcnt vmcnt(0)
	v_sub_co_u32 v3, vcc_lo, v3, v1
	v_sub_co_ci_u32_e32 v4, vcc_lo, v4, v2, vcc_lo
	v_cmp_gt_i64_e32 vcc_lo, v[3:4], v[9:10]
	v_mov_b32_e32 v3, 0
	v_mov_b32_e32 v4, 0
	s_and_saveexec_b32 s0, vcc_lo
	s_cbranch_execz .LBB39_20
; %bb.19:
	v_sub_co_u32 v1, vcc_lo, v1, s16
	v_subrev_co_ci_u32_e32 v2, vcc_lo, 0, v2, vcc_lo
	s_delay_alu instid0(VALU_DEP_2) | instskip(NEXT) | instid1(VALU_DEP_2)
	v_add_co_u32 v1, vcc_lo, v1, v9
	v_add_co_ci_u32_e32 v2, vcc_lo, 0, v2, vcc_lo
	s_delay_alu instid0(VALU_DEP_1) | instskip(NEXT) | instid1(VALU_DEP_1)
	v_lshlrev_b64 v[1:2], 3, v[1:2]
	v_add_co_u32 v3, vcc_lo, s2, v1
	s_delay_alu instid0(VALU_DEP_2)
	v_add_co_ci_u32_e32 v4, vcc_lo, s3, v2, vcc_lo
	v_add_co_u32 v1, vcc_lo, s4, v1
	v_add_co_ci_u32_e32 v2, vcc_lo, s5, v2, vcc_lo
	global_load_b64 v[3:4], v[3:4], off
	global_load_b64 v[1:2], v[1:2], off
	s_waitcnt vmcnt(1)
	v_sub_co_u32 v3, vcc_lo, v3, s16
	v_subrev_co_ci_u32_e32 v4, vcc_lo, 0, v4, vcc_lo
	s_waitcnt vmcnt(0)
	v_mul_f64 v[1:2], v[7:8], v[1:2]
	s_delay_alu instid0(VALU_DEP_2) | instskip(NEXT) | instid1(VALU_DEP_1)
	v_lshlrev_b64 v[3:4], 3, v[3:4]
	v_add_co_u32 v3, vcc_lo, s6, v3
	s_delay_alu instid0(VALU_DEP_2)
	v_add_co_ci_u32_e32 v4, vcc_lo, s7, v4, vcc_lo
	global_load_b64 v[3:4], v[3:4], off
	s_waitcnt vmcnt(0)
	v_mul_f64 v[3:4], v[1:2], v[3:4]
.LBB39_20:
	s_or_b32 exec_lo, exec_lo, s0
	v_lshlrev_b32_e32 v1, 3, v0
	ds_store_b64 v1, v[3:4] offset:6144
.LBB39_21:
	s_or_b32 exec_lo, exec_lo, s13
	s_cmp_lt_u32 s8, 11
	s_waitcnt lgkmcnt(0)
	s_barrier
	buffer_gl0_inv
	s_cbranch_scc0 .LBB39_30
; %bb.22:
	v_cmp_neq_f64_e32 vcc_lo, 0, v[5:6]
	s_mov_b32 s13, 0
	v_mov_b32_e32 v2, 0
	s_lshl_b64 s[2:3], s[12:13], 3
	s_sub_i32 s1, s14, s12
	s_add_u32 s2, s15, s2
	s_addc_u32 s3, s17, s3
	s_branch .LBB39_25
.LBB39_23:                              ;   in Loop: Header=BB39_25 Depth=1
	s_or_b32 exec_lo, exec_lo, s5
	s_delay_alu instid0(VALU_DEP_1) | instskip(NEXT) | instid1(VALU_DEP_1)
	v_add_co_u32 v7, s0, s10, v7
	v_add_co_ci_u32_e64 v8, s0, s11, v8, s0
	global_store_b64 v[7:8], v[3:4], off
.LBB39_24:                              ;   in Loop: Header=BB39_25 Depth=1
	s_or_b32 exec_lo, exec_lo, s4
	s_addk_i32 s13, 0x100
	s_delay_alu instid0(SALU_CYCLE_1)
	s_cmp_lt_u32 s13, s9
	s_cbranch_scc0 .LBB39_30
.LBB39_25:                              ; =>This Loop Header: Depth=1
                                        ;     Child Loop BB39_27 Depth 2
	v_add_nc_u32_e32 v1, s13, v0
	s_mov_b32 s4, exec_lo
	s_delay_alu instid0(VALU_DEP_1)
	v_cmpx_gt_u32_e64 s1, v1
	s_cbranch_execz .LBB39_24
; %bb.26:                               ;   in Loop: Header=BB39_25 Depth=1
	v_lshlrev_b64 v[3:4], 3, v[1:2]
	v_lshlrev_b32_e32 v1, s8, v1
	s_delay_alu instid0(VALU_DEP_2) | instskip(NEXT) | instid1(VALU_DEP_1)
	v_add_co_u32 v3, s0, s2, v3
	v_add_co_ci_u32_e64 v4, s0, s3, v4, s0
	s_mov_b32 s0, 1
	global_load_b64 v[7:8], v[3:4], off
	v_mov_b32_e32 v3, 0
	v_dual_mov_b32 v4, 0 :: v_dual_lshlrev_b32 v1, 3, v1
.LBB39_27:                              ;   Parent Loop BB39_25 Depth=1
                                        ; =>  This Inner Loop Header: Depth=2
	ds_load_b64 v[9:10], v1
	v_add_nc_u32_e32 v1, 8, v1
	s_lshr_b32 s5, s0, s8
	s_add_i32 s0, s0, 1
	s_cmp_lg_u32 s5, 0
	s_waitcnt lgkmcnt(0)
	v_add_f64 v[3:4], v[3:4], v[9:10]
	s_cbranch_scc0 .LBB39_27
; %bb.28:                               ;   in Loop: Header=BB39_25 Depth=1
	s_waitcnt vmcnt(0)
	v_lshlrev_b64 v[7:8], 3, v[7:8]
	s_and_saveexec_b32 s5, vcc_lo
	s_cbranch_execz .LBB39_23
; %bb.29:                               ;   in Loop: Header=BB39_25 Depth=1
	s_delay_alu instid0(VALU_DEP_1) | instskip(NEXT) | instid1(VALU_DEP_1)
	v_add_co_u32 v9, s0, s10, v7
	v_add_co_ci_u32_e64 v10, s0, s11, v8, s0
	global_load_b64 v[9:10], v[9:10], off
	s_waitcnt vmcnt(0)
	v_fma_f64 v[3:4], v[5:6], v[9:10], v[3:4]
	s_branch .LBB39_23
.LBB39_30:
	s_nop 0
	s_sendmsg sendmsg(MSG_DEALLOC_VGPRS)
	s_endpgm
	.section	.rodata,"a",@progbits
	.p2align	6, 0x0
	.amdhsa_kernel _ZN9rocsparseL30csrmvn_lrb_short_rows_2_kernelIllddddEEvbT_PT0_S3_jNS_24const_host_device_scalarIT4_EEPKS1_PKS2_PKT1_PKT2_S6_PT3_21rocsparse_index_base_b
		.amdhsa_group_segment_fixed_size 8192
		.amdhsa_private_segment_fixed_size 0
		.amdhsa_kernarg_size 104
		.amdhsa_user_sgpr_count 15
		.amdhsa_user_sgpr_dispatch_ptr 0
		.amdhsa_user_sgpr_queue_ptr 0
		.amdhsa_user_sgpr_kernarg_segment_ptr 1
		.amdhsa_user_sgpr_dispatch_id 0
		.amdhsa_user_sgpr_private_segment_size 0
		.amdhsa_wavefront_size32 1
		.amdhsa_uses_dynamic_stack 0
		.amdhsa_enable_private_segment 0
		.amdhsa_system_sgpr_workgroup_id_x 1
		.amdhsa_system_sgpr_workgroup_id_y 0
		.amdhsa_system_sgpr_workgroup_id_z 0
		.amdhsa_system_sgpr_workgroup_info 0
		.amdhsa_system_vgpr_workitem_id 0
		.amdhsa_next_free_vgpr 11
		.amdhsa_next_free_sgpr 24
		.amdhsa_reserve_vcc 1
		.amdhsa_float_round_mode_32 0
		.amdhsa_float_round_mode_16_64 0
		.amdhsa_float_denorm_mode_32 3
		.amdhsa_float_denorm_mode_16_64 3
		.amdhsa_dx10_clamp 1
		.amdhsa_ieee_mode 1
		.amdhsa_fp16_overflow 0
		.amdhsa_workgroup_processor_mode 1
		.amdhsa_memory_ordered 1
		.amdhsa_forward_progress 0
		.amdhsa_shared_vgpr_count 0
		.amdhsa_exception_fp_ieee_invalid_op 0
		.amdhsa_exception_fp_denorm_src 0
		.amdhsa_exception_fp_ieee_div_zero 0
		.amdhsa_exception_fp_ieee_overflow 0
		.amdhsa_exception_fp_ieee_underflow 0
		.amdhsa_exception_fp_ieee_inexact 0
		.amdhsa_exception_int_div_zero 0
	.end_amdhsa_kernel
	.section	.text._ZN9rocsparseL30csrmvn_lrb_short_rows_2_kernelIllddddEEvbT_PT0_S3_jNS_24const_host_device_scalarIT4_EEPKS1_PKS2_PKT1_PKT2_S6_PT3_21rocsparse_index_base_b,"axG",@progbits,_ZN9rocsparseL30csrmvn_lrb_short_rows_2_kernelIllddddEEvbT_PT0_S3_jNS_24const_host_device_scalarIT4_EEPKS1_PKS2_PKT1_PKT2_S6_PT3_21rocsparse_index_base_b,comdat
.Lfunc_end39:
	.size	_ZN9rocsparseL30csrmvn_lrb_short_rows_2_kernelIllddddEEvbT_PT0_S3_jNS_24const_host_device_scalarIT4_EEPKS1_PKS2_PKT1_PKT2_S6_PT3_21rocsparse_index_base_b, .Lfunc_end39-_ZN9rocsparseL30csrmvn_lrb_short_rows_2_kernelIllddddEEvbT_PT0_S3_jNS_24const_host_device_scalarIT4_EEPKS1_PKS2_PKT1_PKT2_S6_PT3_21rocsparse_index_base_b
                                        ; -- End function
	.section	.AMDGPU.csdata,"",@progbits
; Kernel info:
; codeLenInByte = 1920
; NumSgprs: 26
; NumVgprs: 11
; ScratchSize: 0
; MemoryBound: 0
; FloatMode: 240
; IeeeMode: 1
; LDSByteSize: 8192 bytes/workgroup (compile time only)
; SGPRBlocks: 3
; VGPRBlocks: 1
; NumSGPRsForWavesPerEU: 26
; NumVGPRsForWavesPerEU: 11
; Occupancy: 16
; WaveLimiterHint : 1
; COMPUTE_PGM_RSRC2:SCRATCH_EN: 0
; COMPUTE_PGM_RSRC2:USER_SGPR: 15
; COMPUTE_PGM_RSRC2:TRAP_HANDLER: 0
; COMPUTE_PGM_RSRC2:TGID_X_EN: 1
; COMPUTE_PGM_RSRC2:TGID_Y_EN: 0
; COMPUTE_PGM_RSRC2:TGID_Z_EN: 0
; COMPUTE_PGM_RSRC2:TIDIG_COMP_CNT: 0
	.section	.text._ZN9rocsparseL41csrmvn_lrb_medium_rows_warp_reduce_kernelILj256ELj32EllddddEEvbT1_lPT2_S3_jNS_24const_host_device_scalarIT6_EEPKS1_PKS2_PKT3_PKT4_S6_PT5_21rocsparse_index_base_b,"axG",@progbits,_ZN9rocsparseL41csrmvn_lrb_medium_rows_warp_reduce_kernelILj256ELj32EllddddEEvbT1_lPT2_S3_jNS_24const_host_device_scalarIT6_EEPKS1_PKS2_PKT3_PKT4_S6_PT5_21rocsparse_index_base_b,comdat
	.globl	_ZN9rocsparseL41csrmvn_lrb_medium_rows_warp_reduce_kernelILj256ELj32EllddddEEvbT1_lPT2_S3_jNS_24const_host_device_scalarIT6_EEPKS1_PKS2_PKT3_PKT4_S6_PT5_21rocsparse_index_base_b ; -- Begin function _ZN9rocsparseL41csrmvn_lrb_medium_rows_warp_reduce_kernelILj256ELj32EllddddEEvbT1_lPT2_S3_jNS_24const_host_device_scalarIT6_EEPKS1_PKS2_PKT3_PKT4_S6_PT5_21rocsparse_index_base_b
	.p2align	8
	.type	_ZN9rocsparseL41csrmvn_lrb_medium_rows_warp_reduce_kernelILj256ELj32EllddddEEvbT1_lPT2_S3_jNS_24const_host_device_scalarIT6_EEPKS1_PKS2_PKT3_PKT4_S6_PT5_21rocsparse_index_base_b,@function
_ZN9rocsparseL41csrmvn_lrb_medium_rows_warp_reduce_kernelILj256ELj32EllddddEEvbT1_lPT2_S3_jNS_24const_host_device_scalarIT6_EEPKS1_PKS2_PKT3_PKT4_S6_PT5_21rocsparse_index_base_b: ; @_ZN9rocsparseL41csrmvn_lrb_medium_rows_warp_reduce_kernelILj256ELj32EllddddEEvbT1_lPT2_S3_jNS_24const_host_device_scalarIT6_EEPKS1_PKS2_PKT3_PKT4_S6_PT5_21rocsparse_index_base_b
; %bb.0:
	s_clause 0x2
	s_load_b64 s[4:5], s[0:1], 0x68
	s_load_b64 s[6:7], s[0:1], 0x30
	;; [unrolled: 1-line block ×3, first 2 shown]
	s_waitcnt lgkmcnt(0)
	s_bitcmp1_b32 s5, 0
	v_dual_mov_b32 v5, s6 :: v_dual_mov_b32 v6, s7
	s_cselect_b32 s5, -1, 0
	s_delay_alu instid0(SALU_CYCLE_1)
	s_and_b32 vcc_lo, exec_lo, s5
	s_xor_b32 s5, s5, -1
	s_cbranch_vccnz .LBB40_2
; %bb.1:
	v_dual_mov_b32 v1, s6 :: v_dual_mov_b32 v2, s7
	flat_load_b64 v[5:6], v[1:2]
.LBB40_2:
	v_dual_mov_b32 v1, s2 :: v_dual_mov_b32 v2, s3
	s_and_not1_b32 vcc_lo, exec_lo, s5
	s_cbranch_vccnz .LBB40_4
; %bb.3:
	v_dual_mov_b32 v1, s2 :: v_dual_mov_b32 v2, s3
	flat_load_b64 v[1:2], v[1:2]
.LBB40_4:
	s_waitcnt vmcnt(0) lgkmcnt(0)
	v_cmp_neq_f64_e32 vcc_lo, 0, v[5:6]
	v_cmp_neq_f64_e64 s2, 1.0, v[1:2]
	s_delay_alu instid0(VALU_DEP_1) | instskip(NEXT) | instid1(SALU_CYCLE_1)
	s_or_b32 s2, vcc_lo, s2
	s_and_saveexec_b32 s3, s2
	s_cbranch_execz .LBB40_14
; %bb.5:
	s_load_b64 s[2:3], s[0:1], 0x10
	v_lshrrev_b32_e32 v3, 5, v0
	s_delay_alu instid0(VALU_DEP_1) | instskip(NEXT) | instid1(VALU_DEP_1)
	v_lshl_or_b32 v3, s15, 3, v3
	v_ashrrev_i32_e32 v4, 31, v3
	s_waitcnt lgkmcnt(0)
	s_delay_alu instid0(VALU_DEP_1)
	v_cmp_gt_i64_e32 vcc_lo, s[2:3], v[3:4]
	s_and_b32 exec_lo, exec_lo, vcc_lo
	s_cbranch_execz .LBB40_14
; %bb.6:
	s_clause 0x1
	s_load_b32 s6, s[0:1], 0x28
	s_load_b128 s[8:11], s[0:1], 0x18
	s_mov_b32 s7, 0
	v_lshlrev_b64 v[3:4], 3, v[3:4]
	v_and_b32_e32 v0, 31, v0
	s_waitcnt lgkmcnt(0)
	s_lshl_b64 s[2:3], s[6:7], 3
	s_delay_alu instid0(SALU_CYCLE_1) | instskip(SKIP_4) | instid1(SALU_CYCLE_1)
	s_add_u32 s2, s10, s2
	s_addc_u32 s3, s11, s3
	s_load_b64 s[2:3], s[2:3], 0x0
	s_waitcnt lgkmcnt(0)
	s_lshl_b64 s[2:3], s[2:3], 3
	s_add_u32 s2, s8, s2
	s_addc_u32 s3, s9, s3
	v_add_co_u32 v3, vcc_lo, s2, v3
	v_add_co_ci_u32_e32 v4, vcc_lo, s3, v4, vcc_lo
	s_load_b64 s[2:3], s[0:1], 0x38
	global_load_b64 v[3:4], v[3:4], off
	s_waitcnt vmcnt(0)
	v_lshlrev_b64 v[3:4], 3, v[3:4]
	s_waitcnt lgkmcnt(0)
	s_delay_alu instid0(VALU_DEP_1) | instskip(NEXT) | instid1(VALU_DEP_2)
	v_add_co_u32 v7, vcc_lo, s2, v3
	v_add_co_ci_u32_e32 v8, vcc_lo, s3, v4, vcc_lo
	s_load_b64 s[2:3], s[0:1], 0x60
	global_load_b128 v[9:12], v[7:8], off
	s_waitcnt vmcnt(0)
	v_sub_co_u32 v7, vcc_lo, v11, s4
	v_subrev_co_ci_u32_e32 v8, vcc_lo, 0, v12, vcc_lo
	v_mov_b32_e32 v11, 0
	v_sub_co_u32 v13, s5, v0, s4
	s_delay_alu instid0(VALU_DEP_1) | instskip(SKIP_1) | instid1(VALU_DEP_3)
	v_sub_co_ci_u32_e64 v14, null, 0, 0, s5
	v_mov_b32_e32 v12, 0
	v_add_co_u32 v9, vcc_lo, v9, v13
	s_delay_alu instid0(VALU_DEP_3) | instskip(SKIP_1) | instid1(VALU_DEP_1)
	v_add_co_ci_u32_e32 v10, vcc_lo, v10, v14, vcc_lo
	s_mov_b32 s5, exec_lo
	v_cmpx_lt_i64_e64 v[9:10], v[7:8]
	s_cbranch_execz .LBB40_10
; %bb.7:
	s_clause 0x1
	s_load_b128 s[12:15], s[0:1], 0x40
	s_load_b64 s[8:9], s[0:1], 0x50
	v_lshlrev_b64 v[15:16], 3, v[9:10]
	v_mov_b32_e32 v11, 0
	v_mov_b32_e32 v12, 0
	s_waitcnt lgkmcnt(0)
	s_delay_alu instid0(VALU_DEP_3) | instskip(NEXT) | instid1(VALU_DEP_4)
	v_add_co_u32 v13, vcc_lo, s14, v15
	v_add_co_ci_u32_e32 v14, vcc_lo, s15, v16, vcc_lo
	v_add_co_u32 v15, vcc_lo, s12, v15
	v_add_co_ci_u32_e32 v16, vcc_lo, s13, v16, vcc_lo
	s_set_inst_prefetch_distance 0x1
	.p2align	6
.LBB40_8:                               ; =>This Inner Loop Header: Depth=1
	global_load_b64 v[17:18], v[15:16], off
	global_load_b64 v[19:20], v[13:14], off
	v_add_co_u32 v15, s0, 0x100, v15
	s_delay_alu instid0(VALU_DEP_1)
	v_add_co_ci_u32_e64 v16, s0, 0, v16, s0
	s_waitcnt vmcnt(1)
	v_sub_co_u32 v17, vcc_lo, v17, s4
	v_subrev_co_ci_u32_e32 v18, vcc_lo, 0, v18, vcc_lo
	s_waitcnt vmcnt(0)
	v_mul_f64 v[19:20], v[5:6], v[19:20]
	s_delay_alu instid0(VALU_DEP_2) | instskip(NEXT) | instid1(VALU_DEP_1)
	v_lshlrev_b64 v[17:18], 3, v[17:18]
	v_add_co_u32 v17, vcc_lo, s8, v17
	s_delay_alu instid0(VALU_DEP_2)
	v_add_co_ci_u32_e32 v18, vcc_lo, s9, v18, vcc_lo
	v_add_co_u32 v9, vcc_lo, v9, 32
	v_add_co_ci_u32_e32 v10, vcc_lo, 0, v10, vcc_lo
	global_load_b64 v[17:18], v[17:18], off
	v_add_co_u32 v13, vcc_lo, 0x100, v13
	v_add_co_ci_u32_e32 v14, vcc_lo, 0, v14, vcc_lo
	v_cmp_ge_i64_e32 vcc_lo, v[9:10], v[7:8]
	s_or_b32 s7, vcc_lo, s7
	s_waitcnt vmcnt(0)
	v_fma_f64 v[11:12], v[19:20], v[17:18], v[11:12]
	s_and_not1_b32 exec_lo, exec_lo, s7
	s_cbranch_execnz .LBB40_8
; %bb.9:
	s_set_inst_prefetch_distance 0x2
	s_or_b32 exec_lo, exec_lo, s7
.LBB40_10:
	s_delay_alu instid0(SALU_CYCLE_1) | instskip(SKIP_1) | instid1(VALU_DEP_1)
	s_or_b32 exec_lo, exec_lo, s5
	v_mbcnt_lo_u32_b32 v9, -1, 0
	v_xor_b32_e32 v5, 16, v9
	v_xor_b32_e32 v7, 8, v9
	s_delay_alu instid0(VALU_DEP_2) | instskip(SKIP_1) | instid1(VALU_DEP_3)
	v_cmp_gt_i32_e32 vcc_lo, 32, v5
	v_cndmask_b32_e32 v5, v9, v5, vcc_lo
	v_cmp_gt_i32_e32 vcc_lo, 32, v7
	v_cndmask_b32_e32 v7, v9, v7, vcc_lo
	s_delay_alu instid0(VALU_DEP_1) | instskip(NEXT) | instid1(VALU_DEP_4)
	v_lshlrev_b32_e32 v8, 2, v7
	v_lshlrev_b32_e32 v6, 2, v5
	ds_bpermute_b32 v5, v6, v11
	ds_bpermute_b32 v6, v6, v12
	s_waitcnt lgkmcnt(0)
	v_add_f64 v[5:6], v[11:12], v[5:6]
	ds_bpermute_b32 v7, v8, v5
	ds_bpermute_b32 v8, v8, v6
	s_waitcnt lgkmcnt(0)
	v_add_f64 v[5:6], v[5:6], v[7:8]
	v_xor_b32_e32 v7, 4, v9
	s_delay_alu instid0(VALU_DEP_1) | instskip(SKIP_1) | instid1(VALU_DEP_1)
	v_cmp_gt_i32_e32 vcc_lo, 32, v7
	v_cndmask_b32_e32 v7, v9, v7, vcc_lo
	v_lshlrev_b32_e32 v8, 2, v7
	ds_bpermute_b32 v7, v8, v5
	ds_bpermute_b32 v8, v8, v6
	s_waitcnt lgkmcnt(0)
	v_add_f64 v[5:6], v[5:6], v[7:8]
	v_xor_b32_e32 v7, 2, v9
	s_delay_alu instid0(VALU_DEP_1) | instskip(SKIP_1) | instid1(VALU_DEP_1)
	v_cmp_gt_i32_e32 vcc_lo, 32, v7
	v_cndmask_b32_e32 v7, v9, v7, vcc_lo
	v_lshlrev_b32_e32 v8, 2, v7
	ds_bpermute_b32 v7, v8, v5
	ds_bpermute_b32 v8, v8, v6
	s_waitcnt lgkmcnt(0)
	v_add_f64 v[5:6], v[5:6], v[7:8]
	v_xor_b32_e32 v7, 1, v9
	s_delay_alu instid0(VALU_DEP_1) | instskip(SKIP_2) | instid1(VALU_DEP_2)
	v_cmp_gt_i32_e32 vcc_lo, 32, v7
	v_cndmask_b32_e32 v7, v9, v7, vcc_lo
	v_cmp_eq_u32_e32 vcc_lo, 31, v0
	v_lshlrev_b32_e32 v8, 2, v7
	ds_bpermute_b32 v7, v8, v5
	ds_bpermute_b32 v8, v8, v6
	s_and_b32 exec_lo, exec_lo, vcc_lo
	s_cbranch_execz .LBB40_14
; %bb.11:
	s_waitcnt lgkmcnt(0)
	v_add_f64 v[5:6], v[5:6], v[7:8]
	s_mov_b32 s0, exec_lo
	v_cmpx_neq_f64_e32 0, v[1:2]
	s_cbranch_execz .LBB40_13
; %bb.12:
	v_add_co_u32 v7, vcc_lo, s2, v3
	v_add_co_ci_u32_e32 v8, vcc_lo, s3, v4, vcc_lo
	global_load_b64 v[7:8], v[7:8], off
	s_waitcnt vmcnt(0)
	v_fma_f64 v[5:6], v[1:2], v[7:8], v[5:6]
.LBB40_13:
	s_or_b32 exec_lo, exec_lo, s0
	v_add_co_u32 v0, vcc_lo, s2, v3
	v_add_co_ci_u32_e32 v1, vcc_lo, s3, v4, vcc_lo
	global_store_b64 v[0:1], v[5:6], off
.LBB40_14:
	s_nop 0
	s_sendmsg sendmsg(MSG_DEALLOC_VGPRS)
	s_endpgm
	.section	.rodata,"a",@progbits
	.p2align	6, 0x0
	.amdhsa_kernel _ZN9rocsparseL41csrmvn_lrb_medium_rows_warp_reduce_kernelILj256ELj32EllddddEEvbT1_lPT2_S3_jNS_24const_host_device_scalarIT6_EEPKS1_PKS2_PKT3_PKT4_S6_PT5_21rocsparse_index_base_b
		.amdhsa_group_segment_fixed_size 0
		.amdhsa_private_segment_fixed_size 0
		.amdhsa_kernarg_size 112
		.amdhsa_user_sgpr_count 15
		.amdhsa_user_sgpr_dispatch_ptr 0
		.amdhsa_user_sgpr_queue_ptr 0
		.amdhsa_user_sgpr_kernarg_segment_ptr 1
		.amdhsa_user_sgpr_dispatch_id 0
		.amdhsa_user_sgpr_private_segment_size 0
		.amdhsa_wavefront_size32 1
		.amdhsa_uses_dynamic_stack 0
		.amdhsa_enable_private_segment 0
		.amdhsa_system_sgpr_workgroup_id_x 1
		.amdhsa_system_sgpr_workgroup_id_y 0
		.amdhsa_system_sgpr_workgroup_id_z 0
		.amdhsa_system_sgpr_workgroup_info 0
		.amdhsa_system_vgpr_workitem_id 0
		.amdhsa_next_free_vgpr 21
		.amdhsa_next_free_sgpr 16
		.amdhsa_reserve_vcc 1
		.amdhsa_float_round_mode_32 0
		.amdhsa_float_round_mode_16_64 0
		.amdhsa_float_denorm_mode_32 3
		.amdhsa_float_denorm_mode_16_64 3
		.amdhsa_dx10_clamp 1
		.amdhsa_ieee_mode 1
		.amdhsa_fp16_overflow 0
		.amdhsa_workgroup_processor_mode 1
		.amdhsa_memory_ordered 1
		.amdhsa_forward_progress 0
		.amdhsa_shared_vgpr_count 0
		.amdhsa_exception_fp_ieee_invalid_op 0
		.amdhsa_exception_fp_denorm_src 0
		.amdhsa_exception_fp_ieee_div_zero 0
		.amdhsa_exception_fp_ieee_overflow 0
		.amdhsa_exception_fp_ieee_underflow 0
		.amdhsa_exception_fp_ieee_inexact 0
		.amdhsa_exception_int_div_zero 0
	.end_amdhsa_kernel
	.section	.text._ZN9rocsparseL41csrmvn_lrb_medium_rows_warp_reduce_kernelILj256ELj32EllddddEEvbT1_lPT2_S3_jNS_24const_host_device_scalarIT6_EEPKS1_PKS2_PKT3_PKT4_S6_PT5_21rocsparse_index_base_b,"axG",@progbits,_ZN9rocsparseL41csrmvn_lrb_medium_rows_warp_reduce_kernelILj256ELj32EllddddEEvbT1_lPT2_S3_jNS_24const_host_device_scalarIT6_EEPKS1_PKS2_PKT3_PKT4_S6_PT5_21rocsparse_index_base_b,comdat
.Lfunc_end40:
	.size	_ZN9rocsparseL41csrmvn_lrb_medium_rows_warp_reduce_kernelILj256ELj32EllddddEEvbT1_lPT2_S3_jNS_24const_host_device_scalarIT6_EEPKS1_PKS2_PKT3_PKT4_S6_PT5_21rocsparse_index_base_b, .Lfunc_end40-_ZN9rocsparseL41csrmvn_lrb_medium_rows_warp_reduce_kernelILj256ELj32EllddddEEvbT1_lPT2_S3_jNS_24const_host_device_scalarIT6_EEPKS1_PKS2_PKT3_PKT4_S6_PT5_21rocsparse_index_base_b
                                        ; -- End function
	.section	.AMDGPU.csdata,"",@progbits
; Kernel info:
; codeLenInByte = 1012
; NumSgprs: 18
; NumVgprs: 21
; ScratchSize: 0
; MemoryBound: 0
; FloatMode: 240
; IeeeMode: 1
; LDSByteSize: 0 bytes/workgroup (compile time only)
; SGPRBlocks: 2
; VGPRBlocks: 2
; NumSGPRsForWavesPerEU: 18
; NumVGPRsForWavesPerEU: 21
; Occupancy: 16
; WaveLimiterHint : 1
; COMPUTE_PGM_RSRC2:SCRATCH_EN: 0
; COMPUTE_PGM_RSRC2:USER_SGPR: 15
; COMPUTE_PGM_RSRC2:TRAP_HANDLER: 0
; COMPUTE_PGM_RSRC2:TGID_X_EN: 1
; COMPUTE_PGM_RSRC2:TGID_Y_EN: 0
; COMPUTE_PGM_RSRC2:TGID_Z_EN: 0
; COMPUTE_PGM_RSRC2:TIDIG_COMP_CNT: 0
	.section	.text._ZN9rocsparseL41csrmvn_lrb_medium_rows_warp_reduce_kernelILj256ELj64EllddddEEvbT1_lPT2_S3_jNS_24const_host_device_scalarIT6_EEPKS1_PKS2_PKT3_PKT4_S6_PT5_21rocsparse_index_base_b,"axG",@progbits,_ZN9rocsparseL41csrmvn_lrb_medium_rows_warp_reduce_kernelILj256ELj64EllddddEEvbT1_lPT2_S3_jNS_24const_host_device_scalarIT6_EEPKS1_PKS2_PKT3_PKT4_S6_PT5_21rocsparse_index_base_b,comdat
	.globl	_ZN9rocsparseL41csrmvn_lrb_medium_rows_warp_reduce_kernelILj256ELj64EllddddEEvbT1_lPT2_S3_jNS_24const_host_device_scalarIT6_EEPKS1_PKS2_PKT3_PKT4_S6_PT5_21rocsparse_index_base_b ; -- Begin function _ZN9rocsparseL41csrmvn_lrb_medium_rows_warp_reduce_kernelILj256ELj64EllddddEEvbT1_lPT2_S3_jNS_24const_host_device_scalarIT6_EEPKS1_PKS2_PKT3_PKT4_S6_PT5_21rocsparse_index_base_b
	.p2align	8
	.type	_ZN9rocsparseL41csrmvn_lrb_medium_rows_warp_reduce_kernelILj256ELj64EllddddEEvbT1_lPT2_S3_jNS_24const_host_device_scalarIT6_EEPKS1_PKS2_PKT3_PKT4_S6_PT5_21rocsparse_index_base_b,@function
_ZN9rocsparseL41csrmvn_lrb_medium_rows_warp_reduce_kernelILj256ELj64EllddddEEvbT1_lPT2_S3_jNS_24const_host_device_scalarIT6_EEPKS1_PKS2_PKT3_PKT4_S6_PT5_21rocsparse_index_base_b: ; @_ZN9rocsparseL41csrmvn_lrb_medium_rows_warp_reduce_kernelILj256ELj64EllddddEEvbT1_lPT2_S3_jNS_24const_host_device_scalarIT6_EEPKS1_PKS2_PKT3_PKT4_S6_PT5_21rocsparse_index_base_b
; %bb.0:
	s_clause 0x2
	s_load_b64 s[4:5], s[0:1], 0x68
	s_load_b64 s[6:7], s[0:1], 0x30
	;; [unrolled: 1-line block ×3, first 2 shown]
	s_waitcnt lgkmcnt(0)
	s_bitcmp1_b32 s5, 0
	v_dual_mov_b32 v5, s6 :: v_dual_mov_b32 v6, s7
	s_cselect_b32 s5, -1, 0
	s_delay_alu instid0(SALU_CYCLE_1)
	s_and_b32 vcc_lo, exec_lo, s5
	s_xor_b32 s5, s5, -1
	s_cbranch_vccnz .LBB41_2
; %bb.1:
	v_dual_mov_b32 v1, s6 :: v_dual_mov_b32 v2, s7
	flat_load_b64 v[5:6], v[1:2]
.LBB41_2:
	v_dual_mov_b32 v1, s2 :: v_dual_mov_b32 v2, s3
	s_and_not1_b32 vcc_lo, exec_lo, s5
	s_cbranch_vccnz .LBB41_4
; %bb.3:
	v_dual_mov_b32 v1, s2 :: v_dual_mov_b32 v2, s3
	flat_load_b64 v[1:2], v[1:2]
.LBB41_4:
	s_waitcnt vmcnt(0) lgkmcnt(0)
	v_cmp_neq_f64_e32 vcc_lo, 0, v[5:6]
	v_cmp_neq_f64_e64 s2, 1.0, v[1:2]
	s_delay_alu instid0(VALU_DEP_1) | instskip(NEXT) | instid1(SALU_CYCLE_1)
	s_or_b32 s2, vcc_lo, s2
	s_and_saveexec_b32 s3, s2
	s_cbranch_execz .LBB41_14
; %bb.5:
	s_load_b64 s[2:3], s[0:1], 0x10
	v_lshrrev_b32_e32 v3, 6, v0
	s_delay_alu instid0(VALU_DEP_1) | instskip(NEXT) | instid1(VALU_DEP_1)
	v_lshl_or_b32 v3, s15, 2, v3
	v_ashrrev_i32_e32 v4, 31, v3
	s_waitcnt lgkmcnt(0)
	s_delay_alu instid0(VALU_DEP_1)
	v_cmp_gt_i64_e32 vcc_lo, s[2:3], v[3:4]
	s_and_b32 exec_lo, exec_lo, vcc_lo
	s_cbranch_execz .LBB41_14
; %bb.6:
	s_clause 0x1
	s_load_b32 s6, s[0:1], 0x28
	s_load_b128 s[8:11], s[0:1], 0x18
	s_mov_b32 s7, 0
	v_lshlrev_b64 v[3:4], 3, v[3:4]
	v_and_b32_e32 v0, 63, v0
	s_waitcnt lgkmcnt(0)
	s_lshl_b64 s[2:3], s[6:7], 3
	s_delay_alu instid0(SALU_CYCLE_1) | instskip(SKIP_4) | instid1(SALU_CYCLE_1)
	s_add_u32 s2, s10, s2
	s_addc_u32 s3, s11, s3
	s_load_b64 s[2:3], s[2:3], 0x0
	s_waitcnt lgkmcnt(0)
	s_lshl_b64 s[2:3], s[2:3], 3
	s_add_u32 s2, s8, s2
	s_addc_u32 s3, s9, s3
	v_add_co_u32 v3, vcc_lo, s2, v3
	v_add_co_ci_u32_e32 v4, vcc_lo, s3, v4, vcc_lo
	s_load_b64 s[2:3], s[0:1], 0x38
	global_load_b64 v[3:4], v[3:4], off
	s_waitcnt vmcnt(0)
	v_lshlrev_b64 v[3:4], 3, v[3:4]
	s_waitcnt lgkmcnt(0)
	s_delay_alu instid0(VALU_DEP_1) | instskip(NEXT) | instid1(VALU_DEP_2)
	v_add_co_u32 v7, vcc_lo, s2, v3
	v_add_co_ci_u32_e32 v8, vcc_lo, s3, v4, vcc_lo
	s_load_b64 s[2:3], s[0:1], 0x60
	global_load_b128 v[9:12], v[7:8], off
	s_waitcnt vmcnt(0)
	v_sub_co_u32 v7, vcc_lo, v11, s4
	v_subrev_co_ci_u32_e32 v8, vcc_lo, 0, v12, vcc_lo
	v_mov_b32_e32 v11, 0
	v_sub_co_u32 v13, s5, v0, s4
	s_delay_alu instid0(VALU_DEP_1) | instskip(SKIP_1) | instid1(VALU_DEP_3)
	v_sub_co_ci_u32_e64 v14, null, 0, 0, s5
	v_mov_b32_e32 v12, 0
	v_add_co_u32 v9, vcc_lo, v9, v13
	s_delay_alu instid0(VALU_DEP_3) | instskip(SKIP_1) | instid1(VALU_DEP_1)
	v_add_co_ci_u32_e32 v10, vcc_lo, v10, v14, vcc_lo
	s_mov_b32 s5, exec_lo
	v_cmpx_lt_i64_e64 v[9:10], v[7:8]
	s_cbranch_execz .LBB41_10
; %bb.7:
	s_clause 0x1
	s_load_b128 s[12:15], s[0:1], 0x40
	s_load_b64 s[8:9], s[0:1], 0x50
	v_lshlrev_b64 v[15:16], 3, v[9:10]
	v_mov_b32_e32 v11, 0
	v_mov_b32_e32 v12, 0
	s_waitcnt lgkmcnt(0)
	s_delay_alu instid0(VALU_DEP_3) | instskip(NEXT) | instid1(VALU_DEP_4)
	v_add_co_u32 v13, vcc_lo, s14, v15
	v_add_co_ci_u32_e32 v14, vcc_lo, s15, v16, vcc_lo
	v_add_co_u32 v15, vcc_lo, s12, v15
	v_add_co_ci_u32_e32 v16, vcc_lo, s13, v16, vcc_lo
	s_set_inst_prefetch_distance 0x1
	.p2align	6
.LBB41_8:                               ; =>This Inner Loop Header: Depth=1
	global_load_b64 v[17:18], v[15:16], off
	global_load_b64 v[19:20], v[13:14], off
	v_add_co_u32 v15, s0, 0x200, v15
	s_delay_alu instid0(VALU_DEP_1)
	v_add_co_ci_u32_e64 v16, s0, 0, v16, s0
	s_waitcnt vmcnt(1)
	v_sub_co_u32 v17, vcc_lo, v17, s4
	v_subrev_co_ci_u32_e32 v18, vcc_lo, 0, v18, vcc_lo
	s_waitcnt vmcnt(0)
	v_mul_f64 v[19:20], v[5:6], v[19:20]
	s_delay_alu instid0(VALU_DEP_2) | instskip(NEXT) | instid1(VALU_DEP_1)
	v_lshlrev_b64 v[17:18], 3, v[17:18]
	v_add_co_u32 v17, vcc_lo, s8, v17
	s_delay_alu instid0(VALU_DEP_2)
	v_add_co_ci_u32_e32 v18, vcc_lo, s9, v18, vcc_lo
	v_add_co_u32 v9, vcc_lo, v9, 64
	v_add_co_ci_u32_e32 v10, vcc_lo, 0, v10, vcc_lo
	global_load_b64 v[17:18], v[17:18], off
	v_add_co_u32 v13, vcc_lo, 0x200, v13
	v_add_co_ci_u32_e32 v14, vcc_lo, 0, v14, vcc_lo
	v_cmp_ge_i64_e32 vcc_lo, v[9:10], v[7:8]
	s_or_b32 s7, vcc_lo, s7
	s_waitcnt vmcnt(0)
	v_fma_f64 v[11:12], v[19:20], v[17:18], v[11:12]
	s_and_not1_b32 exec_lo, exec_lo, s7
	s_cbranch_execnz .LBB41_8
; %bb.9:
	s_set_inst_prefetch_distance 0x2
	s_or_b32 exec_lo, exec_lo, s7
.LBB41_10:
	s_delay_alu instid0(SALU_CYCLE_1) | instskip(SKIP_1) | instid1(VALU_DEP_1)
	s_or_b32 exec_lo, exec_lo, s5
	v_mbcnt_lo_u32_b32 v9, -1, 0
	v_or_b32_e32 v5, 32, v9
	v_xor_b32_e32 v7, 16, v9
	s_delay_alu instid0(VALU_DEP_2) | instskip(SKIP_1) | instid1(VALU_DEP_3)
	v_cmp_gt_i32_e32 vcc_lo, 32, v5
	v_cndmask_b32_e32 v5, v9, v5, vcc_lo
	v_cmp_gt_i32_e32 vcc_lo, 32, v7
	v_cndmask_b32_e32 v7, v9, v7, vcc_lo
	s_delay_alu instid0(VALU_DEP_1) | instskip(NEXT) | instid1(VALU_DEP_4)
	v_lshlrev_b32_e32 v8, 2, v7
	v_lshlrev_b32_e32 v6, 2, v5
	ds_bpermute_b32 v5, v6, v11
	ds_bpermute_b32 v6, v6, v12
	s_waitcnt lgkmcnt(0)
	v_add_f64 v[5:6], v[11:12], v[5:6]
	ds_bpermute_b32 v7, v8, v5
	ds_bpermute_b32 v8, v8, v6
	s_waitcnt lgkmcnt(0)
	v_add_f64 v[5:6], v[5:6], v[7:8]
	v_xor_b32_e32 v7, 8, v9
	s_delay_alu instid0(VALU_DEP_1) | instskip(SKIP_1) | instid1(VALU_DEP_1)
	v_cmp_gt_i32_e32 vcc_lo, 32, v7
	v_cndmask_b32_e32 v7, v9, v7, vcc_lo
	v_lshlrev_b32_e32 v8, 2, v7
	ds_bpermute_b32 v7, v8, v5
	ds_bpermute_b32 v8, v8, v6
	s_waitcnt lgkmcnt(0)
	v_add_f64 v[5:6], v[5:6], v[7:8]
	v_xor_b32_e32 v7, 4, v9
	s_delay_alu instid0(VALU_DEP_1) | instskip(SKIP_1) | instid1(VALU_DEP_1)
	v_cmp_gt_i32_e32 vcc_lo, 32, v7
	v_cndmask_b32_e32 v7, v9, v7, vcc_lo
	v_lshlrev_b32_e32 v8, 2, v7
	;; [unrolled: 9-line block ×3, first 2 shown]
	ds_bpermute_b32 v7, v8, v5
	ds_bpermute_b32 v8, v8, v6
	s_waitcnt lgkmcnt(0)
	v_add_f64 v[5:6], v[5:6], v[7:8]
	v_xor_b32_e32 v7, 1, v9
	s_delay_alu instid0(VALU_DEP_1) | instskip(SKIP_2) | instid1(VALU_DEP_2)
	v_cmp_gt_i32_e32 vcc_lo, 32, v7
	v_cndmask_b32_e32 v7, v9, v7, vcc_lo
	v_cmp_eq_u32_e32 vcc_lo, 63, v0
	v_lshlrev_b32_e32 v8, 2, v7
	ds_bpermute_b32 v7, v8, v5
	ds_bpermute_b32 v8, v8, v6
	s_and_b32 exec_lo, exec_lo, vcc_lo
	s_cbranch_execz .LBB41_14
; %bb.11:
	s_waitcnt lgkmcnt(0)
	v_add_f64 v[5:6], v[5:6], v[7:8]
	s_mov_b32 s0, exec_lo
	v_cmpx_neq_f64_e32 0, v[1:2]
	s_cbranch_execz .LBB41_13
; %bb.12:
	v_add_co_u32 v7, vcc_lo, s2, v3
	v_add_co_ci_u32_e32 v8, vcc_lo, s3, v4, vcc_lo
	global_load_b64 v[7:8], v[7:8], off
	s_waitcnt vmcnt(0)
	v_fma_f64 v[5:6], v[1:2], v[7:8], v[5:6]
.LBB41_13:
	s_or_b32 exec_lo, exec_lo, s0
	v_add_co_u32 v0, vcc_lo, s2, v3
	v_add_co_ci_u32_e32 v1, vcc_lo, s3, v4, vcc_lo
	global_store_b64 v[0:1], v[5:6], off
.LBB41_14:
	s_nop 0
	s_sendmsg sendmsg(MSG_DEALLOC_VGPRS)
	s_endpgm
	.section	.rodata,"a",@progbits
	.p2align	6, 0x0
	.amdhsa_kernel _ZN9rocsparseL41csrmvn_lrb_medium_rows_warp_reduce_kernelILj256ELj64EllddddEEvbT1_lPT2_S3_jNS_24const_host_device_scalarIT6_EEPKS1_PKS2_PKT3_PKT4_S6_PT5_21rocsparse_index_base_b
		.amdhsa_group_segment_fixed_size 0
		.amdhsa_private_segment_fixed_size 0
		.amdhsa_kernarg_size 112
		.amdhsa_user_sgpr_count 15
		.amdhsa_user_sgpr_dispatch_ptr 0
		.amdhsa_user_sgpr_queue_ptr 0
		.amdhsa_user_sgpr_kernarg_segment_ptr 1
		.amdhsa_user_sgpr_dispatch_id 0
		.amdhsa_user_sgpr_private_segment_size 0
		.amdhsa_wavefront_size32 1
		.amdhsa_uses_dynamic_stack 0
		.amdhsa_enable_private_segment 0
		.amdhsa_system_sgpr_workgroup_id_x 1
		.amdhsa_system_sgpr_workgroup_id_y 0
		.amdhsa_system_sgpr_workgroup_id_z 0
		.amdhsa_system_sgpr_workgroup_info 0
		.amdhsa_system_vgpr_workitem_id 0
		.amdhsa_next_free_vgpr 21
		.amdhsa_next_free_sgpr 16
		.amdhsa_reserve_vcc 1
		.amdhsa_float_round_mode_32 0
		.amdhsa_float_round_mode_16_64 0
		.amdhsa_float_denorm_mode_32 3
		.amdhsa_float_denorm_mode_16_64 3
		.amdhsa_dx10_clamp 1
		.amdhsa_ieee_mode 1
		.amdhsa_fp16_overflow 0
		.amdhsa_workgroup_processor_mode 1
		.amdhsa_memory_ordered 1
		.amdhsa_forward_progress 0
		.amdhsa_shared_vgpr_count 0
		.amdhsa_exception_fp_ieee_invalid_op 0
		.amdhsa_exception_fp_denorm_src 0
		.amdhsa_exception_fp_ieee_div_zero 0
		.amdhsa_exception_fp_ieee_overflow 0
		.amdhsa_exception_fp_ieee_underflow 0
		.amdhsa_exception_fp_ieee_inexact 0
		.amdhsa_exception_int_div_zero 0
	.end_amdhsa_kernel
	.section	.text._ZN9rocsparseL41csrmvn_lrb_medium_rows_warp_reduce_kernelILj256ELj64EllddddEEvbT1_lPT2_S3_jNS_24const_host_device_scalarIT6_EEPKS1_PKS2_PKT3_PKT4_S6_PT5_21rocsparse_index_base_b,"axG",@progbits,_ZN9rocsparseL41csrmvn_lrb_medium_rows_warp_reduce_kernelILj256ELj64EllddddEEvbT1_lPT2_S3_jNS_24const_host_device_scalarIT6_EEPKS1_PKS2_PKT3_PKT4_S6_PT5_21rocsparse_index_base_b,comdat
.Lfunc_end41:
	.size	_ZN9rocsparseL41csrmvn_lrb_medium_rows_warp_reduce_kernelILj256ELj64EllddddEEvbT1_lPT2_S3_jNS_24const_host_device_scalarIT6_EEPKS1_PKS2_PKT3_PKT4_S6_PT5_21rocsparse_index_base_b, .Lfunc_end41-_ZN9rocsparseL41csrmvn_lrb_medium_rows_warp_reduce_kernelILj256ELj64EllddddEEvbT1_lPT2_S3_jNS_24const_host_device_scalarIT6_EEPKS1_PKS2_PKT3_PKT4_S6_PT5_21rocsparse_index_base_b
                                        ; -- End function
	.section	.AMDGPU.csdata,"",@progbits
; Kernel info:
; codeLenInByte = 1060
; NumSgprs: 18
; NumVgprs: 21
; ScratchSize: 0
; MemoryBound: 0
; FloatMode: 240
; IeeeMode: 1
; LDSByteSize: 0 bytes/workgroup (compile time only)
; SGPRBlocks: 2
; VGPRBlocks: 2
; NumSGPRsForWavesPerEU: 18
; NumVGPRsForWavesPerEU: 21
; Occupancy: 16
; WaveLimiterHint : 1
; COMPUTE_PGM_RSRC2:SCRATCH_EN: 0
; COMPUTE_PGM_RSRC2:USER_SGPR: 15
; COMPUTE_PGM_RSRC2:TRAP_HANDLER: 0
; COMPUTE_PGM_RSRC2:TGID_X_EN: 1
; COMPUTE_PGM_RSRC2:TGID_Y_EN: 0
; COMPUTE_PGM_RSRC2:TGID_Z_EN: 0
; COMPUTE_PGM_RSRC2:TIDIG_COMP_CNT: 0
	.section	.text._ZN9rocsparseL29csrmvn_lrb_medium_rows_kernelILj256EllddddEEvbT0_PT1_S3_jNS_24const_host_device_scalarIT5_EEPKS1_PKS2_PKT2_PKT3_S6_PT4_21rocsparse_index_base_b,"axG",@progbits,_ZN9rocsparseL29csrmvn_lrb_medium_rows_kernelILj256EllddddEEvbT0_PT1_S3_jNS_24const_host_device_scalarIT5_EEPKS1_PKS2_PKT2_PKT3_S6_PT4_21rocsparse_index_base_b,comdat
	.globl	_ZN9rocsparseL29csrmvn_lrb_medium_rows_kernelILj256EllddddEEvbT0_PT1_S3_jNS_24const_host_device_scalarIT5_EEPKS1_PKS2_PKT2_PKT3_S6_PT4_21rocsparse_index_base_b ; -- Begin function _ZN9rocsparseL29csrmvn_lrb_medium_rows_kernelILj256EllddddEEvbT0_PT1_S3_jNS_24const_host_device_scalarIT5_EEPKS1_PKS2_PKT2_PKT3_S6_PT4_21rocsparse_index_base_b
	.p2align	8
	.type	_ZN9rocsparseL29csrmvn_lrb_medium_rows_kernelILj256EllddddEEvbT0_PT1_S3_jNS_24const_host_device_scalarIT5_EEPKS1_PKS2_PKT2_PKT3_S6_PT4_21rocsparse_index_base_b,@function
_ZN9rocsparseL29csrmvn_lrb_medium_rows_kernelILj256EllddddEEvbT0_PT1_S3_jNS_24const_host_device_scalarIT5_EEPKS1_PKS2_PKT2_PKT3_S6_PT4_21rocsparse_index_base_b: ; @_ZN9rocsparseL29csrmvn_lrb_medium_rows_kernelILj256EllddddEEvbT0_PT1_S3_jNS_24const_host_device_scalarIT5_EEPKS1_PKS2_PKT2_PKT3_S6_PT4_21rocsparse_index_base_b
; %bb.0:
	s_clause 0x2
	s_load_b64 s[6:7], s[0:1], 0x60
	s_load_b64 s[8:9], s[0:1], 0x28
	;; [unrolled: 1-line block ×3, first 2 shown]
	s_mov_b32 s4, s15
	s_waitcnt lgkmcnt(0)
	s_bitcmp1_b32 s7, 0
	v_dual_mov_b32 v3, s8 :: v_dual_mov_b32 v4, s9
	s_cselect_b32 s5, -1, 0
	s_delay_alu instid0(SALU_CYCLE_1)
	s_and_b32 vcc_lo, exec_lo, s5
	s_xor_b32 s5, s5, -1
	s_cbranch_vccnz .LBB42_2
; %bb.1:
	v_dual_mov_b32 v1, s8 :: v_dual_mov_b32 v2, s9
	flat_load_b64 v[3:4], v[1:2]
.LBB42_2:
	v_dual_mov_b32 v1, s2 :: v_dual_mov_b32 v2, s3
	s_and_not1_b32 vcc_lo, exec_lo, s5
	s_cbranch_vccnz .LBB42_4
; %bb.3:
	v_dual_mov_b32 v1, s2 :: v_dual_mov_b32 v2, s3
	flat_load_b64 v[1:2], v[1:2]
.LBB42_4:
	s_waitcnt vmcnt(0) lgkmcnt(0)
	v_cmp_neq_f64_e32 vcc_lo, 0, v[3:4]
	v_cmp_neq_f64_e64 s2, 1.0, v[1:2]
	s_delay_alu instid0(VALU_DEP_1) | instskip(NEXT) | instid1(SALU_CYCLE_1)
	s_or_b32 s2, vcc_lo, s2
	s_and_saveexec_b32 s3, s2
	s_cbranch_execz .LBB42_29
; %bb.5:
	s_clause 0x1
	s_load_b32 s8, s[0:1], 0x20
	s_load_b128 s[12:15], s[0:1], 0x10
	s_mov_b32 s9, 0
	v_mov_b32_e32 v7, 0
	v_mov_b32_e32 v8, 0
	s_waitcnt lgkmcnt(0)
	s_lshl_b64 s[2:3], s[8:9], 3
	s_delay_alu instid0(SALU_CYCLE_1)
	s_add_u32 s2, s14, s2
	s_addc_u32 s3, s15, s3
	s_ashr_i32 s5, s4, 31
	s_load_b64 s[2:3], s[2:3], 0x0
	s_waitcnt lgkmcnt(0)
	s_lshl_b64 s[2:3], s[2:3], 3
	s_delay_alu instid0(SALU_CYCLE_1) | instskip(SKIP_2) | instid1(SALU_CYCLE_1)
	s_add_u32 s7, s12, s2
	s_addc_u32 s8, s13, s3
	s_lshl_b64 s[2:3], s[4:5], 3
	s_add_u32 s2, s7, s2
	s_addc_u32 s3, s8, s3
	s_load_b64 s[2:3], s[2:3], 0x0
	s_load_b64 s[4:5], s[0:1], 0x30
	v_sub_co_u32 v5, s7, v0, s6
	s_delay_alu instid0(VALU_DEP_1) | instskip(SKIP_3) | instid1(SALU_CYCLE_1)
	v_sub_co_ci_u32_e64 v6, null, 0, 0, s7
	s_mov_b32 s7, exec_lo
	s_waitcnt lgkmcnt(0)
	s_lshl_b64 s[2:3], s[2:3], 3
	s_add_u32 s4, s4, s2
	s_addc_u32 s5, s5, s3
	s_load_b128 s[12:15], s[4:5], 0x0
	s_load_b64 s[4:5], s[0:1], 0x58
	s_waitcnt lgkmcnt(0)
	v_add_co_u32 v5, vcc_lo, s12, v5
	v_add_co_ci_u32_e32 v6, vcc_lo, s13, v6, vcc_lo
	s_sub_u32 s10, s14, s6
	s_subb_u32 s11, s15, 0
	s_delay_alu instid0(VALU_DEP_1) | instid1(SALU_CYCLE_1)
	v_cmpx_gt_i64_e64 s[10:11], v[5:6]
	s_cbranch_execz .LBB42_9
; %bb.6:
	s_clause 0x1
	s_load_b128 s[16:19], s[0:1], 0x38
	s_load_b64 s[12:13], s[0:1], 0x48
	v_lshlrev_b64 v[11:12], 3, v[5:6]
	v_mov_b32_e32 v7, 0
	v_mov_b32_e32 v8, 0
	s_waitcnt lgkmcnt(0)
	s_delay_alu instid0(VALU_DEP_3) | instskip(NEXT) | instid1(VALU_DEP_4)
	v_add_co_u32 v9, vcc_lo, s18, v11
	v_add_co_ci_u32_e32 v10, vcc_lo, s19, v12, vcc_lo
	v_add_co_u32 v11, vcc_lo, s16, v11
	v_add_co_ci_u32_e32 v12, vcc_lo, s17, v12, vcc_lo
	s_set_inst_prefetch_distance 0x1
	.p2align	6
.LBB42_7:                               ; =>This Inner Loop Header: Depth=1
	global_load_b64 v[13:14], v[11:12], off
	global_load_b64 v[15:16], v[9:10], off
	v_add_co_u32 v11, s0, 0x800, v11
	s_delay_alu instid0(VALU_DEP_1)
	v_add_co_ci_u32_e64 v12, s0, 0, v12, s0
	s_waitcnt vmcnt(1)
	v_sub_co_u32 v13, vcc_lo, v13, s6
	v_subrev_co_ci_u32_e32 v14, vcc_lo, 0, v14, vcc_lo
	s_waitcnt vmcnt(0)
	v_mul_f64 v[15:16], v[3:4], v[15:16]
	s_delay_alu instid0(VALU_DEP_2) | instskip(NEXT) | instid1(VALU_DEP_1)
	v_lshlrev_b64 v[13:14], 3, v[13:14]
	v_add_co_u32 v13, vcc_lo, s12, v13
	s_delay_alu instid0(VALU_DEP_2)
	v_add_co_ci_u32_e32 v14, vcc_lo, s13, v14, vcc_lo
	v_add_co_u32 v5, vcc_lo, 0x100, v5
	v_add_co_ci_u32_e32 v6, vcc_lo, 0, v6, vcc_lo
	global_load_b64 v[13:14], v[13:14], off
	v_add_co_u32 v9, vcc_lo, 0x800, v9
	v_add_co_ci_u32_e32 v10, vcc_lo, 0, v10, vcc_lo
	v_cmp_le_i64_e32 vcc_lo, s[10:11], v[5:6]
	s_or_b32 s9, vcc_lo, s9
	s_waitcnt vmcnt(0)
	v_fma_f64 v[7:8], v[15:16], v[13:14], v[7:8]
	s_and_not1_b32 exec_lo, exec_lo, s9
	s_cbranch_execnz .LBB42_7
; %bb.8:
	s_set_inst_prefetch_distance 0x2
	s_or_b32 exec_lo, exec_lo, s9
.LBB42_9:
	s_delay_alu instid0(SALU_CYCLE_1)
	s_or_b32 exec_lo, exec_lo, s7
	v_lshlrev_b32_e32 v3, 3, v0
	s_mov_b32 s0, exec_lo
	ds_store_b64 v3, v[7:8]
	s_waitcnt lgkmcnt(0)
	s_barrier
	buffer_gl0_inv
	v_cmpx_gt_u32_e32 0x80, v0
	s_cbranch_execz .LBB42_11
; %bb.10:
	ds_load_2addr_stride64_b64 v[4:7], v3 offset1:2
	s_waitcnt lgkmcnt(0)
	v_add_f64 v[4:5], v[4:5], v[6:7]
	ds_store_b64 v3, v[4:5]
.LBB42_11:
	s_or_b32 exec_lo, exec_lo, s0
	s_delay_alu instid0(SALU_CYCLE_1)
	s_mov_b32 s0, exec_lo
	s_waitcnt lgkmcnt(0)
	s_barrier
	buffer_gl0_inv
	v_cmpx_gt_u32_e32 64, v0
	s_cbranch_execz .LBB42_13
; %bb.12:
	ds_load_2addr_stride64_b64 v[4:7], v3 offset1:1
	s_waitcnt lgkmcnt(0)
	v_add_f64 v[4:5], v[4:5], v[6:7]
	ds_store_b64 v3, v[4:5]
.LBB42_13:
	s_or_b32 exec_lo, exec_lo, s0
	s_delay_alu instid0(SALU_CYCLE_1)
	s_mov_b32 s0, exec_lo
	s_waitcnt lgkmcnt(0)
	s_barrier
	buffer_gl0_inv
	v_cmpx_gt_u32_e32 32, v0
	s_cbranch_execz .LBB42_15
; %bb.14:
	ds_load_2addr_b64 v[4:7], v3 offset1:32
	s_waitcnt lgkmcnt(0)
	v_add_f64 v[4:5], v[4:5], v[6:7]
	ds_store_b64 v3, v[4:5]
.LBB42_15:
	s_or_b32 exec_lo, exec_lo, s0
	s_delay_alu instid0(SALU_CYCLE_1)
	s_mov_b32 s0, exec_lo
	s_waitcnt lgkmcnt(0)
	s_barrier
	buffer_gl0_inv
	v_cmpx_gt_u32_e32 16, v0
	s_cbranch_execz .LBB42_17
; %bb.16:
	ds_load_2addr_b64 v[4:7], v3 offset1:16
	s_waitcnt lgkmcnt(0)
	v_add_f64 v[4:5], v[4:5], v[6:7]
	ds_store_b64 v3, v[4:5]
.LBB42_17:
	;; [unrolled: 14-line block ×5, first 2 shown]
	s_or_b32 exec_lo, exec_lo, s0
	v_cmp_eq_u32_e32 vcc_lo, 0, v0
	s_waitcnt lgkmcnt(0)
	s_barrier
	buffer_gl0_inv
	s_and_saveexec_b32 s0, vcc_lo
	s_cbranch_execz .LBB42_25
; %bb.24:
	v_mov_b32_e32 v0, 0
	ds_load_b128 v[3:6], v0
	s_waitcnt lgkmcnt(0)
	v_add_f64 v[3:4], v[3:4], v[5:6]
	ds_store_b64 v0, v[3:4]
.LBB42_25:
	s_or_b32 exec_lo, exec_lo, s0
	s_waitcnt lgkmcnt(0)
	s_barrier
	buffer_gl0_inv
	s_and_b32 exec_lo, exec_lo, vcc_lo
	s_cbranch_execz .LBB42_29
; %bb.26:
	v_mov_b32_e32 v0, 0
	s_mov_b32 s0, exec_lo
	ds_load_b64 v[3:4], v0
	v_cmpx_neq_f64_e32 0, v[1:2]
	s_cbranch_execz .LBB42_28
; %bb.27:
	s_add_u32 s6, s4, s2
	s_addc_u32 s7, s5, s3
	s_load_b64 s[6:7], s[6:7], 0x0
	s_waitcnt lgkmcnt(0)
	v_fma_f64 v[3:4], v[1:2], s[6:7], v[3:4]
.LBB42_28:
	s_or_b32 exec_lo, exec_lo, s0
	s_add_u32 s0, s4, s2
	s_addc_u32 s1, s5, s3
	s_waitcnt lgkmcnt(0)
	global_store_b64 v0, v[3:4], s[0:1]
.LBB42_29:
	s_nop 0
	s_sendmsg sendmsg(MSG_DEALLOC_VGPRS)
	s_endpgm
	.section	.rodata,"a",@progbits
	.p2align	6, 0x0
	.amdhsa_kernel _ZN9rocsparseL29csrmvn_lrb_medium_rows_kernelILj256EllddddEEvbT0_PT1_S3_jNS_24const_host_device_scalarIT5_EEPKS1_PKS2_PKT2_PKT3_S6_PT4_21rocsparse_index_base_b
		.amdhsa_group_segment_fixed_size 2048
		.amdhsa_private_segment_fixed_size 0
		.amdhsa_kernarg_size 104
		.amdhsa_user_sgpr_count 15
		.amdhsa_user_sgpr_dispatch_ptr 0
		.amdhsa_user_sgpr_queue_ptr 0
		.amdhsa_user_sgpr_kernarg_segment_ptr 1
		.amdhsa_user_sgpr_dispatch_id 0
		.amdhsa_user_sgpr_private_segment_size 0
		.amdhsa_wavefront_size32 1
		.amdhsa_uses_dynamic_stack 0
		.amdhsa_enable_private_segment 0
		.amdhsa_system_sgpr_workgroup_id_x 1
		.amdhsa_system_sgpr_workgroup_id_y 0
		.amdhsa_system_sgpr_workgroup_id_z 0
		.amdhsa_system_sgpr_workgroup_info 0
		.amdhsa_system_vgpr_workitem_id 0
		.amdhsa_next_free_vgpr 17
		.amdhsa_next_free_sgpr 20
		.amdhsa_reserve_vcc 1
		.amdhsa_float_round_mode_32 0
		.amdhsa_float_round_mode_16_64 0
		.amdhsa_float_denorm_mode_32 3
		.amdhsa_float_denorm_mode_16_64 3
		.amdhsa_dx10_clamp 1
		.amdhsa_ieee_mode 1
		.amdhsa_fp16_overflow 0
		.amdhsa_workgroup_processor_mode 1
		.amdhsa_memory_ordered 1
		.amdhsa_forward_progress 0
		.amdhsa_shared_vgpr_count 0
		.amdhsa_exception_fp_ieee_invalid_op 0
		.amdhsa_exception_fp_denorm_src 0
		.amdhsa_exception_fp_ieee_div_zero 0
		.amdhsa_exception_fp_ieee_overflow 0
		.amdhsa_exception_fp_ieee_underflow 0
		.amdhsa_exception_fp_ieee_inexact 0
		.amdhsa_exception_int_div_zero 0
	.end_amdhsa_kernel
	.section	.text._ZN9rocsparseL29csrmvn_lrb_medium_rows_kernelILj256EllddddEEvbT0_PT1_S3_jNS_24const_host_device_scalarIT5_EEPKS1_PKS2_PKT2_PKT3_S6_PT4_21rocsparse_index_base_b,"axG",@progbits,_ZN9rocsparseL29csrmvn_lrb_medium_rows_kernelILj256EllddddEEvbT0_PT1_S3_jNS_24const_host_device_scalarIT5_EEPKS1_PKS2_PKT2_PKT3_S6_PT4_21rocsparse_index_base_b,comdat
.Lfunc_end42:
	.size	_ZN9rocsparseL29csrmvn_lrb_medium_rows_kernelILj256EllddddEEvbT0_PT1_S3_jNS_24const_host_device_scalarIT5_EEPKS1_PKS2_PKT2_PKT3_S6_PT4_21rocsparse_index_base_b, .Lfunc_end42-_ZN9rocsparseL29csrmvn_lrb_medium_rows_kernelILj256EllddddEEvbT0_PT1_S3_jNS_24const_host_device_scalarIT5_EEPKS1_PKS2_PKT2_PKT3_S6_PT4_21rocsparse_index_base_b
                                        ; -- End function
	.section	.AMDGPU.csdata,"",@progbits
; Kernel info:
; codeLenInByte = 1244
; NumSgprs: 22
; NumVgprs: 17
; ScratchSize: 0
; MemoryBound: 0
; FloatMode: 240
; IeeeMode: 1
; LDSByteSize: 2048 bytes/workgroup (compile time only)
; SGPRBlocks: 2
; VGPRBlocks: 2
; NumSGPRsForWavesPerEU: 22
; NumVGPRsForWavesPerEU: 17
; Occupancy: 16
; WaveLimiterHint : 1
; COMPUTE_PGM_RSRC2:SCRATCH_EN: 0
; COMPUTE_PGM_RSRC2:USER_SGPR: 15
; COMPUTE_PGM_RSRC2:TRAP_HANDLER: 0
; COMPUTE_PGM_RSRC2:TGID_X_EN: 1
; COMPUTE_PGM_RSRC2:TGID_Y_EN: 0
; COMPUTE_PGM_RSRC2:TGID_Z_EN: 0
; COMPUTE_PGM_RSRC2:TIDIG_COMP_CNT: 0
	.section	.text._ZN9rocsparseL27csrmvn_lrb_long_rows_kernelIllddddEEvbT_PjPT0_S4_jNS_24const_host_device_scalarIT4_EEPKS1_PKS3_PKT1_PKT2_S7_PT3_21rocsparse_index_base_b,"axG",@progbits,_ZN9rocsparseL27csrmvn_lrb_long_rows_kernelIllddddEEvbT_PjPT0_S4_jNS_24const_host_device_scalarIT4_EEPKS1_PKS3_PKT1_PKT2_S7_PT3_21rocsparse_index_base_b,comdat
	.globl	_ZN9rocsparseL27csrmvn_lrb_long_rows_kernelIllddddEEvbT_PjPT0_S4_jNS_24const_host_device_scalarIT4_EEPKS1_PKS3_PKT1_PKT2_S7_PT3_21rocsparse_index_base_b ; -- Begin function _ZN9rocsparseL27csrmvn_lrb_long_rows_kernelIllddddEEvbT_PjPT0_S4_jNS_24const_host_device_scalarIT4_EEPKS1_PKS3_PKT1_PKT2_S7_PT3_21rocsparse_index_base_b
	.p2align	8
	.type	_ZN9rocsparseL27csrmvn_lrb_long_rows_kernelIllddddEEvbT_PjPT0_S4_jNS_24const_host_device_scalarIT4_EEPKS1_PKS3_PKT1_PKT2_S7_PT3_21rocsparse_index_base_b,@function
_ZN9rocsparseL27csrmvn_lrb_long_rows_kernelIllddddEEvbT_PjPT0_S4_jNS_24const_host_device_scalarIT4_EEPKS1_PKS3_PKT1_PKT2_S7_PT3_21rocsparse_index_base_b: ; @_ZN9rocsparseL27csrmvn_lrb_long_rows_kernelIllddddEEvbT_PjPT0_S4_jNS_24const_host_device_scalarIT4_EEPKS1_PKS3_PKT1_PKT2_S7_PT3_21rocsparse_index_base_b
; %bb.0:
	s_clause 0x2
	s_load_b64 s[16:17], s[0:1], 0x68
	s_load_b64 s[4:5], s[0:1], 0x30
	;; [unrolled: 1-line block ×3, first 2 shown]
	s_mov_b32 s8, s15
	s_waitcnt lgkmcnt(0)
	s_bitcmp1_b32 s17, 0
	v_dual_mov_b32 v1, s4 :: v_dual_mov_b32 v2, s5
	s_cselect_b32 s6, -1, 0
	s_delay_alu instid0(SALU_CYCLE_1)
	s_and_b32 vcc_lo, exec_lo, s6
	s_xor_b32 s6, s6, -1
	s_cbranch_vccnz .LBB43_2
; %bb.1:
	v_dual_mov_b32 v1, s4 :: v_dual_mov_b32 v2, s5
	flat_load_b64 v[1:2], v[1:2]
.LBB43_2:
	v_dual_mov_b32 v6, s3 :: v_dual_mov_b32 v5, s2
	s_and_not1_b32 vcc_lo, exec_lo, s6
	s_cbranch_vccnz .LBB43_4
; %bb.3:
	v_dual_mov_b32 v4, s3 :: v_dual_mov_b32 v3, s2
	flat_load_b64 v[5:6], v[3:4]
.LBB43_4:
	s_waitcnt vmcnt(0) lgkmcnt(0)
	v_cmp_neq_f64_e32 vcc_lo, 0, v[1:2]
	v_cmp_neq_f64_e64 s2, 1.0, v[5:6]
	s_delay_alu instid0(VALU_DEP_1) | instskip(NEXT) | instid1(SALU_CYCLE_1)
	s_or_b32 s2, vcc_lo, s2
	s_and_saveexec_b32 s3, s2
	s_cbranch_execz .LBB43_39
; %bb.5:
	s_clause 0x1
	s_load_b32 s2, s[0:1], 0x28
	s_load_b64 s[4:5], s[0:1], 0x20
	s_mov_b32 s3, 0
	s_mov_b32 s21, exec_lo
	s_waitcnt lgkmcnt(0)
	s_lshl_b64 s[6:7], s[2:3], 3
	s_delay_alu instid0(SALU_CYCLE_1) | instskip(SKIP_4) | instid1(SALU_CYCLE_1)
	s_add_u32 s4, s4, s6
	s_addc_u32 s5, s5, s7
	s_lshl_b32 s2, -1, s2
	s_load_b64 s[10:11], s[4:5], 0x0
	s_not_b32 s2, s2
	s_mul_hi_u32 s2, s2, 0x2aaaaaab
	s_delay_alu instid0(SALU_CYCLE_1) | instskip(NEXT) | instid1(SALU_CYCLE_1)
	s_lshr_b32 s2, s2, 7
	s_add_i32 s9, s2, 1
	s_not_b32 s2, s2
	v_cvt_f32_u32_e32 v3, s9
	s_delay_alu instid0(VALU_DEP_1) | instskip(SKIP_2) | instid1(VALU_DEP_1)
	v_rcp_iflag_f32_e32 v3, v3
	s_waitcnt_depctr 0xfff
	v_mul_f32_e32 v3, 0x4f7ffffe, v3
	v_cvt_u32_f32_e32 v3, v3
	s_delay_alu instid0(VALU_DEP_1) | instskip(SKIP_2) | instid1(VALU_DEP_3)
	v_readfirstlane_b32 s6, v3
	v_mov_b32_e32 v3, 0
	v_mov_b32_e32 v4, 0
	s_mul_i32 s2, s2, s6
	s_delay_alu instid0(SALU_CYCLE_1) | instskip(NEXT) | instid1(SALU_CYCLE_1)
	s_mul_hi_u32 s2, s6, s2
	s_add_i32 s2, s6, s2
	s_load_b128 s[4:7], s[0:1], 0x10
	s_mul_hi_u32 s2, s8, s2
	s_delay_alu instid0(SALU_CYCLE_1) | instskip(SKIP_2) | instid1(SALU_CYCLE_1)
	s_mul_i32 s12, s2, s9
	s_add_i32 s13, s2, 1
	s_sub_i32 s12, s8, s12
	s_sub_i32 s14, s12, s9
	s_cmp_ge_u32 s12, s9
	s_cselect_b32 s2, s13, s2
	s_cselect_b32 s12, s14, s12
	s_add_i32 s13, s2, 1
	s_cmp_ge_u32 s12, s9
	s_cselect_b32 s2, s13, s2
	s_waitcnt lgkmcnt(0)
	s_lshl_b64 s[10:11], s[10:11], 3
	s_mul_i32 s9, s2, s9
	s_delay_alu instid0(SALU_CYCLE_1)
	s_sub_i32 s20, s8, s9
	s_add_u32 s6, s6, s10
	s_addc_u32 s7, s7, s11
	s_lshl_b64 s[2:3], s[2:3], 3
	v_or_b32_e32 v7, s20, v0
	s_add_u32 s2, s6, s2
	s_addc_u32 s3, s7, s3
	s_load_b64 s[2:3], s[2:3], 0x0
	s_load_b64 s[6:7], s[0:1], 0x38
	s_waitcnt lgkmcnt(0)
	s_lshl_b64 s[2:3], s[2:3], 3
	s_delay_alu instid0(SALU_CYCLE_1)
	s_add_u32 s10, s6, s2
	s_addc_u32 s11, s7, s3
	s_ashr_i32 s9, s8, 31
	s_sub_u32 s14, s8, s20
	s_subb_u32 s15, s9, 0
	s_lshl_b64 s[8:9], s[8:9], 2
	s_load_b64 s[6:7], s[0:1], 0x60
	s_add_u32 s12, s4, s8
	s_addc_u32 s13, s5, s9
	s_load_b128 s[8:11], s[10:11], 0x0
	s_load_b32 s17, s[12:13], 0x0
	v_cmpx_eq_u32_e32 0, v7
	s_cbranch_execz .LBB43_9
; %bb.6:
	v_add_f64 v[3:4], v[5:6], -1.0
	s_waitcnt lgkmcnt(0)
	s_add_u32 s18, s6, s2
	s_addc_u32 s19, s7, s3
	s_mov_b32 s22, exec_lo
	s_load_b64 s[18:19], s[18:19], 0x0
	v_mbcnt_lo_u32_b32 v5, s22, 0
	s_mov_b32 s23, exec_lo
	s_waitcnt vmcnt(0) expcnt(0) lgkmcnt(0)
	s_delay_alu instid0(VALU_DEP_1)
	v_cmpx_eq_u32_e32 0, v5
	s_cbranch_execz .LBB43_8
; %bb.7:
	s_lshl_b64 s[24:25], s[14:15], 2
	s_delay_alu instid0(SALU_CYCLE_1) | instskip(SKIP_2) | instid1(SALU_CYCLE_1)
	s_add_u32 s24, s4, s24
	s_addc_u32 s25, s5, s25
	s_bcnt1_i32_b32 s22, s22
	s_and_b32 s22, s22, 1
	s_delay_alu instid0(SALU_CYCLE_1)
	v_dual_mov_b32 v5, 0 :: v_dual_mov_b32 v6, s22
	global_atomic_xor_b32 v5, v6, s[24:25]
.LBB43_8:
	s_or_b32 exec_lo, exec_lo, s23
	s_delay_alu instid0(VALU_DEP_3)
	v_mul_f64 v[3:4], v[3:4], s[18:19]
.LBB43_9:
	s_or_b32 exec_lo, exec_lo, s21
	s_mul_i32 s19, s20, 0x300
	s_waitcnt lgkmcnt(0)
	s_sub_u32 s8, s8, s16
	s_mul_hi_u32 s18, s20, 0x300
	s_subb_u32 s9, s9, 0
	s_add_u32 s19, s8, s19
	s_addc_u32 s18, s9, s18
	s_sub_u32 s8, s10, s16
	s_subb_u32 s9, s11, 0
	s_add_u32 s10, s19, 0x300
	s_addc_u32 s11, s18, 0
	v_add_co_u32 v5, s19, s19, v0
	v_cmp_lt_i64_e64 s21, s[10:11], s[8:9]
	v_add_co_ci_u32_e64 v6, null, s18, 0, s19
	s_delay_alu instid0(VALU_DEP_2)
	s_and_b32 s18, s21, exec_lo
	s_cselect_b32 s9, s11, s9
	s_cselect_b32 s8, s10, s8
	s_mov_b32 s18, exec_lo
	v_cmpx_gt_i64_e64 s[8:9], v[5:6]
	s_cbranch_execz .LBB43_13
; %bb.10:
	s_clause 0x1
	s_load_b128 s[24:27], s[0:1], 0x40
	s_load_b64 s[10:11], s[0:1], 0x50
	v_lshlrev_b64 v[9:10], 3, v[5:6]
	s_mov_b32 s1, 0
	s_waitcnt lgkmcnt(0)
	s_delay_alu instid0(VALU_DEP_1) | instskip(NEXT) | instid1(VALU_DEP_2)
	v_add_co_u32 v7, vcc_lo, s26, v9
	v_add_co_ci_u32_e32 v8, vcc_lo, s27, v10, vcc_lo
	v_add_co_u32 v9, vcc_lo, s24, v9
	v_add_co_ci_u32_e32 v10, vcc_lo, s25, v10, vcc_lo
	s_set_inst_prefetch_distance 0x1
	.p2align	6
.LBB43_11:                              ; =>This Inner Loop Header: Depth=1
	global_load_b64 v[11:12], v[9:10], off
	global_load_b64 v[13:14], v[7:8], off
	v_add_co_u32 v9, s0, 0x800, v9
	s_delay_alu instid0(VALU_DEP_1)
	v_add_co_ci_u32_e64 v10, s0, 0, v10, s0
	s_waitcnt vmcnt(1)
	v_sub_co_u32 v11, vcc_lo, v11, s16
	v_subrev_co_ci_u32_e32 v12, vcc_lo, 0, v12, vcc_lo
	s_waitcnt vmcnt(0)
	v_mul_f64 v[13:14], v[1:2], v[13:14]
	s_delay_alu instid0(VALU_DEP_2) | instskip(NEXT) | instid1(VALU_DEP_1)
	v_lshlrev_b64 v[11:12], 3, v[11:12]
	v_add_co_u32 v11, vcc_lo, s10, v11
	s_delay_alu instid0(VALU_DEP_2)
	v_add_co_ci_u32_e32 v12, vcc_lo, s11, v12, vcc_lo
	v_add_co_u32 v5, vcc_lo, 0x100, v5
	v_add_co_ci_u32_e32 v6, vcc_lo, 0, v6, vcc_lo
	global_load_b64 v[11:12], v[11:12], off
	v_add_co_u32 v7, vcc_lo, 0x800, v7
	v_add_co_ci_u32_e32 v8, vcc_lo, 0, v8, vcc_lo
	v_cmp_le_i64_e32 vcc_lo, s[8:9], v[5:6]
	s_or_b32 s1, vcc_lo, s1
	s_waitcnt vmcnt(0)
	v_fma_f64 v[3:4], v[13:14], v[11:12], v[3:4]
	s_and_not1_b32 exec_lo, exec_lo, s1
	s_cbranch_execnz .LBB43_11
; %bb.12:
	s_set_inst_prefetch_distance 0x2
	s_or_b32 exec_lo, exec_lo, s1
.LBB43_13:
	s_delay_alu instid0(SALU_CYCLE_1)
	s_or_b32 exec_lo, exec_lo, s18
	v_lshlrev_b32_e32 v1, 3, v0
	s_mov_b32 s0, exec_lo
	ds_store_b64 v1, v[3:4]
	s_waitcnt lgkmcnt(0)
	s_waitcnt_vscnt null, 0x0
	s_barrier
	buffer_gl0_inv
	v_cmpx_gt_u32_e32 0x80, v0
	s_cbranch_execz .LBB43_15
; %bb.14:
	ds_load_2addr_stride64_b64 v[2:5], v1 offset1:2
	s_waitcnt lgkmcnt(0)
	v_add_f64 v[2:3], v[2:3], v[4:5]
	ds_store_b64 v1, v[2:3]
.LBB43_15:
	s_or_b32 exec_lo, exec_lo, s0
	s_delay_alu instid0(SALU_CYCLE_1)
	s_mov_b32 s0, exec_lo
	s_waitcnt lgkmcnt(0)
	s_barrier
	buffer_gl0_inv
	v_cmpx_gt_u32_e32 64, v0
	s_cbranch_execz .LBB43_17
; %bb.16:
	ds_load_2addr_stride64_b64 v[2:5], v1 offset1:1
	s_waitcnt lgkmcnt(0)
	v_add_f64 v[2:3], v[2:3], v[4:5]
	ds_store_b64 v1, v[2:3]
.LBB43_17:
	s_or_b32 exec_lo, exec_lo, s0
	s_delay_alu instid0(SALU_CYCLE_1)
	s_mov_b32 s0, exec_lo
	s_waitcnt lgkmcnt(0)
	s_barrier
	buffer_gl0_inv
	v_cmpx_gt_u32_e32 32, v0
	s_cbranch_execz .LBB43_19
; %bb.18:
	ds_load_2addr_b64 v[2:5], v1 offset1:32
	s_waitcnt lgkmcnt(0)
	v_add_f64 v[2:3], v[2:3], v[4:5]
	ds_store_b64 v1, v[2:3]
.LBB43_19:
	s_or_b32 exec_lo, exec_lo, s0
	s_delay_alu instid0(SALU_CYCLE_1)
	s_mov_b32 s0, exec_lo
	s_waitcnt lgkmcnt(0)
	s_barrier
	buffer_gl0_inv
	v_cmpx_gt_u32_e32 16, v0
	s_cbranch_execz .LBB43_21
; %bb.20:
	ds_load_2addr_b64 v[2:5], v1 offset1:16
	s_waitcnt lgkmcnt(0)
	v_add_f64 v[2:3], v[2:3], v[4:5]
	ds_store_b64 v1, v[2:3]
.LBB43_21:
	;; [unrolled: 14-line block ×5, first 2 shown]
	s_or_b32 exec_lo, exec_lo, s0
	v_cmp_eq_u32_e32 vcc_lo, 0, v0
	s_waitcnt lgkmcnt(0)
	s_barrier
	buffer_gl0_inv
	s_and_saveexec_b32 s0, vcc_lo
	s_cbranch_execz .LBB43_29
; %bb.28:
	v_mov_b32_e32 v4, 0
	ds_load_b128 v[0:3], v4
	s_waitcnt lgkmcnt(0)
	v_add_f64 v[0:1], v[0:1], v[2:3]
	ds_store_b64 v4, v[0:1]
.LBB43_29:
	s_or_b32 exec_lo, exec_lo, s0
	s_waitcnt lgkmcnt(0)
	s_barrier
	buffer_gl0_inv
	s_and_b32 exec_lo, exec_lo, vcc_lo
	s_cbranch_execz .LBB43_39
; %bb.30:
	s_cmp_eq_u32 s20, 0
	s_cbranch_scc1 .LBB43_36
; %bb.31:
	s_lshl_b64 s[0:1], s[14:15], 2
	v_mov_b32_e32 v0, 0
	s_add_u32 s0, s4, s0
	s_addc_u32 s1, s5, s1
	s_branch .LBB43_33
.LBB43_32:                              ;   in Loop: Header=BB43_33 Depth=1
	s_or_b32 exec_lo, exec_lo, s4
	s_waitcnt vmcnt(0)
	v_readfirstlane_b32 s4, v1
	s_delay_alu instid0(VALU_DEP_1)
	s_cmp_eq_u32 s4, s17
	s_cbranch_scc0 .LBB43_35
.LBB43_33:                              ; =>This Inner Loop Header: Depth=1
	v_mbcnt_lo_u32_b32 v1, exec_lo, 0
	s_delay_alu instid0(VALU_DEP_1)
	v_cmp_eq_u32_e32 vcc_lo, 0, v1
                                        ; implicit-def: $vgpr1
	s_and_saveexec_b32 s4, vcc_lo
	s_cbranch_execz .LBB43_32
; %bb.34:                               ;   in Loop: Header=BB43_33 Depth=1
	global_load_b32 v1, v0, s[0:1] glc
	s_branch .LBB43_32
.LBB43_35:
	v_mov_b32_e32 v0, 0
	global_load_b32 v1, v0, s[12:13]
	s_waitcnt vmcnt(0)
	v_xor_b32_e32 v1, 1, v1
	global_store_b32 v0, v1, s[12:13]
.LBB43_36:
	s_mov_b32 s4, exec_lo
	s_delay_alu instid0(SALU_CYCLE_1) | instskip(NEXT) | instid1(VALU_DEP_1)
	v_mbcnt_lo_u32_b32 v0, s4, 0
	v_cmp_eq_u32_e32 vcc_lo, 0, v0
	s_and_b32 s0, exec_lo, vcc_lo
	s_delay_alu instid0(SALU_CYCLE_1)
	s_mov_b32 exec_lo, s0
	s_cbranch_execz .LBB43_39
; %bb.37:
	v_mov_b32_e32 v6, 0
	s_add_u32 s0, s6, s2
	s_addc_u32 s1, s7, s3
	s_bcnt1_i32_b32 s2, s4
	s_delay_alu instid0(SALU_CYCLE_1)
	v_cvt_f64_u32_e32 v[0:1], s2
	global_load_b64 v[2:3], v6, s[0:1]
	ds_load_b64 v[4:5], v6
	s_mov_b32 s2, 0
	s_waitcnt lgkmcnt(0)
	v_mul_f64 v[4:5], v[4:5], v[0:1]
.LBB43_38:                              ; =>This Inner Loop Header: Depth=1
	s_waitcnt vmcnt(0)
	s_delay_alu instid0(VALU_DEP_1)
	v_add_f64 v[0:1], v[2:3], v[4:5]
	global_atomic_cmpswap_b64 v[0:1], v6, v[0:3], s[0:1] glc
	s_waitcnt vmcnt(0)
	v_cmp_eq_u64_e32 vcc_lo, v[0:1], v[2:3]
	v_dual_mov_b32 v3, v1 :: v_dual_mov_b32 v2, v0
	s_or_b32 s2, vcc_lo, s2
	s_delay_alu instid0(SALU_CYCLE_1)
	s_and_not1_b32 exec_lo, exec_lo, s2
	s_cbranch_execnz .LBB43_38
.LBB43_39:
	s_nop 0
	s_sendmsg sendmsg(MSG_DEALLOC_VGPRS)
	s_endpgm
	.section	.rodata,"a",@progbits
	.p2align	6, 0x0
	.amdhsa_kernel _ZN9rocsparseL27csrmvn_lrb_long_rows_kernelIllddddEEvbT_PjPT0_S4_jNS_24const_host_device_scalarIT4_EEPKS1_PKS3_PKT1_PKT2_S7_PT3_21rocsparse_index_base_b
		.amdhsa_group_segment_fixed_size 2048
		.amdhsa_private_segment_fixed_size 0
		.amdhsa_kernarg_size 112
		.amdhsa_user_sgpr_count 15
		.amdhsa_user_sgpr_dispatch_ptr 0
		.amdhsa_user_sgpr_queue_ptr 0
		.amdhsa_user_sgpr_kernarg_segment_ptr 1
		.amdhsa_user_sgpr_dispatch_id 0
		.amdhsa_user_sgpr_private_segment_size 0
		.amdhsa_wavefront_size32 1
		.amdhsa_uses_dynamic_stack 0
		.amdhsa_enable_private_segment 0
		.amdhsa_system_sgpr_workgroup_id_x 1
		.amdhsa_system_sgpr_workgroup_id_y 0
		.amdhsa_system_sgpr_workgroup_id_z 0
		.amdhsa_system_sgpr_workgroup_info 0
		.amdhsa_system_vgpr_workitem_id 0
		.amdhsa_next_free_vgpr 15
		.amdhsa_next_free_sgpr 28
		.amdhsa_reserve_vcc 1
		.amdhsa_float_round_mode_32 0
		.amdhsa_float_round_mode_16_64 0
		.amdhsa_float_denorm_mode_32 3
		.amdhsa_float_denorm_mode_16_64 3
		.amdhsa_dx10_clamp 1
		.amdhsa_ieee_mode 1
		.amdhsa_fp16_overflow 0
		.amdhsa_workgroup_processor_mode 1
		.amdhsa_memory_ordered 1
		.amdhsa_forward_progress 0
		.amdhsa_shared_vgpr_count 0
		.amdhsa_exception_fp_ieee_invalid_op 0
		.amdhsa_exception_fp_denorm_src 0
		.amdhsa_exception_fp_ieee_div_zero 0
		.amdhsa_exception_fp_ieee_overflow 0
		.amdhsa_exception_fp_ieee_underflow 0
		.amdhsa_exception_fp_ieee_inexact 0
		.amdhsa_exception_int_div_zero 0
	.end_amdhsa_kernel
	.section	.text._ZN9rocsparseL27csrmvn_lrb_long_rows_kernelIllddddEEvbT_PjPT0_S4_jNS_24const_host_device_scalarIT4_EEPKS1_PKS3_PKT1_PKT2_S7_PT3_21rocsparse_index_base_b,"axG",@progbits,_ZN9rocsparseL27csrmvn_lrb_long_rows_kernelIllddddEEvbT_PjPT0_S4_jNS_24const_host_device_scalarIT4_EEPKS1_PKS3_PKT1_PKT2_S7_PT3_21rocsparse_index_base_b,comdat
.Lfunc_end43:
	.size	_ZN9rocsparseL27csrmvn_lrb_long_rows_kernelIllddddEEvbT_PjPT0_S4_jNS_24const_host_device_scalarIT4_EEPKS1_PKS3_PKT1_PKT2_S7_PT3_21rocsparse_index_base_b, .Lfunc_end43-_ZN9rocsparseL27csrmvn_lrb_long_rows_kernelIllddddEEvbT_PjPT0_S4_jNS_24const_host_device_scalarIT4_EEPKS1_PKS3_PKT1_PKT2_S7_PT3_21rocsparse_index_base_b
                                        ; -- End function
	.section	.AMDGPU.csdata,"",@progbits
; Kernel info:
; codeLenInByte = 1800
; NumSgprs: 30
; NumVgprs: 15
; ScratchSize: 0
; MemoryBound: 0
; FloatMode: 240
; IeeeMode: 1
; LDSByteSize: 2048 bytes/workgroup (compile time only)
; SGPRBlocks: 3
; VGPRBlocks: 1
; NumSGPRsForWavesPerEU: 30
; NumVGPRsForWavesPerEU: 15
; Occupancy: 16
; WaveLimiterHint : 1
; COMPUTE_PGM_RSRC2:SCRATCH_EN: 0
; COMPUTE_PGM_RSRC2:USER_SGPR: 15
; COMPUTE_PGM_RSRC2:TRAP_HANDLER: 0
; COMPUTE_PGM_RSRC2:TGID_X_EN: 1
; COMPUTE_PGM_RSRC2:TGID_Y_EN: 0
; COMPUTE_PGM_RSRC2:TGID_Z_EN: 0
; COMPUTE_PGM_RSRC2:TIDIG_COMP_CNT: 0
	.section	.text._ZN9rocsparseL28csrmvn_lrb_short_rows_kernelIii21rocsparse_complex_numIfES2_S2_S2_EEvbT_PT0_S5_jNS_24const_host_device_scalarIT4_EEPKS3_PKS4_PKT1_PKT2_S8_PT3_21rocsparse_index_base_b,"axG",@progbits,_ZN9rocsparseL28csrmvn_lrb_short_rows_kernelIii21rocsparse_complex_numIfES2_S2_S2_EEvbT_PT0_S5_jNS_24const_host_device_scalarIT4_EEPKS3_PKS4_PKT1_PKT2_S8_PT3_21rocsparse_index_base_b,comdat
	.globl	_ZN9rocsparseL28csrmvn_lrb_short_rows_kernelIii21rocsparse_complex_numIfES2_S2_S2_EEvbT_PT0_S5_jNS_24const_host_device_scalarIT4_EEPKS3_PKS4_PKT1_PKT2_S8_PT3_21rocsparse_index_base_b ; -- Begin function _ZN9rocsparseL28csrmvn_lrb_short_rows_kernelIii21rocsparse_complex_numIfES2_S2_S2_EEvbT_PT0_S5_jNS_24const_host_device_scalarIT4_EEPKS3_PKS4_PKT1_PKT2_S8_PT3_21rocsparse_index_base_b
	.p2align	8
	.type	_ZN9rocsparseL28csrmvn_lrb_short_rows_kernelIii21rocsparse_complex_numIfES2_S2_S2_EEvbT_PT0_S5_jNS_24const_host_device_scalarIT4_EEPKS3_PKS4_PKT1_PKT2_S8_PT3_21rocsparse_index_base_b,@function
_ZN9rocsparseL28csrmvn_lrb_short_rows_kernelIii21rocsparse_complex_numIfES2_S2_S2_EEvbT_PT0_S5_jNS_24const_host_device_scalarIT4_EEPKS3_PKS4_PKT1_PKT2_S8_PT3_21rocsparse_index_base_b: ; @_ZN9rocsparseL28csrmvn_lrb_short_rows_kernelIii21rocsparse_complex_numIfES2_S2_S2_EEvbT_PT0_S5_jNS_24const_host_device_scalarIT4_EEPKS3_PKS4_PKT1_PKT2_S8_PT3_21rocsparse_index_base_b
; %bb.0:
	s_clause 0x2
	s_load_b64 s[12:13], s[0:1], 0x58
	s_load_b64 s[4:5], s[0:1], 0x20
	;; [unrolled: 1-line block ×3, first 2 shown]
	s_waitcnt lgkmcnt(0)
	s_bitcmp1_b32 s13, 0
	v_mov_b32_e32 v7, s4
	s_cselect_b32 s6, -1, 0
	s_delay_alu instid0(SALU_CYCLE_1)
	s_and_b32 vcc_lo, exec_lo, s6
	s_xor_b32 s6, s6, -1
	s_cbranch_vccz .LBB44_16
; %bb.1:
	v_cndmask_b32_e64 v1, 0, 1, s6
	v_mov_b32_e32 v8, s5
	s_and_not1_b32 vcc_lo, exec_lo, s6
	s_cbranch_vccz .LBB44_17
.LBB44_2:
	s_delay_alu instid0(VALU_DEP_2)
	v_cmp_ne_u32_e32 vcc_lo, 1, v1
	v_mov_b32_e32 v5, s2
	s_cbranch_vccz .LBB44_18
.LBB44_3:
	v_cmp_ne_u32_e32 vcc_lo, 1, v1
	v_mov_b32_e32 v6, s3
	s_cbranch_vccnz .LBB44_5
.LBB44_4:
	v_dual_mov_b32 v1, s2 :: v_dual_mov_b32 v2, s3
	flat_load_b32 v6, v[1:2] offset:4
.LBB44_5:
	s_waitcnt vmcnt(0) lgkmcnt(0)
	v_cmp_eq_f32_e32 vcc_lo, 0, v7
	v_cmp_eq_f32_e64 s2, 0, v8
	s_delay_alu instid0(VALU_DEP_1)
	s_and_b32 s4, vcc_lo, s2
	s_mov_b32 s2, -1
	s_and_saveexec_b32 s3, s4
; %bb.6:
	v_cmp_neq_f32_e32 vcc_lo, 1.0, v5
	v_cmp_neq_f32_e64 s2, 0, v6
	s_delay_alu instid0(VALU_DEP_1) | instskip(NEXT) | instid1(SALU_CYCLE_1)
	s_or_b32 s2, vcc_lo, s2
	s_or_not1_b32 s2, s2, exec_lo
; %bb.7:
	s_or_b32 exec_lo, exec_lo, s3
	s_and_saveexec_b32 s3, s2
	s_cbranch_execz .LBB44_25
; %bb.8:
	s_clause 0x1
	s_load_b32 s2, s[0:1], 0x18
	s_load_b128 s[16:19], s[0:1], 0x8
	s_mov_b32 s3, 0
	s_delay_alu instid0(SALU_CYCLE_1) | instskip(SKIP_2) | instid1(SALU_CYCLE_1)
	s_mov_b32 s7, s3
	s_waitcnt lgkmcnt(0)
	s_lshl_b64 s[4:5], s[2:3], 2
	s_add_u32 s4, s18, s4
	s_addc_u32 s5, s19, s5
	s_add_i32 s6, s2, 1
	s_delay_alu instid0(SALU_CYCLE_1) | instskip(NEXT) | instid1(SALU_CYCLE_1)
	s_lshl_b64 s[6:7], s[6:7], 2
	s_add_u32 s6, s18, s6
	s_addc_u32 s7, s19, s7
	s_clause 0x1
	s_load_b32 s13, s[4:5], 0x0
	s_load_b32 s4, s[6:7], 0x0
	s_lshl_b32 s14, s15, 8
	s_delay_alu instid0(SALU_CYCLE_1) | instskip(SKIP_2) | instid1(SALU_CYCLE_1)
	s_add_i32 s5, s14, 0x100
	s_waitcnt lgkmcnt(0)
	s_sub_i32 s4, s4, s13
	s_min_u32 s15, s4, s5
	s_cmp_gt_u32 s2, 23
	s_cbranch_scc1 .LBB44_19
; %bb.9:
	s_clause 0x1
	s_load_b32 s19, s[0:1], 0x0
	s_load_b256 s[4:11], s[0:1], 0x28
	v_bfe_u32 v9, v0, 0, s2
	s_lshl_b32 s18, 0x100, s2
	v_lshl_add_u32 v11, v0, 3, 0
	v_mov_b32_e32 v2, 0
	s_delay_alu instid0(VALU_DEP_3)
	v_subrev_nc_u32_e32 v10, s12, v9
	s_waitcnt lgkmcnt(0)
	s_bitcmp1_b32 s19, 0
	s_cselect_b32 s19, -1, 0
	s_branch .LBB44_11
.LBB44_10:                              ;   in Loop: Header=BB44_11 Depth=1
	s_or_b32 exec_lo, exec_lo, s20
	v_add_nc_u32_e32 v11, 0x800, v11
	s_addk_i32 s3, 0x100
	s_delay_alu instid0(SALU_CYCLE_1)
	s_cmp_ge_u32 s3, s18
	s_cbranch_scc1 .LBB44_19
.LBB44_11:                              ; =>This Inner Loop Header: Depth=1
	v_add_nc_u32_e32 v1, s3, v0
	s_mov_b32 s20, exec_lo
	s_delay_alu instid0(VALU_DEP_1) | instskip(NEXT) | instid1(VALU_DEP_1)
	v_lshrrev_b32_e32 v1, s2, v1
	v_add_nc_u32_e32 v1, s14, v1
	s_delay_alu instid0(VALU_DEP_1)
	v_cmpx_gt_u32_e64 s15, v1
	s_cbranch_execz .LBB44_10
; %bb.12:                               ;   in Loop: Header=BB44_11 Depth=1
	v_add_nc_u32_e32 v1, s13, v1
	s_mov_b32 s21, exec_lo
	s_delay_alu instid0(VALU_DEP_1) | instskip(NEXT) | instid1(VALU_DEP_1)
	v_lshlrev_b64 v[3:4], 2, v[1:2]
	v_add_co_u32 v3, vcc_lo, s16, v3
	s_delay_alu instid0(VALU_DEP_2) | instskip(SKIP_3) | instid1(VALU_DEP_1)
	v_add_co_ci_u32_e32 v4, vcc_lo, s17, v4, vcc_lo
	global_load_b32 v3, v[3:4], off
	s_waitcnt vmcnt(0)
	v_ashrrev_i32_e32 v4, 31, v3
	v_lshlrev_b64 v[3:4], 2, v[3:4]
	s_delay_alu instid0(VALU_DEP_1) | instskip(NEXT) | instid1(VALU_DEP_2)
	v_add_co_u32 v3, vcc_lo, s4, v3
	v_add_co_ci_u32_e32 v4, vcc_lo, s5, v4, vcc_lo
	global_load_b64 v[3:4], v[3:4], off
	s_waitcnt vmcnt(0)
	v_sub_nc_u32_e32 v1, v4, v3
	s_delay_alu instid0(VALU_DEP_1)
	v_cmpx_ge_u32_e64 v9, v1
	s_xor_b32 s21, exec_lo, s21
	s_cbranch_execz .LBB44_14
; %bb.13:                               ;   in Loop: Header=BB44_11 Depth=1
	ds_store_2addr_b32 v11, v2, v2 offset1:1
                                        ; implicit-def: $vgpr3_vgpr4
.LBB44_14:                              ;   in Loop: Header=BB44_11 Depth=1
	s_and_not1_saveexec_b32 s21, s21
	s_cbranch_execz .LBB44_10
; %bb.15:                               ;   in Loop: Header=BB44_11 Depth=1
	v_add_nc_u32_e32 v1, v10, v3
	s_delay_alu instid0(VALU_DEP_1) | instskip(NEXT) | instid1(VALU_DEP_1)
	v_lshlrev_b64 v[3:4], 2, v[1:2]
	v_add_co_u32 v3, vcc_lo, s6, v3
	s_delay_alu instid0(VALU_DEP_2) | instskip(SKIP_2) | instid1(VALU_DEP_1)
	v_add_co_ci_u32_e32 v4, vcc_lo, s7, v4, vcc_lo
	global_load_b32 v12, v[3:4], off
	v_lshlrev_b64 v[3:4], 3, v[1:2]
	v_add_co_u32 v3, vcc_lo, s8, v3
	s_delay_alu instid0(VALU_DEP_2) | instskip(SKIP_3) | instid1(VALU_DEP_1)
	v_add_co_ci_u32_e32 v4, vcc_lo, s9, v4, vcc_lo
	global_load_b64 v[3:4], v[3:4], off
	s_waitcnt vmcnt(1)
	v_subrev_nc_u32_e32 v12, s12, v12
	v_ashrrev_i32_e32 v13, 31, v12
	s_delay_alu instid0(VALU_DEP_1) | instskip(SKIP_2) | instid1(VALU_DEP_2)
	v_lshlrev_b64 v[12:13], 3, v[12:13]
	s_waitcnt vmcnt(0)
	v_cndmask_b32_e64 v1, v4, -v4, s19
	v_add_co_u32 v12, vcc_lo, s10, v12
	s_delay_alu instid0(VALU_DEP_3) | instskip(NEXT) | instid1(VALU_DEP_3)
	v_add_co_ci_u32_e32 v13, vcc_lo, s11, v13, vcc_lo
	v_mul_f32_e32 v4, v1, v7
	v_mul_f32_e64 v1, v1, -v8
	global_load_b64 v[12:13], v[12:13], off
	v_fmac_f32_e32 v1, v7, v3
	v_fmac_f32_e32 v4, v8, v3
	s_waitcnt vmcnt(0)
	s_delay_alu instid0(VALU_DEP_1) | instskip(NEXT) | instid1(VALU_DEP_3)
	v_mul_f32_e64 v3, v13, -v4
	v_mul_f32_e32 v13, v13, v1
	s_delay_alu instid0(VALU_DEP_2) | instskip(NEXT) | instid1(VALU_DEP_2)
	v_fmac_f32_e32 v3, v1, v12
	v_fmac_f32_e32 v13, v4, v12
	ds_store_2addr_b32 v11, v3, v13 offset1:1
	s_branch .LBB44_10
.LBB44_16:
	v_dual_mov_b32 v1, s4 :: v_dual_mov_b32 v2, s5
	flat_load_b32 v7, v[1:2]
	v_cndmask_b32_e64 v1, 0, 1, s6
	v_mov_b32_e32 v8, s5
	s_and_not1_b32 vcc_lo, exec_lo, s6
	s_cbranch_vccnz .LBB44_2
.LBB44_17:
	v_dual_mov_b32 v2, s4 :: v_dual_mov_b32 v3, s5
	flat_load_b32 v8, v[2:3] offset:4
	v_cmp_ne_u32_e32 vcc_lo, 1, v1
	v_mov_b32_e32 v5, s2
	s_cbranch_vccnz .LBB44_3
.LBB44_18:
	v_dual_mov_b32 v2, s2 :: v_dual_mov_b32 v3, s3
	flat_load_b32 v5, v[2:3]
	v_cmp_ne_u32_e32 vcc_lo, 1, v1
	v_mov_b32_e32 v6, s3
	s_cbranch_vccz .LBB44_4
	s_branch .LBB44_5
.LBB44_19:
	s_sub_i32 s3, s15, s14
	s_waitcnt lgkmcnt(0)
	v_cmp_gt_u32_e32 vcc_lo, s3, v0
	s_barrier
	buffer_gl0_inv
	s_and_b32 exec_lo, exec_lo, vcc_lo
	s_cbranch_execz .LBB44_25
; %bb.20:
	v_add3_u32 v1, s13, s14, v0
	v_mov_b32_e32 v2, 0
	s_load_b64 s[4:5], s[0:1], 0x50
	v_lshlrev_b32_e32 v0, s2, v0
	s_mov_b32 s0, 1
	s_delay_alu instid0(VALU_DEP_2) | instskip(SKIP_1) | instid1(VALU_DEP_3)
	v_lshlrev_b64 v[3:4], 2, v[1:2]
	v_mov_b32_e32 v1, v2
	v_lshl_add_u32 v0, v0, 3, 0
	s_delay_alu instid0(VALU_DEP_3) | instskip(NEXT) | instid1(VALU_DEP_4)
	v_add_co_u32 v3, vcc_lo, s16, v3
	v_add_co_ci_u32_e32 v4, vcc_lo, s17, v4, vcc_lo
	global_load_b32 v3, v[3:4], off
.LBB44_21:                              ; =>This Inner Loop Header: Depth=1
	ds_load_2addr_b32 v[7:8], v0 offset1:1
	v_add_nc_u32_e32 v0, 8, v0
	s_lshr_b32 s1, s0, s2
	s_add_i32 s0, s0, 1
	s_cmp_lg_u32 s1, 0
	s_waitcnt lgkmcnt(0)
	v_dual_add_f32 v1, v1, v7 :: v_dual_add_f32 v2, v2, v8
	s_cbranch_scc0 .LBB44_21
; %bb.22:
	s_waitcnt vmcnt(0)
	v_ashrrev_i32_e32 v4, 31, v3
	v_cmp_neq_f32_e32 vcc_lo, 0, v5
	v_cmp_neq_f32_e64 s0, 0, v6
	s_delay_alu instid0(VALU_DEP_3) | instskip(NEXT) | instid1(VALU_DEP_2)
	v_lshlrev_b64 v[3:4], 3, v[3:4]
	s_or_b32 s1, vcc_lo, s0
	s_delay_alu instid0(SALU_CYCLE_1)
	s_and_saveexec_b32 s0, s1
	s_cbranch_execz .LBB44_24
; %bb.23:
	s_delay_alu instid0(VALU_DEP_1) | instskip(NEXT) | instid1(VALU_DEP_2)
	v_add_co_u32 v7, vcc_lo, s4, v3
	v_add_co_ci_u32_e32 v8, vcc_lo, s5, v4, vcc_lo
	global_load_b64 v[7:8], v[7:8], off
	s_waitcnt vmcnt(0)
	v_fmac_f32_e32 v1, v5, v7
	v_fmac_f32_e32 v2, v6, v7
	s_delay_alu instid0(VALU_DEP_2) | instskip(NEXT) | instid1(VALU_DEP_2)
	v_fma_f32 v1, -v6, v8, v1
	v_fmac_f32_e32 v2, v5, v8
.LBB44_24:
	s_or_b32 exec_lo, exec_lo, s0
	s_delay_alu instid0(VALU_DEP_1)
	v_add_co_u32 v3, vcc_lo, s4, v3
	v_add_co_ci_u32_e32 v4, vcc_lo, s5, v4, vcc_lo
	global_store_b64 v[3:4], v[1:2], off
.LBB44_25:
	s_nop 0
	s_sendmsg sendmsg(MSG_DEALLOC_VGPRS)
	s_endpgm
	.section	.rodata,"a",@progbits
	.p2align	6, 0x0
	.amdhsa_kernel _ZN9rocsparseL28csrmvn_lrb_short_rows_kernelIii21rocsparse_complex_numIfES2_S2_S2_EEvbT_PT0_S5_jNS_24const_host_device_scalarIT4_EEPKS3_PKS4_PKT1_PKT2_S8_PT3_21rocsparse_index_base_b
		.amdhsa_group_segment_fixed_size 0
		.amdhsa_private_segment_fixed_size 0
		.amdhsa_kernarg_size 96
		.amdhsa_user_sgpr_count 15
		.amdhsa_user_sgpr_dispatch_ptr 0
		.amdhsa_user_sgpr_queue_ptr 0
		.amdhsa_user_sgpr_kernarg_segment_ptr 1
		.amdhsa_user_sgpr_dispatch_id 0
		.amdhsa_user_sgpr_private_segment_size 0
		.amdhsa_wavefront_size32 1
		.amdhsa_uses_dynamic_stack 0
		.amdhsa_enable_private_segment 0
		.amdhsa_system_sgpr_workgroup_id_x 1
		.amdhsa_system_sgpr_workgroup_id_y 0
		.amdhsa_system_sgpr_workgroup_id_z 0
		.amdhsa_system_sgpr_workgroup_info 0
		.amdhsa_system_vgpr_workitem_id 0
		.amdhsa_next_free_vgpr 14
		.amdhsa_next_free_sgpr 22
		.amdhsa_reserve_vcc 1
		.amdhsa_float_round_mode_32 0
		.amdhsa_float_round_mode_16_64 0
		.amdhsa_float_denorm_mode_32 3
		.amdhsa_float_denorm_mode_16_64 3
		.amdhsa_dx10_clamp 1
		.amdhsa_ieee_mode 1
		.amdhsa_fp16_overflow 0
		.amdhsa_workgroup_processor_mode 1
		.amdhsa_memory_ordered 1
		.amdhsa_forward_progress 0
		.amdhsa_shared_vgpr_count 0
		.amdhsa_exception_fp_ieee_invalid_op 0
		.amdhsa_exception_fp_denorm_src 0
		.amdhsa_exception_fp_ieee_div_zero 0
		.amdhsa_exception_fp_ieee_overflow 0
		.amdhsa_exception_fp_ieee_underflow 0
		.amdhsa_exception_fp_ieee_inexact 0
		.amdhsa_exception_int_div_zero 0
	.end_amdhsa_kernel
	.section	.text._ZN9rocsparseL28csrmvn_lrb_short_rows_kernelIii21rocsparse_complex_numIfES2_S2_S2_EEvbT_PT0_S5_jNS_24const_host_device_scalarIT4_EEPKS3_PKS4_PKT1_PKT2_S8_PT3_21rocsparse_index_base_b,"axG",@progbits,_ZN9rocsparseL28csrmvn_lrb_short_rows_kernelIii21rocsparse_complex_numIfES2_S2_S2_EEvbT_PT0_S5_jNS_24const_host_device_scalarIT4_EEPKS3_PKS4_PKT1_PKT2_S8_PT3_21rocsparse_index_base_b,comdat
.Lfunc_end44:
	.size	_ZN9rocsparseL28csrmvn_lrb_short_rows_kernelIii21rocsparse_complex_numIfES2_S2_S2_EEvbT_PT0_S5_jNS_24const_host_device_scalarIT4_EEPKS3_PKS4_PKT1_PKT2_S8_PT3_21rocsparse_index_base_b, .Lfunc_end44-_ZN9rocsparseL28csrmvn_lrb_short_rows_kernelIii21rocsparse_complex_numIfES2_S2_S2_EEvbT_PT0_S5_jNS_24const_host_device_scalarIT4_EEPKS3_PKS4_PKT1_PKT2_S8_PT3_21rocsparse_index_base_b
                                        ; -- End function
	.section	.AMDGPU.csdata,"",@progbits
; Kernel info:
; codeLenInByte = 1160
; NumSgprs: 24
; NumVgprs: 14
; ScratchSize: 0
; MemoryBound: 0
; FloatMode: 240
; IeeeMode: 1
; LDSByteSize: 0 bytes/workgroup (compile time only)
; SGPRBlocks: 2
; VGPRBlocks: 1
; NumSGPRsForWavesPerEU: 24
; NumVGPRsForWavesPerEU: 14
; Occupancy: 16
; WaveLimiterHint : 1
; COMPUTE_PGM_RSRC2:SCRATCH_EN: 0
; COMPUTE_PGM_RSRC2:USER_SGPR: 15
; COMPUTE_PGM_RSRC2:TRAP_HANDLER: 0
; COMPUTE_PGM_RSRC2:TGID_X_EN: 1
; COMPUTE_PGM_RSRC2:TGID_Y_EN: 0
; COMPUTE_PGM_RSRC2:TGID_Z_EN: 0
; COMPUTE_PGM_RSRC2:TIDIG_COMP_CNT: 0
	.section	.text._ZN9rocsparseL30csrmvn_lrb_short_rows_2_kernelIii21rocsparse_complex_numIfES2_S2_S2_EEvbT_PT0_S5_jNS_24const_host_device_scalarIT4_EEPKS3_PKS4_PKT1_PKT2_S8_PT3_21rocsparse_index_base_b,"axG",@progbits,_ZN9rocsparseL30csrmvn_lrb_short_rows_2_kernelIii21rocsparse_complex_numIfES2_S2_S2_EEvbT_PT0_S5_jNS_24const_host_device_scalarIT4_EEPKS3_PKS4_PKT1_PKT2_S8_PT3_21rocsparse_index_base_b,comdat
	.globl	_ZN9rocsparseL30csrmvn_lrb_short_rows_2_kernelIii21rocsparse_complex_numIfES2_S2_S2_EEvbT_PT0_S5_jNS_24const_host_device_scalarIT4_EEPKS3_PKS4_PKT1_PKT2_S8_PT3_21rocsparse_index_base_b ; -- Begin function _ZN9rocsparseL30csrmvn_lrb_short_rows_2_kernelIii21rocsparse_complex_numIfES2_S2_S2_EEvbT_PT0_S5_jNS_24const_host_device_scalarIT4_EEPKS3_PKS4_PKT1_PKT2_S8_PT3_21rocsparse_index_base_b
	.p2align	8
	.type	_ZN9rocsparseL30csrmvn_lrb_short_rows_2_kernelIii21rocsparse_complex_numIfES2_S2_S2_EEvbT_PT0_S5_jNS_24const_host_device_scalarIT4_EEPKS3_PKS4_PKT1_PKT2_S8_PT3_21rocsparse_index_base_b,@function
_ZN9rocsparseL30csrmvn_lrb_short_rows_2_kernelIii21rocsparse_complex_numIfES2_S2_S2_EEvbT_PT0_S5_jNS_24const_host_device_scalarIT4_EEPKS3_PKS4_PKT1_PKT2_S8_PT3_21rocsparse_index_base_b: ; @_ZN9rocsparseL30csrmvn_lrb_short_rows_2_kernelIii21rocsparse_complex_numIfES2_S2_S2_EEvbT_PT0_S5_jNS_24const_host_device_scalarIT4_EEPKS3_PKS4_PKT1_PKT2_S8_PT3_21rocsparse_index_base_b
; %bb.0:
	s_clause 0x2
	s_load_b64 s[12:13], s[0:1], 0x58
	s_load_b64 s[4:5], s[0:1], 0x20
	;; [unrolled: 1-line block ×3, first 2 shown]
	s_waitcnt lgkmcnt(0)
	s_bitcmp1_b32 s13, 0
	v_mov_b32_e32 v5, s4
	s_cselect_b32 s6, -1, 0
	s_delay_alu instid0(SALU_CYCLE_1)
	s_and_b32 vcc_lo, exec_lo, s6
	s_xor_b32 s6, s6, -1
	s_cbranch_vccz .LBB45_38
; %bb.1:
	v_cndmask_b32_e64 v1, 0, 1, s6
	v_mov_b32_e32 v6, s5
	s_and_not1_b32 vcc_lo, exec_lo, s6
	s_cbranch_vccz .LBB45_39
.LBB45_2:
	s_delay_alu instid0(VALU_DEP_2)
	v_cmp_ne_u32_e32 vcc_lo, 1, v1
	v_mov_b32_e32 v7, s2
	s_cbranch_vccz .LBB45_40
.LBB45_3:
	v_cmp_ne_u32_e32 vcc_lo, 1, v1
	v_mov_b32_e32 v8, s3
	s_cbranch_vccnz .LBB45_5
.LBB45_4:
	v_dual_mov_b32 v1, s2 :: v_dual_mov_b32 v2, s3
	flat_load_b32 v8, v[1:2] offset:4
.LBB45_5:
	s_waitcnt vmcnt(0) lgkmcnt(0)
	v_cmp_eq_f32_e32 vcc_lo, 0, v5
	v_cmp_eq_f32_e64 s2, 0, v6
	s_delay_alu instid0(VALU_DEP_1)
	s_and_b32 s4, vcc_lo, s2
	s_mov_b32 s2, -1
	s_and_saveexec_b32 s3, s4
; %bb.6:
	v_cmp_neq_f32_e32 vcc_lo, 1.0, v7
	v_cmp_neq_f32_e64 s2, 0, v8
	s_delay_alu instid0(VALU_DEP_1) | instskip(NEXT) | instid1(SALU_CYCLE_1)
	s_or_b32 s2, vcc_lo, s2
	s_or_not1_b32 s2, s2, exec_lo
; %bb.7:
	s_or_b32 exec_lo, exec_lo, s3
	s_and_saveexec_b32 s3, s2
	s_cbranch_execz .LBB45_37
; %bb.8:
	s_clause 0x2
	s_load_b32 s2, s[0:1], 0x18
	s_load_b32 s3, s[0:1], 0x0
	s_load_b128 s[16:19], s[0:1], 0x8
	s_waitcnt lgkmcnt(0)
	v_lshrrev_b32_e32 v1, s2, v0
	s_bitcmp1_b32 s3, 0
	s_mov_b32 s3, 0
	s_cselect_b32 s20, -1, 0
	s_lshl_b64 s[4:5], s[2:3], 2
	s_mov_b32 s7, s3
	s_add_u32 s4, s18, s4
	s_addc_u32 s5, s19, s5
	s_add_i32 s6, s2, 1
	v_bfe_u32 v10, v0, 0, s2
	s_lshl_b64 s[6:7], s[6:7], 2
	s_delay_alu instid0(SALU_CYCLE_1)
	s_add_u32 s6, s18, s6
	s_addc_u32 s7, s19, s7
	s_clause 0x1
	s_load_b32 s13, s[4:5], 0x0
	s_load_b32 s18, s[6:7], 0x0
	s_load_b256 s[4:11], s[0:1], 0x28
	s_lshr_b32 s3, 0x400, s2
	v_subrev_nc_u32_e32 v9, s12, v10
	s_mul_i32 s14, s3, s15
	s_delay_alu instid0(SALU_CYCLE_1) | instskip(SKIP_3) | instid1(SALU_CYCLE_1)
	v_add_nc_u32_e32 v1, s14, v1
	s_waitcnt lgkmcnt(0)
	s_sub_i32 s15, s18, s13
	s_add_i32 s18, s14, s3
	s_min_u32 s15, s15, s18
	s_mov_b32 s18, exec_lo
	v_cmpx_gt_u32_e64 s15, v1
	s_cbranch_execz .LBB45_13
; %bb.9:
	v_dual_mov_b32 v2, 0 :: v_dual_add_nc_u32 v1, s13, v1
	s_mov_b32 s19, exec_lo
	s_delay_alu instid0(VALU_DEP_1) | instskip(NEXT) | instid1(VALU_DEP_1)
	v_lshlrev_b64 v[3:4], 2, v[1:2]
	v_add_co_u32 v3, vcc_lo, s16, v3
	s_delay_alu instid0(VALU_DEP_2) | instskip(SKIP_3) | instid1(VALU_DEP_1)
	v_add_co_ci_u32_e32 v4, vcc_lo, s17, v4, vcc_lo
	global_load_b32 v3, v[3:4], off
	s_waitcnt vmcnt(0)
	v_ashrrev_i32_e32 v4, 31, v3
	v_lshlrev_b64 v[3:4], 2, v[3:4]
	s_delay_alu instid0(VALU_DEP_1) | instskip(NEXT) | instid1(VALU_DEP_2)
	v_add_co_u32 v3, vcc_lo, s4, v3
	v_add_co_ci_u32_e32 v4, vcc_lo, s5, v4, vcc_lo
	global_load_b64 v[3:4], v[3:4], off
	s_waitcnt vmcnt(0)
	v_sub_nc_u32_e32 v1, v4, v3
	s_delay_alu instid0(VALU_DEP_1)
	v_cmpx_ge_u32_e64 v10, v1
	s_xor_b32 s19, exec_lo, s19
	s_cbranch_execz .LBB45_11
; %bb.10:
	v_lshlrev_b32_e32 v3, 3, v0
	v_mov_b32_e32 v1, v2
	ds_store_b64 v3, v[1:2]
                                        ; implicit-def: $vgpr3_vgpr4
.LBB45_11:
	s_and_not1_saveexec_b32 s19, s19
	s_cbranch_execz .LBB45_13
; %bb.12:
	v_dual_mov_b32 v2, 0 :: v_dual_add_nc_u32 v1, v3, v9
	s_delay_alu instid0(VALU_DEP_1) | instskip(SKIP_1) | instid1(VALU_DEP_2)
	v_lshlrev_b64 v[3:4], 2, v[1:2]
	v_lshlrev_b64 v[1:2], 3, v[1:2]
	v_add_co_u32 v3, vcc_lo, s6, v3
	s_delay_alu instid0(VALU_DEP_3) | instskip(NEXT) | instid1(VALU_DEP_3)
	v_add_co_ci_u32_e32 v4, vcc_lo, s7, v4, vcc_lo
	v_add_co_u32 v1, vcc_lo, s8, v1
	s_delay_alu instid0(VALU_DEP_4)
	v_add_co_ci_u32_e32 v2, vcc_lo, s9, v2, vcc_lo
	global_load_b32 v3, v[3:4], off
	global_load_b64 v[1:2], v[1:2], off
	s_waitcnt vmcnt(1)
	v_subrev_nc_u32_e32 v3, s12, v3
	s_waitcnt vmcnt(0)
	v_cndmask_b32_e64 v2, v2, -v2, s20
	s_delay_alu instid0(VALU_DEP_2) | instskip(NEXT) | instid1(VALU_DEP_2)
	v_ashrrev_i32_e32 v4, 31, v3
	v_mul_f32_e64 v12, v2, -v6
	s_delay_alu instid0(VALU_DEP_2) | instskip(NEXT) | instid1(VALU_DEP_2)
	v_lshlrev_b64 v[3:4], 3, v[3:4]
	v_fmac_f32_e32 v12, v5, v1
	s_delay_alu instid0(VALU_DEP_2) | instskip(NEXT) | instid1(VALU_DEP_3)
	v_add_co_u32 v3, vcc_lo, s10, v3
	v_add_co_ci_u32_e32 v4, vcc_lo, s11, v4, vcc_lo
	global_load_b64 v[3:4], v[3:4], off
	s_waitcnt vmcnt(0)
	v_dual_mul_f32 v11, v2, v5 :: v_dual_mul_f32 v2, v4, v12
	s_delay_alu instid0(VALU_DEP_1) | instskip(NEXT) | instid1(VALU_DEP_1)
	v_fmac_f32_e32 v11, v6, v1
	v_mul_f32_e64 v1, v4, -v11
	s_delay_alu instid0(VALU_DEP_3) | instskip(NEXT) | instid1(VALU_DEP_2)
	v_fmac_f32_e32 v2, v11, v3
	v_fmac_f32_e32 v1, v12, v3
	v_lshlrev_b32_e32 v3, 3, v0
	ds_store_b64 v3, v[1:2]
.LBB45_13:
	s_or_b32 exec_lo, exec_lo, s18
	v_or_b32_e32 v1, 0x100, v0
	s_mov_b32 s18, exec_lo
	s_delay_alu instid0(VALU_DEP_1) | instskip(NEXT) | instid1(VALU_DEP_1)
	v_lshrrev_b32_e32 v1, s2, v1
	v_add_nc_u32_e32 v1, s14, v1
	s_delay_alu instid0(VALU_DEP_1)
	v_cmpx_gt_u32_e64 s15, v1
	s_cbranch_execz .LBB45_18
; %bb.14:
	v_dual_mov_b32 v2, 0 :: v_dual_add_nc_u32 v1, s13, v1
	s_mov_b32 s19, exec_lo
	s_delay_alu instid0(VALU_DEP_1) | instskip(NEXT) | instid1(VALU_DEP_1)
	v_lshlrev_b64 v[3:4], 2, v[1:2]
	v_add_co_u32 v3, vcc_lo, s16, v3
	s_delay_alu instid0(VALU_DEP_2) | instskip(SKIP_3) | instid1(VALU_DEP_1)
	v_add_co_ci_u32_e32 v4, vcc_lo, s17, v4, vcc_lo
	global_load_b32 v3, v[3:4], off
	s_waitcnt vmcnt(0)
	v_ashrrev_i32_e32 v4, 31, v3
	v_lshlrev_b64 v[3:4], 2, v[3:4]
	s_delay_alu instid0(VALU_DEP_1) | instskip(NEXT) | instid1(VALU_DEP_2)
	v_add_co_u32 v3, vcc_lo, s4, v3
	v_add_co_ci_u32_e32 v4, vcc_lo, s5, v4, vcc_lo
	global_load_b64 v[3:4], v[3:4], off
	s_waitcnt vmcnt(0)
	v_sub_nc_u32_e32 v1, v4, v3
	s_delay_alu instid0(VALU_DEP_1)
	v_cmpx_ge_u32_e64 v10, v1
	s_xor_b32 s19, exec_lo, s19
	s_cbranch_execz .LBB45_16
; %bb.15:
	v_lshlrev_b32_e32 v3, 3, v0
	v_mov_b32_e32 v1, v2
	ds_store_b64 v3, v[1:2] offset:2048
                                        ; implicit-def: $vgpr3_vgpr4
.LBB45_16:
	s_and_not1_saveexec_b32 s19, s19
	s_cbranch_execz .LBB45_18
; %bb.17:
	v_dual_mov_b32 v2, 0 :: v_dual_add_nc_u32 v1, v3, v9
	s_delay_alu instid0(VALU_DEP_1) | instskip(SKIP_1) | instid1(VALU_DEP_2)
	v_lshlrev_b64 v[3:4], 2, v[1:2]
	v_lshlrev_b64 v[1:2], 3, v[1:2]
	v_add_co_u32 v3, vcc_lo, s6, v3
	s_delay_alu instid0(VALU_DEP_3) | instskip(NEXT) | instid1(VALU_DEP_3)
	v_add_co_ci_u32_e32 v4, vcc_lo, s7, v4, vcc_lo
	v_add_co_u32 v1, vcc_lo, s8, v1
	s_delay_alu instid0(VALU_DEP_4)
	v_add_co_ci_u32_e32 v2, vcc_lo, s9, v2, vcc_lo
	global_load_b32 v3, v[3:4], off
	global_load_b64 v[1:2], v[1:2], off
	s_waitcnt vmcnt(1)
	v_subrev_nc_u32_e32 v3, s12, v3
	s_waitcnt vmcnt(0)
	v_cndmask_b32_e64 v2, v2, -v2, s20
	s_delay_alu instid0(VALU_DEP_2) | instskip(NEXT) | instid1(VALU_DEP_2)
	v_ashrrev_i32_e32 v4, 31, v3
	v_mul_f32_e64 v12, v2, -v6
	s_delay_alu instid0(VALU_DEP_2) | instskip(NEXT) | instid1(VALU_DEP_2)
	v_lshlrev_b64 v[3:4], 3, v[3:4]
	v_fmac_f32_e32 v12, v5, v1
	s_delay_alu instid0(VALU_DEP_2) | instskip(NEXT) | instid1(VALU_DEP_3)
	v_add_co_u32 v3, vcc_lo, s10, v3
	v_add_co_ci_u32_e32 v4, vcc_lo, s11, v4, vcc_lo
	global_load_b64 v[3:4], v[3:4], off
	s_waitcnt vmcnt(0)
	v_dual_mul_f32 v11, v2, v5 :: v_dual_mul_f32 v2, v4, v12
	s_delay_alu instid0(VALU_DEP_1) | instskip(NEXT) | instid1(VALU_DEP_1)
	v_fmac_f32_e32 v11, v6, v1
	v_mul_f32_e64 v1, v4, -v11
	s_delay_alu instid0(VALU_DEP_3) | instskip(NEXT) | instid1(VALU_DEP_2)
	v_fmac_f32_e32 v2, v11, v3
	v_fmac_f32_e32 v1, v12, v3
	v_lshlrev_b32_e32 v3, 3, v0
	ds_store_b64 v3, v[1:2] offset:2048
.LBB45_18:
	s_or_b32 exec_lo, exec_lo, s18
	v_or_b32_e32 v1, 0x200, v0
	s_mov_b32 s18, exec_lo
	s_delay_alu instid0(VALU_DEP_1) | instskip(NEXT) | instid1(VALU_DEP_1)
	v_lshrrev_b32_e32 v1, s2, v1
	v_add_nc_u32_e32 v1, s14, v1
	s_delay_alu instid0(VALU_DEP_1)
	v_cmpx_gt_u32_e64 s15, v1
	s_cbranch_execz .LBB45_23
; %bb.19:
	v_dual_mov_b32 v2, 0 :: v_dual_add_nc_u32 v1, s13, v1
	s_mov_b32 s19, exec_lo
	s_delay_alu instid0(VALU_DEP_1) | instskip(NEXT) | instid1(VALU_DEP_1)
	v_lshlrev_b64 v[3:4], 2, v[1:2]
	v_add_co_u32 v3, vcc_lo, s16, v3
	s_delay_alu instid0(VALU_DEP_2) | instskip(SKIP_3) | instid1(VALU_DEP_1)
	v_add_co_ci_u32_e32 v4, vcc_lo, s17, v4, vcc_lo
	global_load_b32 v3, v[3:4], off
	s_waitcnt vmcnt(0)
	v_ashrrev_i32_e32 v4, 31, v3
	v_lshlrev_b64 v[3:4], 2, v[3:4]
	s_delay_alu instid0(VALU_DEP_1) | instskip(NEXT) | instid1(VALU_DEP_2)
	v_add_co_u32 v3, vcc_lo, s4, v3
	v_add_co_ci_u32_e32 v4, vcc_lo, s5, v4, vcc_lo
	global_load_b64 v[3:4], v[3:4], off
	s_waitcnt vmcnt(0)
	v_sub_nc_u32_e32 v1, v4, v3
	s_delay_alu instid0(VALU_DEP_1)
	v_cmpx_ge_u32_e64 v10, v1
	s_xor_b32 s19, exec_lo, s19
	s_cbranch_execz .LBB45_21
; %bb.20:
	v_lshlrev_b32_e32 v3, 3, v0
	v_mov_b32_e32 v1, v2
	ds_store_b64 v3, v[1:2] offset:4096
                                        ; implicit-def: $vgpr3_vgpr4
.LBB45_21:
	s_and_not1_saveexec_b32 s19, s19
	s_cbranch_execz .LBB45_23
; %bb.22:
	v_dual_mov_b32 v2, 0 :: v_dual_add_nc_u32 v1, v3, v9
	s_delay_alu instid0(VALU_DEP_1) | instskip(SKIP_1) | instid1(VALU_DEP_2)
	v_lshlrev_b64 v[3:4], 2, v[1:2]
	v_lshlrev_b64 v[1:2], 3, v[1:2]
	v_add_co_u32 v3, vcc_lo, s6, v3
	s_delay_alu instid0(VALU_DEP_3) | instskip(NEXT) | instid1(VALU_DEP_3)
	v_add_co_ci_u32_e32 v4, vcc_lo, s7, v4, vcc_lo
	v_add_co_u32 v1, vcc_lo, s8, v1
	s_delay_alu instid0(VALU_DEP_4)
	v_add_co_ci_u32_e32 v2, vcc_lo, s9, v2, vcc_lo
	global_load_b32 v3, v[3:4], off
	global_load_b64 v[1:2], v[1:2], off
	s_waitcnt vmcnt(1)
	v_subrev_nc_u32_e32 v3, s12, v3
	s_waitcnt vmcnt(0)
	v_cndmask_b32_e64 v2, v2, -v2, s20
	s_delay_alu instid0(VALU_DEP_2) | instskip(NEXT) | instid1(VALU_DEP_2)
	v_ashrrev_i32_e32 v4, 31, v3
	v_mul_f32_e64 v12, v2, -v6
	s_delay_alu instid0(VALU_DEP_2) | instskip(NEXT) | instid1(VALU_DEP_2)
	v_lshlrev_b64 v[3:4], 3, v[3:4]
	v_fmac_f32_e32 v12, v5, v1
	s_delay_alu instid0(VALU_DEP_2) | instskip(NEXT) | instid1(VALU_DEP_3)
	v_add_co_u32 v3, vcc_lo, s10, v3
	v_add_co_ci_u32_e32 v4, vcc_lo, s11, v4, vcc_lo
	global_load_b64 v[3:4], v[3:4], off
	s_waitcnt vmcnt(0)
	v_dual_mul_f32 v11, v2, v5 :: v_dual_mul_f32 v2, v4, v12
	s_delay_alu instid0(VALU_DEP_1) | instskip(NEXT) | instid1(VALU_DEP_1)
	v_fmac_f32_e32 v11, v6, v1
	v_mul_f32_e64 v1, v4, -v11
	s_delay_alu instid0(VALU_DEP_3) | instskip(NEXT) | instid1(VALU_DEP_2)
	v_fmac_f32_e32 v2, v11, v3
	v_fmac_f32_e32 v1, v12, v3
	v_lshlrev_b32_e32 v3, 3, v0
	ds_store_b64 v3, v[1:2] offset:4096
.LBB45_23:
	s_or_b32 exec_lo, exec_lo, s18
	v_or_b32_e32 v1, 0x300, v0
	s_mov_b32 s18, exec_lo
	s_delay_alu instid0(VALU_DEP_1) | instskip(NEXT) | instid1(VALU_DEP_1)
	v_lshrrev_b32_e32 v1, s2, v1
	v_add_nc_u32_e32 v1, s14, v1
	s_delay_alu instid0(VALU_DEP_1)
	v_cmpx_gt_u32_e64 s15, v1
	s_cbranch_execz .LBB45_28
; %bb.24:
	v_dual_mov_b32 v2, 0 :: v_dual_add_nc_u32 v1, s13, v1
	s_delay_alu instid0(VALU_DEP_1) | instskip(NEXT) | instid1(VALU_DEP_1)
	v_lshlrev_b64 v[3:4], 2, v[1:2]
	v_add_co_u32 v3, vcc_lo, s16, v3
	s_delay_alu instid0(VALU_DEP_2) | instskip(SKIP_3) | instid1(VALU_DEP_1)
	v_add_co_ci_u32_e32 v4, vcc_lo, s17, v4, vcc_lo
	global_load_b32 v3, v[3:4], off
	s_waitcnt vmcnt(0)
	v_ashrrev_i32_e32 v4, 31, v3
	v_lshlrev_b64 v[3:4], 2, v[3:4]
	s_delay_alu instid0(VALU_DEP_1) | instskip(NEXT) | instid1(VALU_DEP_2)
	v_add_co_u32 v3, vcc_lo, s4, v3
	v_add_co_ci_u32_e32 v4, vcc_lo, s5, v4, vcc_lo
	s_mov_b32 s4, exec_lo
	global_load_b64 v[3:4], v[3:4], off
	s_waitcnt vmcnt(0)
	v_sub_nc_u32_e32 v1, v4, v3
	v_lshlrev_b32_e32 v4, 3, v0
	s_delay_alu instid0(VALU_DEP_2)
	v_cmpx_ge_u32_e64 v10, v1
	s_xor_b32 s4, exec_lo, s4
	s_cbranch_execz .LBB45_26
; %bb.25:
	v_mov_b32_e32 v1, v2
                                        ; implicit-def: $vgpr9
                                        ; implicit-def: $vgpr6
                                        ; implicit-def: $vgpr5
	ds_store_b64 v4, v[1:2] offset:6144
                                        ; implicit-def: $vgpr3_vgpr4
                                        ; implicit-def: $vgpr4
.LBB45_26:
	s_and_not1_saveexec_b32 s4, s4
	s_cbranch_execz .LBB45_28
; %bb.27:
	v_dual_mov_b32 v2, 0 :: v_dual_add_nc_u32 v1, v3, v9
	s_delay_alu instid0(VALU_DEP_1) | instskip(SKIP_1) | instid1(VALU_DEP_2)
	v_lshlrev_b64 v[9:10], 2, v[1:2]
	v_lshlrev_b64 v[1:2], 3, v[1:2]
	v_add_co_u32 v9, vcc_lo, s6, v9
	s_delay_alu instid0(VALU_DEP_3) | instskip(NEXT) | instid1(VALU_DEP_3)
	v_add_co_ci_u32_e32 v10, vcc_lo, s7, v10, vcc_lo
	v_add_co_u32 v1, vcc_lo, s8, v1
	s_delay_alu instid0(VALU_DEP_4)
	v_add_co_ci_u32_e32 v2, vcc_lo, s9, v2, vcc_lo
	global_load_b32 v3, v[9:10], off
	global_load_b64 v[1:2], v[1:2], off
	s_waitcnt vmcnt(1)
	v_subrev_nc_u32_e32 v9, s12, v3
	s_waitcnt vmcnt(0)
	v_cndmask_b32_e64 v2, v2, -v2, s20
	s_delay_alu instid0(VALU_DEP_2) | instskip(NEXT) | instid1(VALU_DEP_2)
	v_ashrrev_i32_e32 v10, 31, v9
	v_mul_f32_e32 v3, v2, v5
	v_mul_f32_e64 v11, v2, -v6
	s_delay_alu instid0(VALU_DEP_3) | instskip(NEXT) | instid1(VALU_DEP_3)
	v_lshlrev_b64 v[9:10], 3, v[9:10]
	v_fmac_f32_e32 v3, v6, v1
	s_delay_alu instid0(VALU_DEP_3) | instskip(NEXT) | instid1(VALU_DEP_3)
	v_fmac_f32_e32 v11, v5, v1
	v_add_co_u32 v9, vcc_lo, s10, v9
	s_delay_alu instid0(VALU_DEP_4) | instskip(SKIP_3) | instid1(VALU_DEP_1)
	v_add_co_ci_u32_e32 v10, vcc_lo, s11, v10, vcc_lo
	global_load_b64 v[9:10], v[9:10], off
	s_waitcnt vmcnt(0)
	v_mul_f32_e64 v1, v10, -v3
	v_dual_mul_f32 v2, v10, v11 :: v_dual_fmac_f32 v1, v11, v9
	s_delay_alu instid0(VALU_DEP_1)
	v_fmac_f32_e32 v2, v3, v9
	ds_store_b64 v4, v[1:2] offset:6144
.LBB45_28:
	s_or_b32 exec_lo, exec_lo, s18
	s_cmp_lt_u32 s2, 11
	s_waitcnt lgkmcnt(0)
	s_barrier
	buffer_gl0_inv
	s_cbranch_scc0 .LBB45_37
; %bb.29:
	s_load_b64 s[4:5], s[0:1], 0x50
	v_cmp_neq_f32_e32 vcc_lo, 0, v7
	v_cmp_neq_f32_e64 s0, 0, v8
	v_mov_b32_e32 v2, 0
	s_sub_i32 s1, s15, s14
	s_add_i32 s13, s13, s14
	s_mov_b32 s6, 0
	s_or_b32 s0, vcc_lo, s0
	s_branch .LBB45_32
.LBB45_30:                              ;   in Loop: Header=BB45_32 Depth=1
	s_or_b32 exec_lo, exec_lo, s8
	s_delay_alu instid0(VALU_DEP_1) | instskip(NEXT) | instid1(VALU_DEP_2)
	v_add_co_u32 v5, vcc_lo, s4, v5
	v_add_co_ci_u32_e32 v6, vcc_lo, s5, v6, vcc_lo
	global_store_b64 v[5:6], v[3:4], off
.LBB45_31:                              ;   in Loop: Header=BB45_32 Depth=1
	s_or_b32 exec_lo, exec_lo, s7
	s_addk_i32 s6, 0x100
	s_delay_alu instid0(SALU_CYCLE_1)
	s_cmp_lt_u32 s6, s3
	s_cbranch_scc0 .LBB45_37
.LBB45_32:                              ; =>This Loop Header: Depth=1
                                        ;     Child Loop BB45_34 Depth 2
	v_add_nc_u32_e32 v3, s6, v0
	s_mov_b32 s7, exec_lo
	s_delay_alu instid0(VALU_DEP_1)
	v_cmpx_gt_u32_e64 s1, v3
	s_cbranch_execz .LBB45_31
; %bb.33:                               ;   in Loop: Header=BB45_32 Depth=1
	v_add_nc_u32_e32 v1, s13, v3
	s_mov_b32 s8, 1
	s_delay_alu instid0(VALU_DEP_1) | instskip(SKIP_1) | instid1(VALU_DEP_1)
	v_lshlrev_b64 v[4:5], 2, v[1:2]
	v_lshlrev_b32_e32 v1, s2, v3
	v_lshlrev_b32_e32 v1, 3, v1
	s_delay_alu instid0(VALU_DEP_3) | instskip(NEXT) | instid1(VALU_DEP_4)
	v_add_co_u32 v4, vcc_lo, s16, v4
	v_add_co_ci_u32_e32 v5, vcc_lo, s17, v5, vcc_lo
	global_load_b32 v5, v[4:5], off
	v_mov_b32_e32 v4, 0
	s_delay_alu instid0(VALU_DEP_1)
	v_mov_b32_e32 v3, v4
.LBB45_34:                              ;   Parent Loop BB45_32 Depth=1
                                        ; =>  This Inner Loop Header: Depth=2
	ds_load_b64 v[9:10], v1
	v_add_nc_u32_e32 v1, 8, v1
	s_lshr_b32 s9, s8, s2
	s_add_i32 s8, s8, 1
	s_cmp_lg_u32 s9, 0
	s_waitcnt lgkmcnt(0)
	v_dual_add_f32 v4, v4, v10 :: v_dual_add_f32 v3, v3, v9
	s_cbranch_scc0 .LBB45_34
; %bb.35:                               ;   in Loop: Header=BB45_32 Depth=1
	s_waitcnt vmcnt(0)
	v_ashrrev_i32_e32 v6, 31, v5
	s_delay_alu instid0(VALU_DEP_1)
	v_lshlrev_b64 v[5:6], 3, v[5:6]
	s_and_saveexec_b32 s8, s0
	s_cbranch_execz .LBB45_30
; %bb.36:                               ;   in Loop: Header=BB45_32 Depth=1
	s_delay_alu instid0(VALU_DEP_1) | instskip(NEXT) | instid1(VALU_DEP_2)
	v_add_co_u32 v9, vcc_lo, s4, v5
	v_add_co_ci_u32_e32 v10, vcc_lo, s5, v6, vcc_lo
	global_load_b64 v[9:10], v[9:10], off
	s_waitcnt vmcnt(0)
	v_fmac_f32_e32 v3, v7, v9
	v_fmac_f32_e32 v4, v8, v9
	s_delay_alu instid0(VALU_DEP_2) | instskip(NEXT) | instid1(VALU_DEP_2)
	v_fma_f32 v3, -v8, v10, v3
	v_fmac_f32_e32 v4, v7, v10
	s_branch .LBB45_30
.LBB45_37:
	s_nop 0
	s_sendmsg sendmsg(MSG_DEALLOC_VGPRS)
	s_endpgm
.LBB45_38:
	v_dual_mov_b32 v1, s4 :: v_dual_mov_b32 v2, s5
	flat_load_b32 v5, v[1:2]
	v_cndmask_b32_e64 v1, 0, 1, s6
	v_mov_b32_e32 v6, s5
	s_and_not1_b32 vcc_lo, exec_lo, s6
	s_cbranch_vccnz .LBB45_2
.LBB45_39:
	v_dual_mov_b32 v2, s4 :: v_dual_mov_b32 v3, s5
	flat_load_b32 v6, v[2:3] offset:4
	v_cmp_ne_u32_e32 vcc_lo, 1, v1
	v_mov_b32_e32 v7, s2
	s_cbranch_vccnz .LBB45_3
.LBB45_40:
	v_dual_mov_b32 v2, s2 :: v_dual_mov_b32 v3, s3
	flat_load_b32 v7, v[2:3]
	v_cmp_ne_u32_e32 vcc_lo, 1, v1
	v_mov_b32_e32 v8, s3
	s_cbranch_vccz .LBB45_4
	s_branch .LBB45_5
	.section	.rodata,"a",@progbits
	.p2align	6, 0x0
	.amdhsa_kernel _ZN9rocsparseL30csrmvn_lrb_short_rows_2_kernelIii21rocsparse_complex_numIfES2_S2_S2_EEvbT_PT0_S5_jNS_24const_host_device_scalarIT4_EEPKS3_PKS4_PKT1_PKT2_S8_PT3_21rocsparse_index_base_b
		.amdhsa_group_segment_fixed_size 8192
		.amdhsa_private_segment_fixed_size 0
		.amdhsa_kernarg_size 96
		.amdhsa_user_sgpr_count 15
		.amdhsa_user_sgpr_dispatch_ptr 0
		.amdhsa_user_sgpr_queue_ptr 0
		.amdhsa_user_sgpr_kernarg_segment_ptr 1
		.amdhsa_user_sgpr_dispatch_id 0
		.amdhsa_user_sgpr_private_segment_size 0
		.amdhsa_wavefront_size32 1
		.amdhsa_uses_dynamic_stack 0
		.amdhsa_enable_private_segment 0
		.amdhsa_system_sgpr_workgroup_id_x 1
		.amdhsa_system_sgpr_workgroup_id_y 0
		.amdhsa_system_sgpr_workgroup_id_z 0
		.amdhsa_system_sgpr_workgroup_info 0
		.amdhsa_system_vgpr_workitem_id 0
		.amdhsa_next_free_vgpr 13
		.amdhsa_next_free_sgpr 21
		.amdhsa_reserve_vcc 1
		.amdhsa_float_round_mode_32 0
		.amdhsa_float_round_mode_16_64 0
		.amdhsa_float_denorm_mode_32 3
		.amdhsa_float_denorm_mode_16_64 3
		.amdhsa_dx10_clamp 1
		.amdhsa_ieee_mode 1
		.amdhsa_fp16_overflow 0
		.amdhsa_workgroup_processor_mode 1
		.amdhsa_memory_ordered 1
		.amdhsa_forward_progress 0
		.amdhsa_shared_vgpr_count 0
		.amdhsa_exception_fp_ieee_invalid_op 0
		.amdhsa_exception_fp_denorm_src 0
		.amdhsa_exception_fp_ieee_div_zero 0
		.amdhsa_exception_fp_ieee_overflow 0
		.amdhsa_exception_fp_ieee_underflow 0
		.amdhsa_exception_fp_ieee_inexact 0
		.amdhsa_exception_int_div_zero 0
	.end_amdhsa_kernel
	.section	.text._ZN9rocsparseL30csrmvn_lrb_short_rows_2_kernelIii21rocsparse_complex_numIfES2_S2_S2_EEvbT_PT0_S5_jNS_24const_host_device_scalarIT4_EEPKS3_PKS4_PKT1_PKT2_S8_PT3_21rocsparse_index_base_b,"axG",@progbits,_ZN9rocsparseL30csrmvn_lrb_short_rows_2_kernelIii21rocsparse_complex_numIfES2_S2_S2_EEvbT_PT0_S5_jNS_24const_host_device_scalarIT4_EEPKS3_PKS4_PKT1_PKT2_S8_PT3_21rocsparse_index_base_b,comdat
.Lfunc_end45:
	.size	_ZN9rocsparseL30csrmvn_lrb_short_rows_2_kernelIii21rocsparse_complex_numIfES2_S2_S2_EEvbT_PT0_S5_jNS_24const_host_device_scalarIT4_EEPKS3_PKS4_PKT1_PKT2_S8_PT3_21rocsparse_index_base_b, .Lfunc_end45-_ZN9rocsparseL30csrmvn_lrb_short_rows_2_kernelIii21rocsparse_complex_numIfES2_S2_S2_EEvbT_PT0_S5_jNS_24const_host_device_scalarIT4_EEPKS3_PKS4_PKT1_PKT2_S8_PT3_21rocsparse_index_base_b
                                        ; -- End function
	.section	.AMDGPU.csdata,"",@progbits
; Kernel info:
; codeLenInByte = 2312
; NumSgprs: 23
; NumVgprs: 13
; ScratchSize: 0
; MemoryBound: 0
; FloatMode: 240
; IeeeMode: 1
; LDSByteSize: 8192 bytes/workgroup (compile time only)
; SGPRBlocks: 2
; VGPRBlocks: 1
; NumSGPRsForWavesPerEU: 23
; NumVGPRsForWavesPerEU: 13
; Occupancy: 16
; WaveLimiterHint : 1
; COMPUTE_PGM_RSRC2:SCRATCH_EN: 0
; COMPUTE_PGM_RSRC2:USER_SGPR: 15
; COMPUTE_PGM_RSRC2:TRAP_HANDLER: 0
; COMPUTE_PGM_RSRC2:TGID_X_EN: 1
; COMPUTE_PGM_RSRC2:TGID_Y_EN: 0
; COMPUTE_PGM_RSRC2:TGID_Z_EN: 0
; COMPUTE_PGM_RSRC2:TIDIG_COMP_CNT: 0
	.section	.text._ZN9rocsparseL41csrmvn_lrb_medium_rows_warp_reduce_kernelILj256ELj32Eii21rocsparse_complex_numIfES2_S2_S2_EEvbT1_lPT2_S5_jNS_24const_host_device_scalarIT6_EEPKS3_PKS4_PKT3_PKT4_S8_PT5_21rocsparse_index_base_b,"axG",@progbits,_ZN9rocsparseL41csrmvn_lrb_medium_rows_warp_reduce_kernelILj256ELj32Eii21rocsparse_complex_numIfES2_S2_S2_EEvbT1_lPT2_S5_jNS_24const_host_device_scalarIT6_EEPKS3_PKS4_PKT3_PKT4_S8_PT5_21rocsparse_index_base_b,comdat
	.globl	_ZN9rocsparseL41csrmvn_lrb_medium_rows_warp_reduce_kernelILj256ELj32Eii21rocsparse_complex_numIfES2_S2_S2_EEvbT1_lPT2_S5_jNS_24const_host_device_scalarIT6_EEPKS3_PKS4_PKT3_PKT4_S8_PT5_21rocsparse_index_base_b ; -- Begin function _ZN9rocsparseL41csrmvn_lrb_medium_rows_warp_reduce_kernelILj256ELj32Eii21rocsparse_complex_numIfES2_S2_S2_EEvbT1_lPT2_S5_jNS_24const_host_device_scalarIT6_EEPKS3_PKS4_PKT3_PKT4_S8_PT5_21rocsparse_index_base_b
	.p2align	8
	.type	_ZN9rocsparseL41csrmvn_lrb_medium_rows_warp_reduce_kernelILj256ELj32Eii21rocsparse_complex_numIfES2_S2_S2_EEvbT1_lPT2_S5_jNS_24const_host_device_scalarIT6_EEPKS3_PKS4_PKT3_PKT4_S8_PT5_21rocsparse_index_base_b,@function
_ZN9rocsparseL41csrmvn_lrb_medium_rows_warp_reduce_kernelILj256ELj32Eii21rocsparse_complex_numIfES2_S2_S2_EEvbT1_lPT2_S5_jNS_24const_host_device_scalarIT6_EEPKS3_PKS4_PKT3_PKT4_S8_PT5_21rocsparse_index_base_b: ; @_ZN9rocsparseL41csrmvn_lrb_medium_rows_warp_reduce_kernelILj256ELj32Eii21rocsparse_complex_numIfES2_S2_S2_EEvbT1_lPT2_S5_jNS_24const_host_device_scalarIT6_EEPKS3_PKS4_PKT3_PKT4_S8_PT5_21rocsparse_index_base_b
; %bb.0:
	s_clause 0x2
	s_load_b64 s[8:9], s[0:1], 0x60
	s_load_b64 s[4:5], s[0:1], 0x28
	;; [unrolled: 1-line block ×3, first 2 shown]
	s_waitcnt lgkmcnt(0)
	s_bitcmp1_b32 s9, 0
	v_mov_b32_e32 v7, s4
	s_cselect_b32 s6, -1, 0
	s_delay_alu instid0(SALU_CYCLE_1)
	s_and_b32 vcc_lo, exec_lo, s6
	s_xor_b32 s6, s6, -1
	s_cbranch_vccz .LBB46_18
; %bb.1:
	v_cndmask_b32_e64 v1, 0, 1, s6
	v_mov_b32_e32 v8, s5
	s_and_not1_b32 vcc_lo, exec_lo, s6
	s_cbranch_vccz .LBB46_19
.LBB46_2:
	s_delay_alu instid0(VALU_DEP_2)
	v_cmp_ne_u32_e32 vcc_lo, 1, v1
	v_mov_b32_e32 v5, s2
	s_cbranch_vccz .LBB46_20
.LBB46_3:
	v_cmp_ne_u32_e32 vcc_lo, 1, v1
	v_mov_b32_e32 v6, s3
	s_cbranch_vccnz .LBB46_5
.LBB46_4:
	v_dual_mov_b32 v1, s2 :: v_dual_mov_b32 v2, s3
	flat_load_b32 v6, v[1:2] offset:4
.LBB46_5:
	s_waitcnt vmcnt(0) lgkmcnt(0)
	v_cmp_eq_f32_e32 vcc_lo, 0, v7
	v_cmp_eq_f32_e64 s2, 0, v8
	s_delay_alu instid0(VALU_DEP_1)
	s_and_b32 s4, vcc_lo, s2
	s_mov_b32 s2, -1
	s_and_saveexec_b32 s3, s4
; %bb.6:
	v_cmp_neq_f32_e32 vcc_lo, 1.0, v5
	v_cmp_neq_f32_e64 s2, 0, v6
	s_delay_alu instid0(VALU_DEP_1) | instskip(NEXT) | instid1(SALU_CYCLE_1)
	s_or_b32 s2, vcc_lo, s2
	s_or_not1_b32 s2, s2, exec_lo
; %bb.7:
	s_or_b32 exec_lo, exec_lo, s3
	s_and_saveexec_b32 s3, s2
	s_cbranch_execz .LBB46_17
; %bb.8:
	s_load_b64 s[2:3], s[0:1], 0x8
	v_lshrrev_b32_e32 v1, 5, v0
	s_delay_alu instid0(VALU_DEP_1) | instskip(NEXT) | instid1(VALU_DEP_1)
	v_lshl_or_b32 v1, s15, 3, v1
	v_ashrrev_i32_e32 v2, 31, v1
	s_waitcnt lgkmcnt(0)
	s_delay_alu instid0(VALU_DEP_1)
	v_cmp_gt_i64_e32 vcc_lo, s[2:3], v[1:2]
	s_and_b32 exec_lo, exec_lo, vcc_lo
	s_cbranch_execz .LBB46_17
; %bb.9:
	s_clause 0x1
	s_load_b32 s10, s[0:1], 0x20
	s_load_b128 s[4:7], s[0:1], 0x10
	s_mov_b32 s11, 0
	v_and_b32_e32 v0, 31, v0
	s_mov_b32 s9, exec_lo
	v_mov_b32_e32 v10, 0
	s_delay_alu instid0(VALU_DEP_2) | instskip(SKIP_2) | instid1(SALU_CYCLE_1)
	v_subrev_nc_u32_e32 v9, s8, v0
	s_waitcnt lgkmcnt(0)
	s_lshl_b64 s[2:3], s[10:11], 2
	s_add_u32 s2, s6, s2
	s_addc_u32 s3, s7, s3
	s_load_b32 s2, s[2:3], 0x0
	s_waitcnt lgkmcnt(0)
	v_add_nc_u32_e32 v1, s2, v1
	s_load_b64 s[2:3], s[0:1], 0x30
	s_delay_alu instid0(VALU_DEP_1) | instskip(NEXT) | instid1(VALU_DEP_1)
	v_ashrrev_i32_e32 v2, 31, v1
	v_lshlrev_b64 v[1:2], 2, v[1:2]
	s_delay_alu instid0(VALU_DEP_1) | instskip(NEXT) | instid1(VALU_DEP_2)
	v_add_co_u32 v1, vcc_lo, s4, v1
	v_add_co_ci_u32_e32 v2, vcc_lo, s5, v2, vcc_lo
	global_load_b32 v1, v[1:2], off
	s_waitcnt vmcnt(0)
	v_ashrrev_i32_e32 v2, 31, v1
	s_delay_alu instid0(VALU_DEP_1) | instskip(SKIP_1) | instid1(VALU_DEP_1)
	v_lshlrev_b64 v[3:4], 2, v[1:2]
	s_waitcnt lgkmcnt(0)
	v_add_co_u32 v3, vcc_lo, s2, v3
	s_delay_alu instid0(VALU_DEP_2)
	v_add_co_ci_u32_e32 v4, vcc_lo, s3, v4, vcc_lo
	s_load_b64 s[2:3], s[0:1], 0x58
	global_load_b64 v[3:4], v[3:4], off
	s_waitcnt vmcnt(0)
	v_subrev_nc_u32_e32 v11, s8, v4
	v_add_nc_u32_e32 v3, v3, v9
	v_mov_b32_e32 v9, 0
	s_delay_alu instid0(VALU_DEP_2)
	v_cmpx_lt_i32_e64 v3, v11
	s_cbranch_execz .LBB46_13
; %bb.10:
	s_clause 0x2
	s_load_b32 s10, s[0:1], 0x0
	s_load_b128 s[4:7], s[0:1], 0x38
	s_load_b64 s[0:1], s[0:1], 0x48
	v_dual_mov_b32 v9, 0 :: v_dual_mov_b32 v10, 0
	s_waitcnt lgkmcnt(0)
	s_bitcmp1_b32 s10, 0
	s_cselect_b32 s10, -1, 0
	s_set_inst_prefetch_distance 0x1
	.p2align	6
.LBB46_11:                              ; =>This Inner Loop Header: Depth=1
	v_ashrrev_i32_e32 v4, 31, v3
	s_delay_alu instid0(VALU_DEP_1) | instskip(NEXT) | instid1(VALU_DEP_1)
	v_lshlrev_b64 v[12:13], 2, v[3:4]
	v_add_co_u32 v12, vcc_lo, s4, v12
	s_delay_alu instid0(VALU_DEP_2) | instskip(SKIP_3) | instid1(VALU_DEP_2)
	v_add_co_ci_u32_e32 v13, vcc_lo, s5, v13, vcc_lo
	global_load_b32 v14, v[12:13], off
	v_lshlrev_b64 v[12:13], 3, v[3:4]
	v_add_nc_u32_e32 v3, 32, v3
	v_add_co_u32 v12, vcc_lo, s6, v12
	s_delay_alu instid0(VALU_DEP_3) | instskip(SKIP_3) | instid1(VALU_DEP_1)
	v_add_co_ci_u32_e32 v13, vcc_lo, s7, v13, vcc_lo
	global_load_b64 v[12:13], v[12:13], off
	s_waitcnt vmcnt(1)
	v_subrev_nc_u32_e32 v14, s8, v14
	v_ashrrev_i32_e32 v15, 31, v14
	s_delay_alu instid0(VALU_DEP_1) | instskip(SKIP_2) | instid1(VALU_DEP_2)
	v_lshlrev_b64 v[14:15], 3, v[14:15]
	s_waitcnt vmcnt(0)
	v_cndmask_b32_e64 v4, v13, -v13, s10
	v_add_co_u32 v14, vcc_lo, s0, v14
	s_delay_alu instid0(VALU_DEP_3) | instskip(NEXT) | instid1(VALU_DEP_3)
	v_add_co_ci_u32_e32 v15, vcc_lo, s1, v15, vcc_lo
	v_mul_f32_e64 v13, v4, -v8
	v_mul_f32_e32 v4, v4, v7
	v_cmp_ge_i32_e32 vcc_lo, v3, v11
	global_load_b64 v[14:15], v[14:15], off
	v_fmac_f32_e32 v13, v7, v12
	v_fmac_f32_e32 v4, v8, v12
	s_or_b32 s11, vcc_lo, s11
	s_waitcnt vmcnt(0)
	s_delay_alu instid0(VALU_DEP_2) | instskip(NEXT) | instid1(VALU_DEP_2)
	v_fmac_f32_e32 v10, v13, v14
	v_fmac_f32_e32 v9, v4, v14
	s_delay_alu instid0(VALU_DEP_2) | instskip(NEXT) | instid1(VALU_DEP_2)
	v_fma_f32 v10, -v4, v15, v10
	v_fmac_f32_e32 v9, v13, v15
	s_and_not1_b32 exec_lo, exec_lo, s11
	s_cbranch_execnz .LBB46_11
; %bb.12:
	s_set_inst_prefetch_distance 0x2
	s_or_b32 exec_lo, exec_lo, s11
.LBB46_13:
	s_delay_alu instid0(SALU_CYCLE_1) | instskip(SKIP_1) | instid1(VALU_DEP_1)
	s_or_b32 exec_lo, exec_lo, s9
	v_mbcnt_lo_u32_b32 v3, -1, 0
	v_xor_b32_e32 v4, 16, v3
	v_xor_b32_e32 v8, 8, v3
	s_delay_alu instid0(VALU_DEP_2) | instskip(SKIP_1) | instid1(VALU_DEP_3)
	v_cmp_gt_i32_e32 vcc_lo, 32, v4
	v_cndmask_b32_e32 v4, v3, v4, vcc_lo
	v_cmp_gt_i32_e32 vcc_lo, 32, v8
	s_delay_alu instid0(VALU_DEP_2)
	v_lshlrev_b32_e32 v4, 2, v4
	v_cndmask_b32_e32 v8, v3, v8, vcc_lo
	ds_bpermute_b32 v7, v4, v10
	ds_bpermute_b32 v4, v4, v9
	s_waitcnt lgkmcnt(0)
	v_dual_add_f32 v7, v10, v7 :: v_dual_lshlrev_b32 v8, 2, v8
	v_add_f32_e32 v4, v9, v4
	v_xor_b32_e32 v10, 4, v3
	ds_bpermute_b32 v9, v8, v7
	ds_bpermute_b32 v8, v8, v4
	v_cmp_gt_i32_e32 vcc_lo, 32, v10
	v_cndmask_b32_e32 v10, v3, v10, vcc_lo
	s_waitcnt lgkmcnt(1)
	s_delay_alu instid0(VALU_DEP_1)
	v_dual_add_f32 v7, v7, v9 :: v_dual_lshlrev_b32 v10, 2, v10
	s_waitcnt lgkmcnt(0)
	v_add_f32_e32 v4, v4, v8
	ds_bpermute_b32 v8, v10, v7
	s_waitcnt lgkmcnt(0)
	v_add_f32_e32 v7, v7, v8
	ds_bpermute_b32 v9, v10, v4
	v_xor_b32_e32 v10, 2, v3
	s_delay_alu instid0(VALU_DEP_1) | instskip(SKIP_1) | instid1(VALU_DEP_1)
	v_cmp_gt_i32_e32 vcc_lo, 32, v10
	v_cndmask_b32_e32 v10, v3, v10, vcc_lo
	v_lshlrev_b32_e32 v10, 2, v10
	s_waitcnt lgkmcnt(0)
	v_add_f32_e32 v4, v4, v9
	ds_bpermute_b32 v8, v10, v7
	ds_bpermute_b32 v9, v10, v4
	v_xor_b32_e32 v10, 1, v3
	s_delay_alu instid0(VALU_DEP_1) | instskip(SKIP_3) | instid1(VALU_DEP_2)
	v_cmp_gt_i32_e32 vcc_lo, 32, v10
	v_cndmask_b32_e32 v3, v3, v10, vcc_lo
	v_cmp_eq_u32_e32 vcc_lo, 31, v0
	s_waitcnt lgkmcnt(1)
	v_dual_add_f32 v3, v7, v8 :: v_dual_lshlrev_b32 v10, 2, v3
	s_waitcnt lgkmcnt(0)
	v_add_f32_e32 v4, v4, v9
	ds_bpermute_b32 v8, v10, v3
	ds_bpermute_b32 v7, v10, v4
	s_and_b32 exec_lo, exec_lo, vcc_lo
	s_cbranch_execz .LBB46_17
; %bb.14:
	v_cmp_neq_f32_e32 vcc_lo, 0, v5
	v_cmp_neq_f32_e64 s0, 0, v6
	s_waitcnt lgkmcnt(1)
	v_add_f32_e32 v0, v3, v8
	v_lshlrev_b64 v[2:3], 3, v[1:2]
	s_waitcnt lgkmcnt(0)
	v_add_f32_e32 v1, v4, v7
	s_or_b32 s1, vcc_lo, s0
	s_delay_alu instid0(SALU_CYCLE_1)
	s_and_saveexec_b32 s0, s1
	s_cbranch_execz .LBB46_16
; %bb.15:
	v_add_co_u32 v7, vcc_lo, s2, v2
	v_add_co_ci_u32_e32 v8, vcc_lo, s3, v3, vcc_lo
	global_load_b64 v[7:8], v[7:8], off
	s_waitcnt vmcnt(0)
	v_fmac_f32_e32 v0, v5, v7
	v_fmac_f32_e32 v1, v6, v7
	s_delay_alu instid0(VALU_DEP_2) | instskip(NEXT) | instid1(VALU_DEP_2)
	v_fma_f32 v0, -v6, v8, v0
	v_fmac_f32_e32 v1, v5, v8
.LBB46_16:
	s_or_b32 exec_lo, exec_lo, s0
	v_add_co_u32 v2, vcc_lo, s2, v2
	v_add_co_ci_u32_e32 v3, vcc_lo, s3, v3, vcc_lo
	global_store_b64 v[2:3], v[0:1], off
.LBB46_17:
	s_nop 0
	s_sendmsg sendmsg(MSG_DEALLOC_VGPRS)
	s_endpgm
.LBB46_18:
	v_dual_mov_b32 v1, s4 :: v_dual_mov_b32 v2, s5
	flat_load_b32 v7, v[1:2]
	v_cndmask_b32_e64 v1, 0, 1, s6
	v_mov_b32_e32 v8, s5
	s_and_not1_b32 vcc_lo, exec_lo, s6
	s_cbranch_vccnz .LBB46_2
.LBB46_19:
	v_dual_mov_b32 v2, s4 :: v_dual_mov_b32 v3, s5
	flat_load_b32 v8, v[2:3] offset:4
	v_cmp_ne_u32_e32 vcc_lo, 1, v1
	v_mov_b32_e32 v5, s2
	s_cbranch_vccnz .LBB46_3
.LBB46_20:
	v_dual_mov_b32 v2, s2 :: v_dual_mov_b32 v3, s3
	flat_load_b32 v5, v[2:3]
	v_cmp_ne_u32_e32 vcc_lo, 1, v1
	v_mov_b32_e32 v6, s3
	s_cbranch_vccz .LBB46_4
	s_branch .LBB46_5
	.section	.rodata,"a",@progbits
	.p2align	6, 0x0
	.amdhsa_kernel _ZN9rocsparseL41csrmvn_lrb_medium_rows_warp_reduce_kernelILj256ELj32Eii21rocsparse_complex_numIfES2_S2_S2_EEvbT1_lPT2_S5_jNS_24const_host_device_scalarIT6_EEPKS3_PKS4_PKT3_PKT4_S8_PT5_21rocsparse_index_base_b
		.amdhsa_group_segment_fixed_size 0
		.amdhsa_private_segment_fixed_size 0
		.amdhsa_kernarg_size 104
		.amdhsa_user_sgpr_count 15
		.amdhsa_user_sgpr_dispatch_ptr 0
		.amdhsa_user_sgpr_queue_ptr 0
		.amdhsa_user_sgpr_kernarg_segment_ptr 1
		.amdhsa_user_sgpr_dispatch_id 0
		.amdhsa_user_sgpr_private_segment_size 0
		.amdhsa_wavefront_size32 1
		.amdhsa_uses_dynamic_stack 0
		.amdhsa_enable_private_segment 0
		.amdhsa_system_sgpr_workgroup_id_x 1
		.amdhsa_system_sgpr_workgroup_id_y 0
		.amdhsa_system_sgpr_workgroup_id_z 0
		.amdhsa_system_sgpr_workgroup_info 0
		.amdhsa_system_vgpr_workitem_id 0
		.amdhsa_next_free_vgpr 16
		.amdhsa_next_free_sgpr 16
		.amdhsa_reserve_vcc 1
		.amdhsa_float_round_mode_32 0
		.amdhsa_float_round_mode_16_64 0
		.amdhsa_float_denorm_mode_32 3
		.amdhsa_float_denorm_mode_16_64 3
		.amdhsa_dx10_clamp 1
		.amdhsa_ieee_mode 1
		.amdhsa_fp16_overflow 0
		.amdhsa_workgroup_processor_mode 1
		.amdhsa_memory_ordered 1
		.amdhsa_forward_progress 0
		.amdhsa_shared_vgpr_count 0
		.amdhsa_exception_fp_ieee_invalid_op 0
		.amdhsa_exception_fp_denorm_src 0
		.amdhsa_exception_fp_ieee_div_zero 0
		.amdhsa_exception_fp_ieee_overflow 0
		.amdhsa_exception_fp_ieee_underflow 0
		.amdhsa_exception_fp_ieee_inexact 0
		.amdhsa_exception_int_div_zero 0
	.end_amdhsa_kernel
	.section	.text._ZN9rocsparseL41csrmvn_lrb_medium_rows_warp_reduce_kernelILj256ELj32Eii21rocsparse_complex_numIfES2_S2_S2_EEvbT1_lPT2_S5_jNS_24const_host_device_scalarIT6_EEPKS3_PKS4_PKT3_PKT4_S8_PT5_21rocsparse_index_base_b,"axG",@progbits,_ZN9rocsparseL41csrmvn_lrb_medium_rows_warp_reduce_kernelILj256ELj32Eii21rocsparse_complex_numIfES2_S2_S2_EEvbT1_lPT2_S5_jNS_24const_host_device_scalarIT6_EEPKS3_PKS4_PKT3_PKT4_S8_PT5_21rocsparse_index_base_b,comdat
.Lfunc_end46:
	.size	_ZN9rocsparseL41csrmvn_lrb_medium_rows_warp_reduce_kernelILj256ELj32Eii21rocsparse_complex_numIfES2_S2_S2_EEvbT1_lPT2_S5_jNS_24const_host_device_scalarIT6_EEPKS3_PKS4_PKT3_PKT4_S8_PT5_21rocsparse_index_base_b, .Lfunc_end46-_ZN9rocsparseL41csrmvn_lrb_medium_rows_warp_reduce_kernelILj256ELj32Eii21rocsparse_complex_numIfES2_S2_S2_EEvbT1_lPT2_S5_jNS_24const_host_device_scalarIT6_EEPKS3_PKS4_PKT3_PKT4_S8_PT5_21rocsparse_index_base_b
                                        ; -- End function
	.section	.AMDGPU.csdata,"",@progbits
; Kernel info:
; codeLenInByte = 1216
; NumSgprs: 18
; NumVgprs: 16
; ScratchSize: 0
; MemoryBound: 0
; FloatMode: 240
; IeeeMode: 1
; LDSByteSize: 0 bytes/workgroup (compile time only)
; SGPRBlocks: 2
; VGPRBlocks: 1
; NumSGPRsForWavesPerEU: 18
; NumVGPRsForWavesPerEU: 16
; Occupancy: 16
; WaveLimiterHint : 1
; COMPUTE_PGM_RSRC2:SCRATCH_EN: 0
; COMPUTE_PGM_RSRC2:USER_SGPR: 15
; COMPUTE_PGM_RSRC2:TRAP_HANDLER: 0
; COMPUTE_PGM_RSRC2:TGID_X_EN: 1
; COMPUTE_PGM_RSRC2:TGID_Y_EN: 0
; COMPUTE_PGM_RSRC2:TGID_Z_EN: 0
; COMPUTE_PGM_RSRC2:TIDIG_COMP_CNT: 0
	.section	.text._ZN9rocsparseL41csrmvn_lrb_medium_rows_warp_reduce_kernelILj256ELj64Eii21rocsparse_complex_numIfES2_S2_S2_EEvbT1_lPT2_S5_jNS_24const_host_device_scalarIT6_EEPKS3_PKS4_PKT3_PKT4_S8_PT5_21rocsparse_index_base_b,"axG",@progbits,_ZN9rocsparseL41csrmvn_lrb_medium_rows_warp_reduce_kernelILj256ELj64Eii21rocsparse_complex_numIfES2_S2_S2_EEvbT1_lPT2_S5_jNS_24const_host_device_scalarIT6_EEPKS3_PKS4_PKT3_PKT4_S8_PT5_21rocsparse_index_base_b,comdat
	.globl	_ZN9rocsparseL41csrmvn_lrb_medium_rows_warp_reduce_kernelILj256ELj64Eii21rocsparse_complex_numIfES2_S2_S2_EEvbT1_lPT2_S5_jNS_24const_host_device_scalarIT6_EEPKS3_PKS4_PKT3_PKT4_S8_PT5_21rocsparse_index_base_b ; -- Begin function _ZN9rocsparseL41csrmvn_lrb_medium_rows_warp_reduce_kernelILj256ELj64Eii21rocsparse_complex_numIfES2_S2_S2_EEvbT1_lPT2_S5_jNS_24const_host_device_scalarIT6_EEPKS3_PKS4_PKT3_PKT4_S8_PT5_21rocsparse_index_base_b
	.p2align	8
	.type	_ZN9rocsparseL41csrmvn_lrb_medium_rows_warp_reduce_kernelILj256ELj64Eii21rocsparse_complex_numIfES2_S2_S2_EEvbT1_lPT2_S5_jNS_24const_host_device_scalarIT6_EEPKS3_PKS4_PKT3_PKT4_S8_PT5_21rocsparse_index_base_b,@function
_ZN9rocsparseL41csrmvn_lrb_medium_rows_warp_reduce_kernelILj256ELj64Eii21rocsparse_complex_numIfES2_S2_S2_EEvbT1_lPT2_S5_jNS_24const_host_device_scalarIT6_EEPKS3_PKS4_PKT3_PKT4_S8_PT5_21rocsparse_index_base_b: ; @_ZN9rocsparseL41csrmvn_lrb_medium_rows_warp_reduce_kernelILj256ELj64Eii21rocsparse_complex_numIfES2_S2_S2_EEvbT1_lPT2_S5_jNS_24const_host_device_scalarIT6_EEPKS3_PKS4_PKT3_PKT4_S8_PT5_21rocsparse_index_base_b
; %bb.0:
	s_clause 0x2
	s_load_b64 s[8:9], s[0:1], 0x60
	s_load_b64 s[4:5], s[0:1], 0x28
	;; [unrolled: 1-line block ×3, first 2 shown]
	s_waitcnt lgkmcnt(0)
	s_bitcmp1_b32 s9, 0
	v_mov_b32_e32 v7, s4
	s_cselect_b32 s6, -1, 0
	s_delay_alu instid0(SALU_CYCLE_1)
	s_and_b32 vcc_lo, exec_lo, s6
	s_xor_b32 s6, s6, -1
	s_cbranch_vccz .LBB47_18
; %bb.1:
	v_cndmask_b32_e64 v1, 0, 1, s6
	v_mov_b32_e32 v8, s5
	s_and_not1_b32 vcc_lo, exec_lo, s6
	s_cbranch_vccz .LBB47_19
.LBB47_2:
	s_delay_alu instid0(VALU_DEP_2)
	v_cmp_ne_u32_e32 vcc_lo, 1, v1
	v_mov_b32_e32 v5, s2
	s_cbranch_vccz .LBB47_20
.LBB47_3:
	v_cmp_ne_u32_e32 vcc_lo, 1, v1
	v_mov_b32_e32 v6, s3
	s_cbranch_vccnz .LBB47_5
.LBB47_4:
	v_dual_mov_b32 v1, s2 :: v_dual_mov_b32 v2, s3
	flat_load_b32 v6, v[1:2] offset:4
.LBB47_5:
	s_waitcnt vmcnt(0) lgkmcnt(0)
	v_cmp_eq_f32_e32 vcc_lo, 0, v7
	v_cmp_eq_f32_e64 s2, 0, v8
	s_delay_alu instid0(VALU_DEP_1)
	s_and_b32 s4, vcc_lo, s2
	s_mov_b32 s2, -1
	s_and_saveexec_b32 s3, s4
; %bb.6:
	v_cmp_neq_f32_e32 vcc_lo, 1.0, v5
	v_cmp_neq_f32_e64 s2, 0, v6
	s_delay_alu instid0(VALU_DEP_1) | instskip(NEXT) | instid1(SALU_CYCLE_1)
	s_or_b32 s2, vcc_lo, s2
	s_or_not1_b32 s2, s2, exec_lo
; %bb.7:
	s_or_b32 exec_lo, exec_lo, s3
	s_and_saveexec_b32 s3, s2
	s_cbranch_execz .LBB47_17
; %bb.8:
	s_load_b64 s[2:3], s[0:1], 0x8
	v_lshrrev_b32_e32 v1, 6, v0
	s_delay_alu instid0(VALU_DEP_1) | instskip(NEXT) | instid1(VALU_DEP_1)
	v_lshl_or_b32 v1, s15, 2, v1
	v_ashrrev_i32_e32 v2, 31, v1
	s_waitcnt lgkmcnt(0)
	s_delay_alu instid0(VALU_DEP_1)
	v_cmp_gt_i64_e32 vcc_lo, s[2:3], v[1:2]
	s_and_b32 exec_lo, exec_lo, vcc_lo
	s_cbranch_execz .LBB47_17
; %bb.9:
	s_clause 0x1
	s_load_b32 s10, s[0:1], 0x20
	s_load_b128 s[4:7], s[0:1], 0x10
	s_mov_b32 s11, 0
	v_and_b32_e32 v0, 63, v0
	s_mov_b32 s9, exec_lo
	v_mov_b32_e32 v10, 0
	s_delay_alu instid0(VALU_DEP_2) | instskip(SKIP_2) | instid1(SALU_CYCLE_1)
	v_subrev_nc_u32_e32 v9, s8, v0
	s_waitcnt lgkmcnt(0)
	s_lshl_b64 s[2:3], s[10:11], 2
	s_add_u32 s2, s6, s2
	s_addc_u32 s3, s7, s3
	s_load_b32 s2, s[2:3], 0x0
	s_waitcnt lgkmcnt(0)
	v_add_nc_u32_e32 v1, s2, v1
	s_load_b64 s[2:3], s[0:1], 0x30
	s_delay_alu instid0(VALU_DEP_1) | instskip(NEXT) | instid1(VALU_DEP_1)
	v_ashrrev_i32_e32 v2, 31, v1
	v_lshlrev_b64 v[1:2], 2, v[1:2]
	s_delay_alu instid0(VALU_DEP_1) | instskip(NEXT) | instid1(VALU_DEP_2)
	v_add_co_u32 v1, vcc_lo, s4, v1
	v_add_co_ci_u32_e32 v2, vcc_lo, s5, v2, vcc_lo
	global_load_b32 v1, v[1:2], off
	s_waitcnt vmcnt(0)
	v_ashrrev_i32_e32 v2, 31, v1
	s_delay_alu instid0(VALU_DEP_1) | instskip(SKIP_1) | instid1(VALU_DEP_1)
	v_lshlrev_b64 v[3:4], 2, v[1:2]
	s_waitcnt lgkmcnt(0)
	v_add_co_u32 v3, vcc_lo, s2, v3
	s_delay_alu instid0(VALU_DEP_2)
	v_add_co_ci_u32_e32 v4, vcc_lo, s3, v4, vcc_lo
	s_load_b64 s[2:3], s[0:1], 0x58
	global_load_b64 v[3:4], v[3:4], off
	s_waitcnt vmcnt(0)
	v_subrev_nc_u32_e32 v11, s8, v4
	v_add_nc_u32_e32 v3, v3, v9
	v_mov_b32_e32 v9, 0
	s_delay_alu instid0(VALU_DEP_2)
	v_cmpx_lt_i32_e64 v3, v11
	s_cbranch_execz .LBB47_13
; %bb.10:
	s_clause 0x2
	s_load_b32 s10, s[0:1], 0x0
	s_load_b128 s[4:7], s[0:1], 0x38
	s_load_b64 s[0:1], s[0:1], 0x48
	v_dual_mov_b32 v9, 0 :: v_dual_mov_b32 v10, 0
	s_waitcnt lgkmcnt(0)
	s_bitcmp1_b32 s10, 0
	s_cselect_b32 s10, -1, 0
	s_set_inst_prefetch_distance 0x1
	.p2align	6
.LBB47_11:                              ; =>This Inner Loop Header: Depth=1
	v_ashrrev_i32_e32 v4, 31, v3
	s_delay_alu instid0(VALU_DEP_1) | instskip(NEXT) | instid1(VALU_DEP_1)
	v_lshlrev_b64 v[12:13], 2, v[3:4]
	v_add_co_u32 v12, vcc_lo, s4, v12
	s_delay_alu instid0(VALU_DEP_2) | instskip(SKIP_3) | instid1(VALU_DEP_2)
	v_add_co_ci_u32_e32 v13, vcc_lo, s5, v13, vcc_lo
	global_load_b32 v14, v[12:13], off
	v_lshlrev_b64 v[12:13], 3, v[3:4]
	v_add_nc_u32_e32 v3, 64, v3
	v_add_co_u32 v12, vcc_lo, s6, v12
	s_delay_alu instid0(VALU_DEP_3) | instskip(SKIP_3) | instid1(VALU_DEP_1)
	v_add_co_ci_u32_e32 v13, vcc_lo, s7, v13, vcc_lo
	global_load_b64 v[12:13], v[12:13], off
	s_waitcnt vmcnt(1)
	v_subrev_nc_u32_e32 v14, s8, v14
	v_ashrrev_i32_e32 v15, 31, v14
	s_delay_alu instid0(VALU_DEP_1) | instskip(SKIP_2) | instid1(VALU_DEP_2)
	v_lshlrev_b64 v[14:15], 3, v[14:15]
	s_waitcnt vmcnt(0)
	v_cndmask_b32_e64 v4, v13, -v13, s10
	v_add_co_u32 v14, vcc_lo, s0, v14
	s_delay_alu instid0(VALU_DEP_3) | instskip(NEXT) | instid1(VALU_DEP_3)
	v_add_co_ci_u32_e32 v15, vcc_lo, s1, v15, vcc_lo
	v_mul_f32_e64 v13, v4, -v8
	v_mul_f32_e32 v4, v4, v7
	v_cmp_ge_i32_e32 vcc_lo, v3, v11
	global_load_b64 v[14:15], v[14:15], off
	v_fmac_f32_e32 v13, v7, v12
	v_fmac_f32_e32 v4, v8, v12
	s_or_b32 s11, vcc_lo, s11
	s_waitcnt vmcnt(0)
	s_delay_alu instid0(VALU_DEP_2) | instskip(NEXT) | instid1(VALU_DEP_2)
	v_fmac_f32_e32 v10, v13, v14
	v_fmac_f32_e32 v9, v4, v14
	s_delay_alu instid0(VALU_DEP_2) | instskip(NEXT) | instid1(VALU_DEP_2)
	v_fma_f32 v10, -v4, v15, v10
	v_fmac_f32_e32 v9, v13, v15
	s_and_not1_b32 exec_lo, exec_lo, s11
	s_cbranch_execnz .LBB47_11
; %bb.12:
	s_set_inst_prefetch_distance 0x2
	s_or_b32 exec_lo, exec_lo, s11
.LBB47_13:
	s_delay_alu instid0(SALU_CYCLE_1) | instskip(SKIP_1) | instid1(VALU_DEP_1)
	s_or_b32 exec_lo, exec_lo, s9
	v_mbcnt_lo_u32_b32 v3, -1, 0
	v_or_b32_e32 v4, 32, v3
	v_xor_b32_e32 v8, 16, v3
	s_delay_alu instid0(VALU_DEP_2) | instskip(SKIP_1) | instid1(VALU_DEP_3)
	v_cmp_gt_i32_e32 vcc_lo, 32, v4
	v_cndmask_b32_e32 v4, v3, v4, vcc_lo
	v_cmp_gt_i32_e32 vcc_lo, 32, v8
	s_delay_alu instid0(VALU_DEP_2)
	v_lshlrev_b32_e32 v4, 2, v4
	v_cndmask_b32_e32 v8, v3, v8, vcc_lo
	ds_bpermute_b32 v7, v4, v10
	ds_bpermute_b32 v4, v4, v9
	s_waitcnt lgkmcnt(0)
	v_dual_add_f32 v7, v10, v7 :: v_dual_lshlrev_b32 v8, 2, v8
	v_add_f32_e32 v4, v9, v4
	v_xor_b32_e32 v10, 8, v3
	ds_bpermute_b32 v9, v8, v7
	ds_bpermute_b32 v8, v8, v4
	v_cmp_gt_i32_e32 vcc_lo, 32, v10
	v_cndmask_b32_e32 v10, v3, v10, vcc_lo
	s_waitcnt lgkmcnt(1)
	s_delay_alu instid0(VALU_DEP_1)
	v_dual_add_f32 v7, v7, v9 :: v_dual_lshlrev_b32 v10, 2, v10
	s_waitcnt lgkmcnt(0)
	v_add_f32_e32 v4, v4, v8
	ds_bpermute_b32 v8, v10, v7
	s_waitcnt lgkmcnt(0)
	v_add_f32_e32 v7, v7, v8
	ds_bpermute_b32 v9, v10, v4
	v_xor_b32_e32 v10, 4, v3
	s_delay_alu instid0(VALU_DEP_1) | instskip(SKIP_1) | instid1(VALU_DEP_1)
	v_cmp_gt_i32_e32 vcc_lo, 32, v10
	v_cndmask_b32_e32 v10, v3, v10, vcc_lo
	v_lshlrev_b32_e32 v10, 2, v10
	ds_bpermute_b32 v8, v10, v7
	s_waitcnt lgkmcnt(0)
	v_dual_add_f32 v7, v7, v8 :: v_dual_add_f32 v4, v4, v9
	ds_bpermute_b32 v9, v10, v4
	v_xor_b32_e32 v10, 2, v3
	s_delay_alu instid0(VALU_DEP_1) | instskip(SKIP_1) | instid1(VALU_DEP_1)
	v_cmp_gt_i32_e32 vcc_lo, 32, v10
	v_cndmask_b32_e32 v10, v3, v10, vcc_lo
	v_lshlrev_b32_e32 v10, 2, v10
	s_waitcnt lgkmcnt(0)
	v_add_f32_e32 v4, v4, v9
	ds_bpermute_b32 v8, v10, v7
	ds_bpermute_b32 v9, v10, v4
	v_xor_b32_e32 v10, 1, v3
	s_delay_alu instid0(VALU_DEP_1) | instskip(SKIP_3) | instid1(VALU_DEP_2)
	v_cmp_gt_i32_e32 vcc_lo, 32, v10
	v_cndmask_b32_e32 v3, v3, v10, vcc_lo
	v_cmp_eq_u32_e32 vcc_lo, 63, v0
	s_waitcnt lgkmcnt(1)
	v_dual_add_f32 v3, v7, v8 :: v_dual_lshlrev_b32 v10, 2, v3
	s_waitcnt lgkmcnt(0)
	v_add_f32_e32 v4, v4, v9
	ds_bpermute_b32 v8, v10, v3
	ds_bpermute_b32 v7, v10, v4
	s_and_b32 exec_lo, exec_lo, vcc_lo
	s_cbranch_execz .LBB47_17
; %bb.14:
	v_cmp_neq_f32_e32 vcc_lo, 0, v5
	v_cmp_neq_f32_e64 s0, 0, v6
	s_waitcnt lgkmcnt(1)
	v_add_f32_e32 v0, v3, v8
	v_lshlrev_b64 v[2:3], 3, v[1:2]
	s_waitcnt lgkmcnt(0)
	v_add_f32_e32 v1, v4, v7
	s_or_b32 s1, vcc_lo, s0
	s_delay_alu instid0(SALU_CYCLE_1)
	s_and_saveexec_b32 s0, s1
	s_cbranch_execz .LBB47_16
; %bb.15:
	v_add_co_u32 v7, vcc_lo, s2, v2
	v_add_co_ci_u32_e32 v8, vcc_lo, s3, v3, vcc_lo
	global_load_b64 v[7:8], v[7:8], off
	s_waitcnt vmcnt(0)
	v_fmac_f32_e32 v0, v5, v7
	v_fmac_f32_e32 v1, v6, v7
	s_delay_alu instid0(VALU_DEP_2) | instskip(NEXT) | instid1(VALU_DEP_2)
	v_fma_f32 v0, -v6, v8, v0
	v_fmac_f32_e32 v1, v5, v8
.LBB47_16:
	s_or_b32 exec_lo, exec_lo, s0
	v_add_co_u32 v2, vcc_lo, s2, v2
	v_add_co_ci_u32_e32 v3, vcc_lo, s3, v3, vcc_lo
	global_store_b64 v[2:3], v[0:1], off
.LBB47_17:
	s_nop 0
	s_sendmsg sendmsg(MSG_DEALLOC_VGPRS)
	s_endpgm
.LBB47_18:
	v_dual_mov_b32 v1, s4 :: v_dual_mov_b32 v2, s5
	flat_load_b32 v7, v[1:2]
	v_cndmask_b32_e64 v1, 0, 1, s6
	v_mov_b32_e32 v8, s5
	s_and_not1_b32 vcc_lo, exec_lo, s6
	s_cbranch_vccnz .LBB47_2
.LBB47_19:
	v_dual_mov_b32 v2, s4 :: v_dual_mov_b32 v3, s5
	flat_load_b32 v8, v[2:3] offset:4
	v_cmp_ne_u32_e32 vcc_lo, 1, v1
	v_mov_b32_e32 v5, s2
	s_cbranch_vccnz .LBB47_3
.LBB47_20:
	v_dual_mov_b32 v2, s2 :: v_dual_mov_b32 v3, s3
	flat_load_b32 v5, v[2:3]
	v_cmp_ne_u32_e32 vcc_lo, 1, v1
	v_mov_b32_e32 v6, s3
	s_cbranch_vccz .LBB47_4
	s_branch .LBB47_5
	.section	.rodata,"a",@progbits
	.p2align	6, 0x0
	.amdhsa_kernel _ZN9rocsparseL41csrmvn_lrb_medium_rows_warp_reduce_kernelILj256ELj64Eii21rocsparse_complex_numIfES2_S2_S2_EEvbT1_lPT2_S5_jNS_24const_host_device_scalarIT6_EEPKS3_PKS4_PKT3_PKT4_S8_PT5_21rocsparse_index_base_b
		.amdhsa_group_segment_fixed_size 0
		.amdhsa_private_segment_fixed_size 0
		.amdhsa_kernarg_size 104
		.amdhsa_user_sgpr_count 15
		.amdhsa_user_sgpr_dispatch_ptr 0
		.amdhsa_user_sgpr_queue_ptr 0
		.amdhsa_user_sgpr_kernarg_segment_ptr 1
		.amdhsa_user_sgpr_dispatch_id 0
		.amdhsa_user_sgpr_private_segment_size 0
		.amdhsa_wavefront_size32 1
		.amdhsa_uses_dynamic_stack 0
		.amdhsa_enable_private_segment 0
		.amdhsa_system_sgpr_workgroup_id_x 1
		.amdhsa_system_sgpr_workgroup_id_y 0
		.amdhsa_system_sgpr_workgroup_id_z 0
		.amdhsa_system_sgpr_workgroup_info 0
		.amdhsa_system_vgpr_workitem_id 0
		.amdhsa_next_free_vgpr 16
		.amdhsa_next_free_sgpr 16
		.amdhsa_reserve_vcc 1
		.amdhsa_float_round_mode_32 0
		.amdhsa_float_round_mode_16_64 0
		.amdhsa_float_denorm_mode_32 3
		.amdhsa_float_denorm_mode_16_64 3
		.amdhsa_dx10_clamp 1
		.amdhsa_ieee_mode 1
		.amdhsa_fp16_overflow 0
		.amdhsa_workgroup_processor_mode 1
		.amdhsa_memory_ordered 1
		.amdhsa_forward_progress 0
		.amdhsa_shared_vgpr_count 0
		.amdhsa_exception_fp_ieee_invalid_op 0
		.amdhsa_exception_fp_denorm_src 0
		.amdhsa_exception_fp_ieee_div_zero 0
		.amdhsa_exception_fp_ieee_overflow 0
		.amdhsa_exception_fp_ieee_underflow 0
		.amdhsa_exception_fp_ieee_inexact 0
		.amdhsa_exception_int_div_zero 0
	.end_amdhsa_kernel
	.section	.text._ZN9rocsparseL41csrmvn_lrb_medium_rows_warp_reduce_kernelILj256ELj64Eii21rocsparse_complex_numIfES2_S2_S2_EEvbT1_lPT2_S5_jNS_24const_host_device_scalarIT6_EEPKS3_PKS4_PKT3_PKT4_S8_PT5_21rocsparse_index_base_b,"axG",@progbits,_ZN9rocsparseL41csrmvn_lrb_medium_rows_warp_reduce_kernelILj256ELj64Eii21rocsparse_complex_numIfES2_S2_S2_EEvbT1_lPT2_S5_jNS_24const_host_device_scalarIT6_EEPKS3_PKS4_PKT3_PKT4_S8_PT5_21rocsparse_index_base_b,comdat
.Lfunc_end47:
	.size	_ZN9rocsparseL41csrmvn_lrb_medium_rows_warp_reduce_kernelILj256ELj64Eii21rocsparse_complex_numIfES2_S2_S2_EEvbT1_lPT2_S5_jNS_24const_host_device_scalarIT6_EEPKS3_PKS4_PKT3_PKT4_S8_PT5_21rocsparse_index_base_b, .Lfunc_end47-_ZN9rocsparseL41csrmvn_lrb_medium_rows_warp_reduce_kernelILj256ELj64Eii21rocsparse_complex_numIfES2_S2_S2_EEvbT1_lPT2_S5_jNS_24const_host_device_scalarIT6_EEPKS3_PKS4_PKT3_PKT4_S8_PT5_21rocsparse_index_base_b
                                        ; -- End function
	.section	.AMDGPU.csdata,"",@progbits
; Kernel info:
; codeLenInByte = 1264
; NumSgprs: 18
; NumVgprs: 16
; ScratchSize: 0
; MemoryBound: 0
; FloatMode: 240
; IeeeMode: 1
; LDSByteSize: 0 bytes/workgroup (compile time only)
; SGPRBlocks: 2
; VGPRBlocks: 1
; NumSGPRsForWavesPerEU: 18
; NumVGPRsForWavesPerEU: 16
; Occupancy: 16
; WaveLimiterHint : 1
; COMPUTE_PGM_RSRC2:SCRATCH_EN: 0
; COMPUTE_PGM_RSRC2:USER_SGPR: 15
; COMPUTE_PGM_RSRC2:TRAP_HANDLER: 0
; COMPUTE_PGM_RSRC2:TGID_X_EN: 1
; COMPUTE_PGM_RSRC2:TGID_Y_EN: 0
; COMPUTE_PGM_RSRC2:TGID_Z_EN: 0
; COMPUTE_PGM_RSRC2:TIDIG_COMP_CNT: 0
	.section	.text._ZN9rocsparseL29csrmvn_lrb_medium_rows_kernelILj256Eii21rocsparse_complex_numIfES2_S2_S2_EEvbT0_PT1_S5_jNS_24const_host_device_scalarIT5_EEPKS3_PKS4_PKT2_PKT3_S8_PT4_21rocsparse_index_base_b,"axG",@progbits,_ZN9rocsparseL29csrmvn_lrb_medium_rows_kernelILj256Eii21rocsparse_complex_numIfES2_S2_S2_EEvbT0_PT1_S5_jNS_24const_host_device_scalarIT5_EEPKS3_PKS4_PKT2_PKT3_S8_PT4_21rocsparse_index_base_b,comdat
	.globl	_ZN9rocsparseL29csrmvn_lrb_medium_rows_kernelILj256Eii21rocsparse_complex_numIfES2_S2_S2_EEvbT0_PT1_S5_jNS_24const_host_device_scalarIT5_EEPKS3_PKS4_PKT2_PKT3_S8_PT4_21rocsparse_index_base_b ; -- Begin function _ZN9rocsparseL29csrmvn_lrb_medium_rows_kernelILj256Eii21rocsparse_complex_numIfES2_S2_S2_EEvbT0_PT1_S5_jNS_24const_host_device_scalarIT5_EEPKS3_PKS4_PKT2_PKT3_S8_PT4_21rocsparse_index_base_b
	.p2align	8
	.type	_ZN9rocsparseL29csrmvn_lrb_medium_rows_kernelILj256Eii21rocsparse_complex_numIfES2_S2_S2_EEvbT0_PT1_S5_jNS_24const_host_device_scalarIT5_EEPKS3_PKS4_PKT2_PKT3_S8_PT4_21rocsparse_index_base_b,@function
_ZN9rocsparseL29csrmvn_lrb_medium_rows_kernelILj256Eii21rocsparse_complex_numIfES2_S2_S2_EEvbT0_PT1_S5_jNS_24const_host_device_scalarIT5_EEPKS3_PKS4_PKT2_PKT3_S8_PT4_21rocsparse_index_base_b: ; @_ZN9rocsparseL29csrmvn_lrb_medium_rows_kernelILj256Eii21rocsparse_complex_numIfES2_S2_S2_EEvbT0_PT1_S5_jNS_24const_host_device_scalarIT5_EEPKS3_PKS4_PKT2_PKT3_S8_PT4_21rocsparse_index_base_b
; %bb.0:
	s_clause 0x2
	s_load_b64 s[10:11], s[0:1], 0x58
	s_load_b64 s[4:5], s[0:1], 0x20
	;; [unrolled: 1-line block ×3, first 2 shown]
	s_waitcnt lgkmcnt(0)
	s_bitcmp1_b32 s11, 0
	v_mov_b32_e32 v7, s4
	s_cselect_b32 s6, -1, 0
	s_delay_alu instid0(SALU_CYCLE_1)
	s_and_b32 vcc_lo, exec_lo, s6
	s_xor_b32 s6, s6, -1
	s_cbranch_vccz .LBB48_33
; %bb.1:
	v_cndmask_b32_e64 v1, 0, 1, s6
	v_mov_b32_e32 v8, s5
	s_and_not1_b32 vcc_lo, exec_lo, s6
	s_cbranch_vccz .LBB48_34
.LBB48_2:
	s_delay_alu instid0(VALU_DEP_2)
	v_cmp_ne_u32_e32 vcc_lo, 1, v1
	v_mov_b32_e32 v5, s2
	s_cbranch_vccz .LBB48_35
.LBB48_3:
	v_cmp_ne_u32_e32 vcc_lo, 1, v1
	v_mov_b32_e32 v6, s3
	s_cbranch_vccnz .LBB48_5
.LBB48_4:
	v_dual_mov_b32 v1, s2 :: v_dual_mov_b32 v2, s3
	flat_load_b32 v6, v[1:2] offset:4
.LBB48_5:
	s_waitcnt vmcnt(0) lgkmcnt(0)
	v_cmp_eq_f32_e32 vcc_lo, 0, v7
	v_cmp_eq_f32_e64 s2, 0, v8
	s_delay_alu instid0(VALU_DEP_1)
	s_and_b32 s4, vcc_lo, s2
	s_mov_b32 s2, -1
	s_and_saveexec_b32 s3, s4
; %bb.6:
	v_cmp_neq_f32_e32 vcc_lo, 1.0, v5
	v_cmp_neq_f32_e64 s2, 0, v6
	s_delay_alu instid0(VALU_DEP_1) | instskip(NEXT) | instid1(SALU_CYCLE_1)
	s_or_b32 s2, vcc_lo, s2
	s_or_not1_b32 s2, s2, exec_lo
; %bb.7:
	s_or_b32 exec_lo, exec_lo, s3
	s_and_saveexec_b32 s3, s2
	s_cbranch_execz .LBB48_32
; %bb.8:
	s_clause 0x1
	s_load_b32 s12, s[0:1], 0x18
	s_load_b128 s[4:7], s[0:1], 0x8
	s_mov_b32 s13, 0
	v_subrev_nc_u32_e32 v1, s10, v0
	s_mov_b32 s11, exec_lo
	v_mov_b32_e32 v2, 0
	s_waitcnt lgkmcnt(0)
	s_lshl_b64 s[2:3], s[12:13], 2
	s_delay_alu instid0(SALU_CYCLE_1) | instskip(SKIP_4) | instid1(SALU_CYCLE_1)
	s_add_u32 s2, s6, s2
	s_addc_u32 s3, s7, s3
	s_load_b32 s2, s[2:3], 0x0
	s_waitcnt lgkmcnt(0)
	s_add_i32 s2, s2, s15
	s_ashr_i32 s3, s2, 31
	s_delay_alu instid0(SALU_CYCLE_1) | instskip(NEXT) | instid1(SALU_CYCLE_1)
	s_lshl_b64 s[2:3], s[2:3], 2
	s_add_u32 s2, s4, s2
	s_addc_u32 s3, s5, s3
	s_load_b32 s2, s[2:3], 0x0
	s_load_b64 s[4:5], s[0:1], 0x28
	s_waitcnt lgkmcnt(0)
	s_ashr_i32 s3, s2, 31
	s_delay_alu instid0(SALU_CYCLE_1) | instskip(NEXT) | instid1(SALU_CYCLE_1)
	s_lshl_b64 s[6:7], s[2:3], 2
	s_add_u32 s4, s4, s6
	s_addc_u32 s5, s5, s7
	s_load_b64 s[4:5], s[4:5], 0x0
	s_load_b64 s[8:9], s[0:1], 0x50
	s_waitcnt lgkmcnt(0)
	v_add_nc_u32_e32 v3, s4, v1
	v_mov_b32_e32 v1, 0
	s_sub_i32 s12, s5, s10
	s_delay_alu instid0(VALU_DEP_2) | instid1(SALU_CYCLE_1)
	v_cmpx_gt_i32_e64 s12, v3
	s_cbranch_execz .LBB48_12
; %bb.9:
	s_clause 0x2
	s_load_b32 s14, s[0:1], 0x0
	s_load_b128 s[4:7], s[0:1], 0x30
	s_load_b64 s[0:1], s[0:1], 0x40
	v_mov_b32_e32 v2, 0
	s_delay_alu instid0(VALU_DEP_1)
	v_mov_b32_e32 v1, v2
	s_waitcnt lgkmcnt(0)
	s_bitcmp1_b32 s14, 0
	s_cselect_b32 s14, -1, 0
	s_set_inst_prefetch_distance 0x1
	.p2align	6
.LBB48_10:                              ; =>This Inner Loop Header: Depth=1
	v_ashrrev_i32_e32 v4, 31, v3
	s_delay_alu instid0(VALU_DEP_1) | instskip(NEXT) | instid1(VALU_DEP_1)
	v_lshlrev_b64 v[9:10], 2, v[3:4]
	v_add_co_u32 v9, vcc_lo, s4, v9
	s_delay_alu instid0(VALU_DEP_2) | instskip(SKIP_3) | instid1(VALU_DEP_2)
	v_add_co_ci_u32_e32 v10, vcc_lo, s5, v10, vcc_lo
	global_load_b32 v11, v[9:10], off
	v_lshlrev_b64 v[9:10], 3, v[3:4]
	v_add_nc_u32_e32 v3, 0x100, v3
	v_add_co_u32 v9, vcc_lo, s6, v9
	s_delay_alu instid0(VALU_DEP_3) | instskip(SKIP_3) | instid1(VALU_DEP_1)
	v_add_co_ci_u32_e32 v10, vcc_lo, s7, v10, vcc_lo
	global_load_b64 v[9:10], v[9:10], off
	s_waitcnt vmcnt(1)
	v_subrev_nc_u32_e32 v11, s10, v11
	v_ashrrev_i32_e32 v12, 31, v11
	s_delay_alu instid0(VALU_DEP_1) | instskip(SKIP_2) | instid1(VALU_DEP_2)
	v_lshlrev_b64 v[11:12], 3, v[11:12]
	s_waitcnt vmcnt(0)
	v_cndmask_b32_e64 v4, v10, -v10, s14
	v_add_co_u32 v11, vcc_lo, s0, v11
	s_delay_alu instid0(VALU_DEP_3) | instskip(NEXT) | instid1(VALU_DEP_3)
	v_add_co_ci_u32_e32 v12, vcc_lo, s1, v12, vcc_lo
	v_mul_f32_e64 v10, v4, -v8
	v_mul_f32_e32 v4, v4, v7
	v_cmp_le_i32_e32 vcc_lo, s12, v3
	global_load_b64 v[11:12], v[11:12], off
	v_fmac_f32_e32 v10, v7, v9
	v_fmac_f32_e32 v4, v8, v9
	s_or_b32 s13, vcc_lo, s13
	s_waitcnt vmcnt(0)
	s_delay_alu instid0(VALU_DEP_2) | instskip(NEXT) | instid1(VALU_DEP_2)
	v_fmac_f32_e32 v1, v10, v11
	v_fmac_f32_e32 v2, v4, v11
	s_delay_alu instid0(VALU_DEP_2) | instskip(NEXT) | instid1(VALU_DEP_2)
	v_fma_f32 v1, -v4, v12, v1
	v_fmac_f32_e32 v2, v10, v12
	s_and_not1_b32 exec_lo, exec_lo, s13
	s_cbranch_execnz .LBB48_10
; %bb.11:
	s_set_inst_prefetch_distance 0x2
	s_or_b32 exec_lo, exec_lo, s13
.LBB48_12:
	s_delay_alu instid0(SALU_CYCLE_1)
	s_or_b32 exec_lo, exec_lo, s11
	v_lshlrev_b32_e32 v3, 3, v0
	s_mov_b32 s0, exec_lo
	ds_store_b64 v3, v[1:2]
	s_waitcnt lgkmcnt(0)
	s_barrier
	buffer_gl0_inv
	v_cmpx_gt_u32_e32 0x80, v0
	s_cbranch_execz .LBB48_14
; %bb.13:
	ds_load_2addr_stride64_b64 v[7:10], v3 offset1:2
	s_waitcnt lgkmcnt(0)
	v_dual_add_f32 v1, v9, v7 :: v_dual_add_f32 v2, v10, v8
	ds_store_b64 v3, v[1:2]
.LBB48_14:
	s_or_b32 exec_lo, exec_lo, s0
	s_delay_alu instid0(SALU_CYCLE_1)
	s_mov_b32 s0, exec_lo
	s_waitcnt lgkmcnt(0)
	s_barrier
	buffer_gl0_inv
	v_cmpx_gt_u32_e32 64, v0
	s_cbranch_execz .LBB48_16
; %bb.15:
	ds_load_2addr_stride64_b64 v[7:10], v3 offset1:1
	s_waitcnt lgkmcnt(0)
	v_dual_add_f32 v1, v9, v7 :: v_dual_add_f32 v2, v10, v8
	ds_store_b64 v3, v[1:2]
.LBB48_16:
	s_or_b32 exec_lo, exec_lo, s0
	s_delay_alu instid0(SALU_CYCLE_1)
	s_mov_b32 s0, exec_lo
	s_waitcnt lgkmcnt(0)
	s_barrier
	buffer_gl0_inv
	v_cmpx_gt_u32_e32 32, v0
	s_cbranch_execz .LBB48_18
; %bb.17:
	ds_load_2addr_b64 v[7:10], v3 offset1:32
	s_waitcnt lgkmcnt(0)
	v_dual_add_f32 v1, v9, v7 :: v_dual_add_f32 v2, v10, v8
	ds_store_b64 v3, v[1:2]
.LBB48_18:
	s_or_b32 exec_lo, exec_lo, s0
	s_delay_alu instid0(SALU_CYCLE_1)
	s_mov_b32 s0, exec_lo
	s_waitcnt lgkmcnt(0)
	s_barrier
	buffer_gl0_inv
	v_cmpx_gt_u32_e32 16, v0
	s_cbranch_execz .LBB48_20
; %bb.19:
	ds_load_2addr_b64 v[7:10], v3 offset1:16
	s_waitcnt lgkmcnt(0)
	v_dual_add_f32 v1, v9, v7 :: v_dual_add_f32 v2, v10, v8
	ds_store_b64 v3, v[1:2]
.LBB48_20:
	;; [unrolled: 14-line block ×5, first 2 shown]
	s_or_b32 exec_lo, exec_lo, s0
	v_cmp_eq_u32_e32 vcc_lo, 0, v0
	s_waitcnt lgkmcnt(0)
	s_barrier
	buffer_gl0_inv
	s_and_saveexec_b32 s0, vcc_lo
	s_cbranch_execz .LBB48_28
; %bb.27:
	v_mov_b32_e32 v4, 0
	ds_load_2addr_b64 v[0:3], v4 offset1:1
	s_waitcnt lgkmcnt(0)
	v_dual_add_f32 v1, v3, v1 :: v_dual_add_f32 v0, v2, v0
	ds_store_b64 v4, v[0:1]
.LBB48_28:
	s_or_b32 exec_lo, exec_lo, s0
	s_waitcnt lgkmcnt(0)
	s_barrier
	buffer_gl0_inv
	s_and_b32 exec_lo, exec_lo, vcc_lo
	s_cbranch_execz .LBB48_32
; %bb.29:
	v_mov_b32_e32 v2, 0
	v_cmp_neq_f32_e32 vcc_lo, 0, v5
	v_cmp_neq_f32_e64 s0, 0, v6
	ds_load_b64 v[0:1], v2
	s_or_b32 s1, vcc_lo, s0
	s_delay_alu instid0(SALU_CYCLE_1)
	s_and_saveexec_b32 s0, s1
	s_cbranch_execz .LBB48_31
; %bb.30:
	s_lshl_b64 s[4:5], s[2:3], 3
	s_delay_alu instid0(SALU_CYCLE_1)
	s_add_u32 s4, s8, s4
	s_addc_u32 s5, s9, s5
	s_load_b64 s[4:5], s[4:5], 0x0
	s_waitcnt lgkmcnt(0)
	v_fma_f32 v0, s4, v5, v0
	v_fmac_f32_e32 v1, s4, v6
	s_delay_alu instid0(VALU_DEP_2) | instskip(NEXT) | instid1(VALU_DEP_2)
	v_fma_f32 v0, -v6, s5, v0
	v_fmac_f32_e32 v1, s5, v5
.LBB48_31:
	s_or_b32 exec_lo, exec_lo, s0
	s_lshl_b64 s[0:1], s[2:3], 3
	s_delay_alu instid0(SALU_CYCLE_1)
	s_add_u32 s0, s8, s0
	s_addc_u32 s1, s9, s1
	s_waitcnt lgkmcnt(0)
	global_store_b64 v2, v[0:1], s[0:1]
.LBB48_32:
	s_nop 0
	s_sendmsg sendmsg(MSG_DEALLOC_VGPRS)
	s_endpgm
.LBB48_33:
	v_dual_mov_b32 v1, s4 :: v_dual_mov_b32 v2, s5
	flat_load_b32 v7, v[1:2]
	v_cndmask_b32_e64 v1, 0, 1, s6
	v_mov_b32_e32 v8, s5
	s_and_not1_b32 vcc_lo, exec_lo, s6
	s_cbranch_vccnz .LBB48_2
.LBB48_34:
	v_dual_mov_b32 v2, s4 :: v_dual_mov_b32 v3, s5
	flat_load_b32 v8, v[2:3] offset:4
	v_cmp_ne_u32_e32 vcc_lo, 1, v1
	v_mov_b32_e32 v5, s2
	s_cbranch_vccnz .LBB48_3
.LBB48_35:
	v_dual_mov_b32 v2, s2 :: v_dual_mov_b32 v3, s3
	flat_load_b32 v5, v[2:3]
	v_cmp_ne_u32_e32 vcc_lo, 1, v1
	v_mov_b32_e32 v6, s3
	s_cbranch_vccz .LBB48_4
	s_branch .LBB48_5
	.section	.rodata,"a",@progbits
	.p2align	6, 0x0
	.amdhsa_kernel _ZN9rocsparseL29csrmvn_lrb_medium_rows_kernelILj256Eii21rocsparse_complex_numIfES2_S2_S2_EEvbT0_PT1_S5_jNS_24const_host_device_scalarIT5_EEPKS3_PKS4_PKT2_PKT3_S8_PT4_21rocsparse_index_base_b
		.amdhsa_group_segment_fixed_size 2048
		.amdhsa_private_segment_fixed_size 0
		.amdhsa_kernarg_size 96
		.amdhsa_user_sgpr_count 15
		.amdhsa_user_sgpr_dispatch_ptr 0
		.amdhsa_user_sgpr_queue_ptr 0
		.amdhsa_user_sgpr_kernarg_segment_ptr 1
		.amdhsa_user_sgpr_dispatch_id 0
		.amdhsa_user_sgpr_private_segment_size 0
		.amdhsa_wavefront_size32 1
		.amdhsa_uses_dynamic_stack 0
		.amdhsa_enable_private_segment 0
		.amdhsa_system_sgpr_workgroup_id_x 1
		.amdhsa_system_sgpr_workgroup_id_y 0
		.amdhsa_system_sgpr_workgroup_id_z 0
		.amdhsa_system_sgpr_workgroup_info 0
		.amdhsa_system_vgpr_workitem_id 0
		.amdhsa_next_free_vgpr 13
		.amdhsa_next_free_sgpr 16
		.amdhsa_reserve_vcc 1
		.amdhsa_float_round_mode_32 0
		.amdhsa_float_round_mode_16_64 0
		.amdhsa_float_denorm_mode_32 3
		.amdhsa_float_denorm_mode_16_64 3
		.amdhsa_dx10_clamp 1
		.amdhsa_ieee_mode 1
		.amdhsa_fp16_overflow 0
		.amdhsa_workgroup_processor_mode 1
		.amdhsa_memory_ordered 1
		.amdhsa_forward_progress 0
		.amdhsa_shared_vgpr_count 0
		.amdhsa_exception_fp_ieee_invalid_op 0
		.amdhsa_exception_fp_denorm_src 0
		.amdhsa_exception_fp_ieee_div_zero 0
		.amdhsa_exception_fp_ieee_overflow 0
		.amdhsa_exception_fp_ieee_underflow 0
		.amdhsa_exception_fp_ieee_inexact 0
		.amdhsa_exception_int_div_zero 0
	.end_amdhsa_kernel
	.section	.text._ZN9rocsparseL29csrmvn_lrb_medium_rows_kernelILj256Eii21rocsparse_complex_numIfES2_S2_S2_EEvbT0_PT1_S5_jNS_24const_host_device_scalarIT5_EEPKS3_PKS4_PKT2_PKT3_S8_PT4_21rocsparse_index_base_b,"axG",@progbits,_ZN9rocsparseL29csrmvn_lrb_medium_rows_kernelILj256Eii21rocsparse_complex_numIfES2_S2_S2_EEvbT0_PT1_S5_jNS_24const_host_device_scalarIT5_EEPKS3_PKS4_PKT2_PKT3_S8_PT4_21rocsparse_index_base_b,comdat
.Lfunc_end48:
	.size	_ZN9rocsparseL29csrmvn_lrb_medium_rows_kernelILj256Eii21rocsparse_complex_numIfES2_S2_S2_EEvbT0_PT1_S5_jNS_24const_host_device_scalarIT5_EEPKS3_PKS4_PKT2_PKT3_S8_PT4_21rocsparse_index_base_b, .Lfunc_end48-_ZN9rocsparseL29csrmvn_lrb_medium_rows_kernelILj256Eii21rocsparse_complex_numIfES2_S2_S2_EEvbT0_PT1_S5_jNS_24const_host_device_scalarIT5_EEPKS3_PKS4_PKT2_PKT3_S8_PT4_21rocsparse_index_base_b
                                        ; -- End function
	.section	.AMDGPU.csdata,"",@progbits
; Kernel info:
; codeLenInByte = 1436
; NumSgprs: 18
; NumVgprs: 13
; ScratchSize: 0
; MemoryBound: 0
; FloatMode: 240
; IeeeMode: 1
; LDSByteSize: 2048 bytes/workgroup (compile time only)
; SGPRBlocks: 2
; VGPRBlocks: 1
; NumSGPRsForWavesPerEU: 18
; NumVGPRsForWavesPerEU: 13
; Occupancy: 16
; WaveLimiterHint : 1
; COMPUTE_PGM_RSRC2:SCRATCH_EN: 0
; COMPUTE_PGM_RSRC2:USER_SGPR: 15
; COMPUTE_PGM_RSRC2:TRAP_HANDLER: 0
; COMPUTE_PGM_RSRC2:TGID_X_EN: 1
; COMPUTE_PGM_RSRC2:TGID_Y_EN: 0
; COMPUTE_PGM_RSRC2:TGID_Z_EN: 0
; COMPUTE_PGM_RSRC2:TIDIG_COMP_CNT: 0
	.section	.text._ZN9rocsparseL27csrmvn_lrb_long_rows_kernelIii21rocsparse_complex_numIfES2_S2_S2_EEvbT_PjPT0_S6_jNS_24const_host_device_scalarIT4_EEPKS3_PKS5_PKT1_PKT2_S9_PT3_21rocsparse_index_base_b,"axG",@progbits,_ZN9rocsparseL27csrmvn_lrb_long_rows_kernelIii21rocsparse_complex_numIfES2_S2_S2_EEvbT_PjPT0_S6_jNS_24const_host_device_scalarIT4_EEPKS3_PKS5_PKT1_PKT2_S9_PT3_21rocsparse_index_base_b,comdat
	.globl	_ZN9rocsparseL27csrmvn_lrb_long_rows_kernelIii21rocsparse_complex_numIfES2_S2_S2_EEvbT_PjPT0_S6_jNS_24const_host_device_scalarIT4_EEPKS3_PKS5_PKT1_PKT2_S9_PT3_21rocsparse_index_base_b ; -- Begin function _ZN9rocsparseL27csrmvn_lrb_long_rows_kernelIii21rocsparse_complex_numIfES2_S2_S2_EEvbT_PjPT0_S6_jNS_24const_host_device_scalarIT4_EEPKS3_PKS5_PKT1_PKT2_S9_PT3_21rocsparse_index_base_b
	.p2align	8
	.type	_ZN9rocsparseL27csrmvn_lrb_long_rows_kernelIii21rocsparse_complex_numIfES2_S2_S2_EEvbT_PjPT0_S6_jNS_24const_host_device_scalarIT4_EEPKS3_PKS5_PKT1_PKT2_S9_PT3_21rocsparse_index_base_b,@function
_ZN9rocsparseL27csrmvn_lrb_long_rows_kernelIii21rocsparse_complex_numIfES2_S2_S2_EEvbT_PjPT0_S6_jNS_24const_host_device_scalarIT4_EEPKS3_PKS5_PKT1_PKT2_S9_PT3_21rocsparse_index_base_b: ; @_ZN9rocsparseL27csrmvn_lrb_long_rows_kernelIii21rocsparse_complex_numIfES2_S2_S2_EEvbT_PjPT0_S6_jNS_24const_host_device_scalarIT4_EEPKS3_PKS5_PKT1_PKT2_S9_PT3_21rocsparse_index_base_b
; %bb.0:
	s_clause 0x2
	s_load_b64 s[16:17], s[0:1], 0x60
	s_load_b64 s[4:5], s[0:1], 0x28
	;; [unrolled: 1-line block ×3, first 2 shown]
	s_mov_b32 s8, s15
	s_waitcnt lgkmcnt(0)
	s_bitcmp1_b32 s17, 0
	v_mov_b32_e32 v5, s4
	s_cselect_b32 s6, -1, 0
	s_delay_alu instid0(SALU_CYCLE_1)
	s_and_b32 vcc_lo, exec_lo, s6
	s_xor_b32 s6, s6, -1
	s_cbranch_vccz .LBB49_38
; %bb.1:
	v_cndmask_b32_e64 v1, 0, 1, s6
	v_mov_b32_e32 v6, s5
	s_and_not1_b32 vcc_lo, exec_lo, s6
	s_cbranch_vccz .LBB49_39
.LBB49_2:
	s_delay_alu instid0(VALU_DEP_2)
	v_cmp_ne_u32_e32 vcc_lo, 1, v1
	v_mov_b32_e32 v4, s2
	s_cbranch_vccz .LBB49_40
.LBB49_3:
	v_cmp_ne_u32_e32 vcc_lo, 1, v1
	v_mov_b32_e32 v3, s3
	s_cbranch_vccnz .LBB49_5
.LBB49_4:
	v_dual_mov_b32 v1, s2 :: v_dual_mov_b32 v2, s3
	flat_load_b32 v3, v[1:2] offset:4
.LBB49_5:
	s_waitcnt vmcnt(0) lgkmcnt(0)
	v_cmp_eq_f32_e32 vcc_lo, 0, v5
	v_cmp_eq_f32_e64 s2, 0, v6
	s_delay_alu instid0(VALU_DEP_1)
	s_and_b32 s4, vcc_lo, s2
	s_mov_b32 s2, -1
	s_and_saveexec_b32 s3, s4
; %bb.6:
	v_cmp_neq_f32_e32 vcc_lo, 1.0, v4
	v_cmp_neq_f32_e64 s2, 0, v3
	s_delay_alu instid0(VALU_DEP_1) | instskip(NEXT) | instid1(SALU_CYCLE_1)
	s_or_b32 s2, vcc_lo, s2
	s_or_not1_b32 s2, s2, exec_lo
; %bb.7:
	s_or_b32 exec_lo, exec_lo, s3
	s_and_saveexec_b32 s3, s2
	s_cbranch_execz .LBB49_48
; %bb.8:
	s_clause 0x1
	s_load_b32 s2, s[0:1], 0x20
	s_load_b64 s[4:5], s[0:1], 0x18
	s_mov_b32 s3, 0
	v_mov_b32_e32 v2, 0
	s_waitcnt lgkmcnt(0)
	s_lshl_b64 s[6:7], s[2:3], 2
	s_delay_alu instid0(SALU_CYCLE_1)
	s_add_u32 s4, s4, s6
	s_addc_u32 s5, s5, s7
	s_lshl_b32 s2, -1, s2
	s_load_b32 s10, s[4:5], 0x0
	s_not_b32 s2, s2
	s_load_b128 s[4:7], s[0:1], 0x8
	s_mul_hi_u32 s2, s2, 0x2aaaaaab
	s_delay_alu instid0(SALU_CYCLE_1) | instskip(NEXT) | instid1(SALU_CYCLE_1)
	s_lshr_b32 s2, s2, 7
	s_add_i32 s9, s2, 1
	s_not_b32 s2, s2
	v_cvt_f32_u32_e32 v1, s9
	s_delay_alu instid0(VALU_DEP_1) | instskip(SKIP_2) | instid1(VALU_DEP_1)
	v_rcp_iflag_f32_e32 v1, v1
	s_waitcnt_depctr 0xfff
	v_mul_f32_e32 v1, 0x4f7ffffe, v1
	v_cvt_u32_f32_e32 v1, v1
	s_delay_alu instid0(VALU_DEP_1) | instskip(NEXT) | instid1(VALU_DEP_1)
	v_readfirstlane_b32 s3, v1
	s_mul_i32 s2, s2, s3
	s_delay_alu instid0(SALU_CYCLE_1) | instskip(NEXT) | instid1(SALU_CYCLE_1)
	s_mul_hi_u32 s2, s3, s2
	s_add_i32 s3, s3, s2
	s_delay_alu instid0(SALU_CYCLE_1) | instskip(NEXT) | instid1(SALU_CYCLE_1)
	s_mul_hi_u32 s2, s8, s3
	s_mul_i32 s3, s2, s9
	s_add_i32 s11, s2, 1
	s_sub_i32 s3, s8, s3
	s_delay_alu instid0(SALU_CYCLE_1)
	s_sub_i32 s12, s3, s9
	s_cmp_ge_u32 s3, s9
	s_cselect_b32 s2, s11, s2
	s_cselect_b32 s3, s12, s3
	s_add_i32 s11, s2, 1
	s_cmp_ge_u32 s3, s9
	s_cselect_b32 s11, s11, s2
	s_waitcnt lgkmcnt(0)
	s_add_i32 s2, s11, s10
	s_mul_i32 s14, s11, s9
	s_ashr_i32 s3, s2, 31
	s_sub_i32 s18, s8, s14
	s_lshl_b64 s[2:3], s[2:3], 2
	v_or_b32_e32 v1, s18, v0
	s_add_u32 s2, s6, s2
	s_addc_u32 s3, s7, s3
	s_load_b32 s2, s[2:3], 0x0
	s_load_b64 s[6:7], s[0:1], 0x30
	v_cmp_eq_u32_e32 vcc_lo, 0, v1
	v_mov_b32_e32 v1, 0
	s_waitcnt lgkmcnt(0)
	s_ashr_i32 s3, s2, 31
	s_delay_alu instid0(SALU_CYCLE_1) | instskip(NEXT) | instid1(SALU_CYCLE_1)
	s_lshl_b64 s[10:11], s[2:3], 2
	s_add_u32 s10, s6, s10
	s_addc_u32 s11, s7, s11
	s_ashr_i32 s9, s8, 31
	s_load_b64 s[6:7], s[0:1], 0x58
	s_lshl_b64 s[8:9], s[8:9], 2
	s_delay_alu instid0(SALU_CYCLE_1)
	s_add_u32 s12, s4, s8
	s_addc_u32 s13, s5, s9
	s_load_b64 s[8:9], s[10:11], 0x0
	s_load_b32 s17, s[12:13], 0x0
	s_and_saveexec_b32 s19, vcc_lo
	s_cbranch_execz .LBB49_12
; %bb.9:
	s_lshl_b64 s[10:11], s[2:3], 3
	v_add_f32_e32 v4, -1.0, v4
	s_waitcnt lgkmcnt(0)
	s_add_u32 s10, s6, s10
	s_addc_u32 s11, s7, s11
	s_mov_b32 s20, exec_lo
	s_load_b64 s[10:11], s[10:11], 0x0
	v_mbcnt_lo_u32_b32 v7, s20, 0
	s_waitcnt vmcnt(0) expcnt(0) lgkmcnt(0)
	v_mul_f32_e64 v1, s11, -v3
	v_mul_f32_e32 v2, s11, v4
	s_mov_b32 s11, exec_lo
	v_cmpx_eq_u32_e32 0, v7
	s_cbranch_execz .LBB49_11
; %bb.10:
	s_ashr_i32 s15, s14, 31
	s_delay_alu instid0(SALU_CYCLE_1) | instskip(NEXT) | instid1(SALU_CYCLE_1)
	s_lshl_b64 s[22:23], s[14:15], 2
	s_add_u32 s22, s4, s22
	s_addc_u32 s23, s5, s23
	s_bcnt1_i32_b32 s15, s20
	s_delay_alu instid0(SALU_CYCLE_1) | instskip(NEXT) | instid1(SALU_CYCLE_1)
	s_and_b32 s15, s15, 1
	v_dual_mov_b32 v7, 0 :: v_dual_mov_b32 v8, s15
	global_atomic_xor_b32 v7, v8, s[22:23]
.LBB49_11:
	s_or_b32 exec_lo, exec_lo, s11
	v_dual_fmac_f32 v1, s10, v4 :: v_dual_fmac_f32 v2, s10, v3
.LBB49_12:
	s_or_b32 exec_lo, exec_lo, s19
	s_mul_i32 s10, s18, 0x300
	s_waitcnt lgkmcnt(0)
	s_sub_i32 s9, s9, s16
	s_sub_i32 s10, s10, s16
	s_mov_b32 s15, exec_lo
	s_add_i32 s8, s10, s8
	s_delay_alu instid0(SALU_CYCLE_1) | instskip(SKIP_1) | instid1(SALU_CYCLE_1)
	v_add_nc_u32_e32 v3, s8, v0
	s_addk_i32 s8, 0x300
	s_min_i32 s19, s8, s9
	s_delay_alu instid0(VALU_DEP_1) | instid1(SALU_CYCLE_1)
	v_cmpx_gt_i32_e64 s19, v3
	s_cbranch_execz .LBB49_16
; %bb.13:
	s_clause 0x2
	s_load_b32 s20, s[0:1], 0x0
	s_load_b128 s[8:11], s[0:1], 0x38
	s_load_b64 s[0:1], s[0:1], 0x48
	s_waitcnt lgkmcnt(0)
	s_bitcmp1_b32 s20, 0
	s_mov_b32 s20, 0
	s_cselect_b32 s21, -1, 0
	s_set_inst_prefetch_distance 0x1
	.p2align	6
.LBB49_14:                              ; =>This Inner Loop Header: Depth=1
	v_ashrrev_i32_e32 v4, 31, v3
	s_delay_alu instid0(VALU_DEP_1) | instskip(NEXT) | instid1(VALU_DEP_1)
	v_lshlrev_b64 v[7:8], 2, v[3:4]
	v_add_co_u32 v7, vcc_lo, s8, v7
	s_delay_alu instid0(VALU_DEP_2) | instskip(SKIP_3) | instid1(VALU_DEP_2)
	v_add_co_ci_u32_e32 v8, vcc_lo, s9, v8, vcc_lo
	global_load_b32 v9, v[7:8], off
	v_lshlrev_b64 v[7:8], 3, v[3:4]
	v_add_nc_u32_e32 v3, 0x100, v3
	v_add_co_u32 v7, vcc_lo, s10, v7
	s_delay_alu instid0(VALU_DEP_3) | instskip(SKIP_3) | instid1(VALU_DEP_1)
	v_add_co_ci_u32_e32 v8, vcc_lo, s11, v8, vcc_lo
	global_load_b64 v[7:8], v[7:8], off
	s_waitcnt vmcnt(1)
	v_subrev_nc_u32_e32 v9, s16, v9
	v_ashrrev_i32_e32 v10, 31, v9
	s_delay_alu instid0(VALU_DEP_1) | instskip(SKIP_2) | instid1(VALU_DEP_2)
	v_lshlrev_b64 v[9:10], 3, v[9:10]
	s_waitcnt vmcnt(0)
	v_cndmask_b32_e64 v4, v8, -v8, s21
	v_add_co_u32 v9, vcc_lo, s0, v9
	s_delay_alu instid0(VALU_DEP_3) | instskip(NEXT) | instid1(VALU_DEP_3)
	v_add_co_ci_u32_e32 v10, vcc_lo, s1, v10, vcc_lo
	v_mul_f32_e64 v8, v4, -v6
	v_mul_f32_e32 v4, v4, v5
	v_cmp_le_i32_e32 vcc_lo, s19, v3
	global_load_b64 v[9:10], v[9:10], off
	v_fmac_f32_e32 v8, v5, v7
	v_fmac_f32_e32 v4, v6, v7
	s_or_b32 s20, vcc_lo, s20
	s_waitcnt vmcnt(0)
	s_delay_alu instid0(VALU_DEP_2) | instskip(NEXT) | instid1(VALU_DEP_2)
	v_fmac_f32_e32 v1, v8, v9
	v_fmac_f32_e32 v2, v4, v9
	s_delay_alu instid0(VALU_DEP_2) | instskip(NEXT) | instid1(VALU_DEP_2)
	v_fma_f32 v1, -v4, v10, v1
	v_fmac_f32_e32 v2, v8, v10
	s_and_not1_b32 exec_lo, exec_lo, s20
	s_cbranch_execnz .LBB49_14
; %bb.15:
	s_set_inst_prefetch_distance 0x2
	s_or_b32 exec_lo, exec_lo, s20
.LBB49_16:
	s_delay_alu instid0(SALU_CYCLE_1)
	s_or_b32 exec_lo, exec_lo, s15
	v_lshlrev_b32_e32 v3, 3, v0
	s_mov_b32 s0, exec_lo
	ds_store_b64 v3, v[1:2]
	s_waitcnt lgkmcnt(0)
	s_waitcnt_vscnt null, 0x0
	s_barrier
	buffer_gl0_inv
	v_cmpx_gt_u32_e32 0x80, v0
	s_cbranch_execz .LBB49_18
; %bb.17:
	ds_load_2addr_stride64_b64 v[4:7], v3 offset1:2
	s_waitcnt lgkmcnt(0)
	v_dual_add_f32 v1, v6, v4 :: v_dual_add_f32 v2, v7, v5
	ds_store_b64 v3, v[1:2]
.LBB49_18:
	s_or_b32 exec_lo, exec_lo, s0
	s_delay_alu instid0(SALU_CYCLE_1)
	s_mov_b32 s0, exec_lo
	s_waitcnt lgkmcnt(0)
	s_barrier
	buffer_gl0_inv
	v_cmpx_gt_u32_e32 64, v0
	s_cbranch_execz .LBB49_20
; %bb.19:
	ds_load_2addr_stride64_b64 v[4:7], v3 offset1:1
	s_waitcnt lgkmcnt(0)
	v_dual_add_f32 v1, v6, v4 :: v_dual_add_f32 v2, v7, v5
	ds_store_b64 v3, v[1:2]
.LBB49_20:
	s_or_b32 exec_lo, exec_lo, s0
	s_delay_alu instid0(SALU_CYCLE_1)
	s_mov_b32 s0, exec_lo
	s_waitcnt lgkmcnt(0)
	s_barrier
	buffer_gl0_inv
	v_cmpx_gt_u32_e32 32, v0
	s_cbranch_execz .LBB49_22
; %bb.21:
	ds_load_2addr_b64 v[4:7], v3 offset1:32
	s_waitcnt lgkmcnt(0)
	v_dual_add_f32 v1, v6, v4 :: v_dual_add_f32 v2, v7, v5
	ds_store_b64 v3, v[1:2]
.LBB49_22:
	s_or_b32 exec_lo, exec_lo, s0
	s_delay_alu instid0(SALU_CYCLE_1)
	s_mov_b32 s0, exec_lo
	s_waitcnt lgkmcnt(0)
	s_barrier
	buffer_gl0_inv
	v_cmpx_gt_u32_e32 16, v0
	s_cbranch_execz .LBB49_24
; %bb.23:
	ds_load_2addr_b64 v[4:7], v3 offset1:16
	s_waitcnt lgkmcnt(0)
	v_dual_add_f32 v1, v6, v4 :: v_dual_add_f32 v2, v7, v5
	ds_store_b64 v3, v[1:2]
.LBB49_24:
	;; [unrolled: 14-line block ×5, first 2 shown]
	s_or_b32 exec_lo, exec_lo, s0
	v_cmp_eq_u32_e32 vcc_lo, 0, v0
	s_waitcnt lgkmcnt(0)
	s_barrier
	buffer_gl0_inv
	s_and_saveexec_b32 s0, vcc_lo
	s_cbranch_execz .LBB49_32
; %bb.31:
	v_mov_b32_e32 v4, 0
	ds_load_2addr_b64 v[0:3], v4 offset1:1
	s_waitcnt lgkmcnt(0)
	v_dual_add_f32 v1, v3, v1 :: v_dual_add_f32 v0, v2, v0
	ds_store_b64 v4, v[0:1]
.LBB49_32:
	s_or_b32 exec_lo, exec_lo, s0
	s_waitcnt lgkmcnt(0)
	s_barrier
	buffer_gl0_inv
	s_and_b32 exec_lo, exec_lo, vcc_lo
	s_cbranch_execz .LBB49_48
; %bb.33:
	s_cmp_eq_u32 s18, 0
	s_cbranch_scc1 .LBB49_42
; %bb.34:
	s_ashr_i32 s15, s14, 31
	v_mov_b32_e32 v0, 0
	s_lshl_b64 s[0:1], s[14:15], 2
	s_delay_alu instid0(SALU_CYCLE_1)
	s_add_u32 s0, s4, s0
	s_addc_u32 s1, s5, s1
	s_branch .LBB49_36
.LBB49_35:                              ;   in Loop: Header=BB49_36 Depth=1
	s_or_b32 exec_lo, exec_lo, s4
	s_waitcnt vmcnt(0)
	v_readfirstlane_b32 s4, v1
	s_delay_alu instid0(VALU_DEP_1)
	s_cmp_eq_u32 s4, s17
	s_cbranch_scc0 .LBB49_41
.LBB49_36:                              ; =>This Inner Loop Header: Depth=1
	v_mbcnt_lo_u32_b32 v1, exec_lo, 0
	s_delay_alu instid0(VALU_DEP_1)
	v_cmp_eq_u32_e32 vcc_lo, 0, v1
                                        ; implicit-def: $vgpr1
	s_and_saveexec_b32 s4, vcc_lo
	s_cbranch_execz .LBB49_35
; %bb.37:                               ;   in Loop: Header=BB49_36 Depth=1
	global_load_b32 v1, v0, s[0:1] glc
	s_branch .LBB49_35
.LBB49_38:
	v_dual_mov_b32 v1, s4 :: v_dual_mov_b32 v2, s5
	flat_load_b32 v5, v[1:2]
	v_cndmask_b32_e64 v1, 0, 1, s6
	v_mov_b32_e32 v6, s5
	s_and_not1_b32 vcc_lo, exec_lo, s6
	s_cbranch_vccnz .LBB49_2
.LBB49_39:
	v_dual_mov_b32 v2, s4 :: v_dual_mov_b32 v3, s5
	flat_load_b32 v6, v[2:3] offset:4
	v_cmp_ne_u32_e32 vcc_lo, 1, v1
	v_mov_b32_e32 v4, s2
	s_cbranch_vccnz .LBB49_3
.LBB49_40:
	v_dual_mov_b32 v2, s2 :: v_dual_mov_b32 v3, s3
	flat_load_b32 v4, v[2:3]
	v_cmp_ne_u32_e32 vcc_lo, 1, v1
	v_mov_b32_e32 v3, s3
	s_cbranch_vccz .LBB49_4
	s_branch .LBB49_5
.LBB49_41:
	v_mov_b32_e32 v0, 0
	global_load_b32 v1, v0, s[12:13]
	s_waitcnt vmcnt(0)
	v_xor_b32_e32 v1, 1, v1
	global_store_b32 v0, v1, s[12:13]
.LBB49_42:
	v_mov_b32_e32 v4, 0
	s_mov_b32 s4, exec_lo
	s_lshl_b64 s[0:1], s[2:3], 3
	v_mbcnt_lo_u32_b32 v2, s4, 0
	s_add_u32 s0, s6, s0
	ds_load_b64 v[0:1], v4
	s_addc_u32 s1, s7, s1
	s_mov_b32 s2, exec_lo
	v_cmpx_eq_u32_e32 0, v2
	s_cbranch_execz .LBB49_45
; %bb.43:
	global_load_b32 v3, v4, s[0:1]
	s_bcnt1_i32_b32 s3, s4
	s_delay_alu instid0(SALU_CYCLE_1) | instskip(SKIP_2) | instid1(VALU_DEP_1)
	v_cvt_f32_ubyte0_e32 v2, s3
	s_mov_b32 s3, 0
	s_waitcnt lgkmcnt(0)
	v_mul_f32_e32 v0, v0, v2
.LBB49_44:                              ; =>This Inner Loop Header: Depth=1
	s_waitcnt vmcnt(0)
	s_delay_alu instid0(VALU_DEP_1)
	v_add_f32_e32 v2, v3, v0
	global_atomic_cmpswap_b32 v2, v4, v[2:3], s[0:1] glc
	s_waitcnt vmcnt(0)
	v_cmp_eq_u32_e32 vcc_lo, v2, v3
	v_mov_b32_e32 v3, v2
	s_or_b32 s3, vcc_lo, s3
	s_delay_alu instid0(SALU_CYCLE_1)
	s_and_not1_b32 exec_lo, exec_lo, s3
	s_cbranch_execnz .LBB49_44
.LBB49_45:
	s_or_b32 exec_lo, exec_lo, s2
	s_delay_alu instid0(SALU_CYCLE_1) | instskip(SKIP_3) | instid1(VALU_DEP_1)
	s_mov_b32 s3, exec_lo
	s_mov_b32 s2, 0
	s_waitcnt lgkmcnt(0)
	v_mbcnt_lo_u32_b32 v0, s3, 0
	v_cmp_eq_u32_e32 vcc_lo, 0, v0
	s_and_b32 s4, exec_lo, vcc_lo
	s_delay_alu instid0(SALU_CYCLE_1)
	s_mov_b32 exec_lo, s4
	s_cbranch_execz .LBB49_48
; %bb.46:
	s_bcnt1_i32_b32 s3, s3
	s_delay_alu instid0(SALU_CYCLE_1) | instskip(NEXT) | instid1(VALU_DEP_1)
	v_cvt_f32_ubyte0_e32 v3, s3
	v_dual_mov_b32 v0, 0 :: v_dual_mul_f32 v3, v1, v3
	global_load_b32 v2, v0, s[0:1] offset:4
.LBB49_47:                              ; =>This Inner Loop Header: Depth=1
	s_waitcnt vmcnt(0)
	v_add_f32_e32 v1, v2, v3
	global_atomic_cmpswap_b32 v1, v0, v[1:2], s[0:1] offset:4 glc
	s_waitcnt vmcnt(0)
	v_cmp_eq_u32_e32 vcc_lo, v1, v2
	v_mov_b32_e32 v2, v1
	s_or_b32 s2, vcc_lo, s2
	s_delay_alu instid0(SALU_CYCLE_1)
	s_and_not1_b32 exec_lo, exec_lo, s2
	s_cbranch_execnz .LBB49_47
.LBB49_48:
	s_nop 0
	s_sendmsg sendmsg(MSG_DEALLOC_VGPRS)
	s_endpgm
	.section	.rodata,"a",@progbits
	.p2align	6, 0x0
	.amdhsa_kernel _ZN9rocsparseL27csrmvn_lrb_long_rows_kernelIii21rocsparse_complex_numIfES2_S2_S2_EEvbT_PjPT0_S6_jNS_24const_host_device_scalarIT4_EEPKS3_PKS5_PKT1_PKT2_S9_PT3_21rocsparse_index_base_b
		.amdhsa_group_segment_fixed_size 2048
		.amdhsa_private_segment_fixed_size 0
		.amdhsa_kernarg_size 104
		.amdhsa_user_sgpr_count 15
		.amdhsa_user_sgpr_dispatch_ptr 0
		.amdhsa_user_sgpr_queue_ptr 0
		.amdhsa_user_sgpr_kernarg_segment_ptr 1
		.amdhsa_user_sgpr_dispatch_id 0
		.amdhsa_user_sgpr_private_segment_size 0
		.amdhsa_wavefront_size32 1
		.amdhsa_uses_dynamic_stack 0
		.amdhsa_enable_private_segment 0
		.amdhsa_system_sgpr_workgroup_id_x 1
		.amdhsa_system_sgpr_workgroup_id_y 0
		.amdhsa_system_sgpr_workgroup_id_z 0
		.amdhsa_system_sgpr_workgroup_info 0
		.amdhsa_system_vgpr_workitem_id 0
		.amdhsa_next_free_vgpr 11
		.amdhsa_next_free_sgpr 24
		.amdhsa_reserve_vcc 1
		.amdhsa_float_round_mode_32 0
		.amdhsa_float_round_mode_16_64 0
		.amdhsa_float_denorm_mode_32 3
		.amdhsa_float_denorm_mode_16_64 3
		.amdhsa_dx10_clamp 1
		.amdhsa_ieee_mode 1
		.amdhsa_fp16_overflow 0
		.amdhsa_workgroup_processor_mode 1
		.amdhsa_memory_ordered 1
		.amdhsa_forward_progress 0
		.amdhsa_shared_vgpr_count 0
		.amdhsa_exception_fp_ieee_invalid_op 0
		.amdhsa_exception_fp_denorm_src 0
		.amdhsa_exception_fp_ieee_div_zero 0
		.amdhsa_exception_fp_ieee_overflow 0
		.amdhsa_exception_fp_ieee_underflow 0
		.amdhsa_exception_fp_ieee_inexact 0
		.amdhsa_exception_int_div_zero 0
	.end_amdhsa_kernel
	.section	.text._ZN9rocsparseL27csrmvn_lrb_long_rows_kernelIii21rocsparse_complex_numIfES2_S2_S2_EEvbT_PjPT0_S6_jNS_24const_host_device_scalarIT4_EEPKS3_PKS5_PKT1_PKT2_S9_PT3_21rocsparse_index_base_b,"axG",@progbits,_ZN9rocsparseL27csrmvn_lrb_long_rows_kernelIii21rocsparse_complex_numIfES2_S2_S2_EEvbT_PjPT0_S6_jNS_24const_host_device_scalarIT4_EEPKS3_PKS5_PKT1_PKT2_S9_PT3_21rocsparse_index_base_b,comdat
.Lfunc_end49:
	.size	_ZN9rocsparseL27csrmvn_lrb_long_rows_kernelIii21rocsparse_complex_numIfES2_S2_S2_EEvbT_PjPT0_S6_jNS_24const_host_device_scalarIT4_EEPKS3_PKS5_PKT1_PKT2_S9_PT3_21rocsparse_index_base_b, .Lfunc_end49-_ZN9rocsparseL27csrmvn_lrb_long_rows_kernelIii21rocsparse_complex_numIfES2_S2_S2_EEvbT_PjPT0_S6_jNS_24const_host_device_scalarIT4_EEPKS3_PKS5_PKT1_PKT2_S9_PT3_21rocsparse_index_base_b
                                        ; -- End function
	.section	.AMDGPU.csdata,"",@progbits
; Kernel info:
; codeLenInByte = 2028
; NumSgprs: 26
; NumVgprs: 11
; ScratchSize: 0
; MemoryBound: 0
; FloatMode: 240
; IeeeMode: 1
; LDSByteSize: 2048 bytes/workgroup (compile time only)
; SGPRBlocks: 3
; VGPRBlocks: 1
; NumSGPRsForWavesPerEU: 26
; NumVGPRsForWavesPerEU: 11
; Occupancy: 16
; WaveLimiterHint : 1
; COMPUTE_PGM_RSRC2:SCRATCH_EN: 0
; COMPUTE_PGM_RSRC2:USER_SGPR: 15
; COMPUTE_PGM_RSRC2:TRAP_HANDLER: 0
; COMPUTE_PGM_RSRC2:TGID_X_EN: 1
; COMPUTE_PGM_RSRC2:TGID_Y_EN: 0
; COMPUTE_PGM_RSRC2:TGID_Z_EN: 0
; COMPUTE_PGM_RSRC2:TIDIG_COMP_CNT: 0
	.section	.text._ZN9rocsparseL28csrmvn_lrb_short_rows_kernelIli21rocsparse_complex_numIfES2_S2_S2_EEvbT_PT0_S5_jNS_24const_host_device_scalarIT4_EEPKS3_PKS4_PKT1_PKT2_S8_PT3_21rocsparse_index_base_b,"axG",@progbits,_ZN9rocsparseL28csrmvn_lrb_short_rows_kernelIli21rocsparse_complex_numIfES2_S2_S2_EEvbT_PT0_S5_jNS_24const_host_device_scalarIT4_EEPKS3_PKS4_PKT1_PKT2_S8_PT3_21rocsparse_index_base_b,comdat
	.globl	_ZN9rocsparseL28csrmvn_lrb_short_rows_kernelIli21rocsparse_complex_numIfES2_S2_S2_EEvbT_PT0_S5_jNS_24const_host_device_scalarIT4_EEPKS3_PKS4_PKT1_PKT2_S8_PT3_21rocsparse_index_base_b ; -- Begin function _ZN9rocsparseL28csrmvn_lrb_short_rows_kernelIli21rocsparse_complex_numIfES2_S2_S2_EEvbT_PT0_S5_jNS_24const_host_device_scalarIT4_EEPKS3_PKS4_PKT1_PKT2_S8_PT3_21rocsparse_index_base_b
	.p2align	8
	.type	_ZN9rocsparseL28csrmvn_lrb_short_rows_kernelIli21rocsparse_complex_numIfES2_S2_S2_EEvbT_PT0_S5_jNS_24const_host_device_scalarIT4_EEPKS3_PKS4_PKT1_PKT2_S8_PT3_21rocsparse_index_base_b,@function
_ZN9rocsparseL28csrmvn_lrb_short_rows_kernelIli21rocsparse_complex_numIfES2_S2_S2_EEvbT_PT0_S5_jNS_24const_host_device_scalarIT4_EEPKS3_PKS4_PKT1_PKT2_S8_PT3_21rocsparse_index_base_b: ; @_ZN9rocsparseL28csrmvn_lrb_short_rows_kernelIli21rocsparse_complex_numIfES2_S2_S2_EEvbT_PT0_S5_jNS_24const_host_device_scalarIT4_EEPKS3_PKS4_PKT1_PKT2_S8_PT3_21rocsparse_index_base_b
; %bb.0:
	s_clause 0x2
	s_load_b64 s[12:13], s[0:1], 0x60
	s_load_b64 s[4:5], s[0:1], 0x28
	;; [unrolled: 1-line block ×3, first 2 shown]
	s_waitcnt lgkmcnt(0)
	s_bitcmp1_b32 s13, 0
	v_mov_b32_e32 v10, s4
	s_cselect_b32 s6, -1, 0
	s_delay_alu instid0(SALU_CYCLE_1)
	s_and_b32 vcc_lo, exec_lo, s6
	s_xor_b32 s6, s6, -1
	s_cbranch_vccz .LBB50_16
; %bb.1:
	v_cndmask_b32_e64 v1, 0, 1, s6
	v_mov_b32_e32 v11, s5
	s_and_not1_b32 vcc_lo, exec_lo, s6
	s_cbranch_vccz .LBB50_17
.LBB50_2:
	s_delay_alu instid0(VALU_DEP_2)
	v_cmp_ne_u32_e32 vcc_lo, 1, v1
	v_mov_b32_e32 v8, s2
	s_cbranch_vccz .LBB50_18
.LBB50_3:
	v_cmp_ne_u32_e32 vcc_lo, 1, v1
	v_mov_b32_e32 v9, s3
	s_cbranch_vccnz .LBB50_5
.LBB50_4:
	v_dual_mov_b32 v1, s2 :: v_dual_mov_b32 v2, s3
	flat_load_b32 v9, v[1:2] offset:4
.LBB50_5:
	s_waitcnt vmcnt(0) lgkmcnt(0)
	v_cmp_eq_f32_e32 vcc_lo, 0, v10
	v_cmp_eq_f32_e64 s2, 0, v11
	s_delay_alu instid0(VALU_DEP_1)
	s_and_b32 s4, vcc_lo, s2
	s_mov_b32 s2, -1
	s_and_saveexec_b32 s3, s4
; %bb.6:
	v_cmp_neq_f32_e32 vcc_lo, 1.0, v8
	v_cmp_neq_f32_e64 s2, 0, v9
	s_delay_alu instid0(VALU_DEP_1) | instskip(NEXT) | instid1(SALU_CYCLE_1)
	s_or_b32 s2, vcc_lo, s2
	s_or_not1_b32 s2, s2, exec_lo
; %bb.7:
	s_or_b32 exec_lo, exec_lo, s3
	s_and_saveexec_b32 s3, s2
	s_cbranch_execz .LBB50_25
; %bb.8:
	s_clause 0x1
	s_load_b32 s2, s[0:1], 0x20
	s_load_b128 s[16:19], s[0:1], 0x10
	s_mov_b32 s3, 0
	s_delay_alu instid0(SALU_CYCLE_1) | instskip(SKIP_2) | instid1(SALU_CYCLE_1)
	s_mov_b32 s7, s3
	s_waitcnt lgkmcnt(0)
	s_lshl_b64 s[4:5], s[2:3], 2
	s_add_u32 s4, s18, s4
	s_addc_u32 s5, s19, s5
	s_add_i32 s6, s2, 1
	s_delay_alu instid0(SALU_CYCLE_1) | instskip(NEXT) | instid1(SALU_CYCLE_1)
	s_lshl_b64 s[6:7], s[6:7], 2
	s_add_u32 s6, s18, s6
	s_addc_u32 s7, s19, s7
	s_clause 0x1
	s_load_b32 s13, s[4:5], 0x0
	s_load_b32 s4, s[6:7], 0x0
	s_lshl_b32 s14, s15, 8
	s_delay_alu instid0(SALU_CYCLE_1) | instskip(SKIP_2) | instid1(SALU_CYCLE_1)
	s_add_i32 s5, s14, 0x100
	s_waitcnt lgkmcnt(0)
	s_sub_i32 s4, s4, s13
	s_min_u32 s15, s4, s5
	s_cmp_gt_u32 s2, 23
	s_cbranch_scc1 .LBB50_19
; %bb.9:
	s_clause 0x1
	s_load_b32 s19, s[0:1], 0x0
	s_load_b256 s[4:11], s[0:1], 0x30
	v_mov_b32_e32 v5, 0
	s_lshl_b32 s18, 0x100, s2
	v_bfe_u32 v6, v0, 0, s2
	v_lshl_add_u32 v12, v0, 3, 0
	s_delay_alu instid0(VALU_DEP_3)
	v_mov_b32_e32 v7, v5
	s_waitcnt lgkmcnt(0)
	s_bitcmp1_b32 s19, 0
	s_cselect_b32 s19, -1, 0
	s_branch .LBB50_11
.LBB50_10:                              ;   in Loop: Header=BB50_11 Depth=1
	s_or_b32 exec_lo, exec_lo, s20
	v_add_nc_u32_e32 v12, 0x800, v12
	s_addk_i32 s3, 0x100
	s_delay_alu instid0(SALU_CYCLE_1)
	s_cmp_ge_u32 s3, s18
	s_cbranch_scc1 .LBB50_19
.LBB50_11:                              ; =>This Inner Loop Header: Depth=1
	v_add_nc_u32_e32 v1, s3, v0
	s_mov_b32 s20, exec_lo
	s_delay_alu instid0(VALU_DEP_1) | instskip(NEXT) | instid1(VALU_DEP_1)
	v_lshrrev_b32_e32 v1, s2, v1
	v_add_nc_u32_e32 v1, s14, v1
	s_delay_alu instid0(VALU_DEP_1)
	v_cmpx_gt_u32_e64 s15, v1
	s_cbranch_execz .LBB50_10
; %bb.12:                               ;   in Loop: Header=BB50_11 Depth=1
	v_add_nc_u32_e32 v4, s13, v1
	s_mov_b32 s21, exec_lo
	s_delay_alu instid0(VALU_DEP_1) | instskip(NEXT) | instid1(VALU_DEP_1)
	v_lshlrev_b64 v[1:2], 2, v[4:5]
	v_add_co_u32 v1, vcc_lo, s16, v1
	s_delay_alu instid0(VALU_DEP_2) | instskip(SKIP_3) | instid1(VALU_DEP_1)
	v_add_co_ci_u32_e32 v2, vcc_lo, s17, v2, vcc_lo
	global_load_b32 v1, v[1:2], off
	s_waitcnt vmcnt(0)
	v_ashrrev_i32_e32 v2, 31, v1
	v_lshlrev_b64 v[1:2], 3, v[1:2]
	s_delay_alu instid0(VALU_DEP_1) | instskip(NEXT) | instid1(VALU_DEP_2)
	v_add_co_u32 v1, vcc_lo, s4, v1
	v_add_co_ci_u32_e32 v2, vcc_lo, s5, v2, vcc_lo
	global_load_b128 v[1:4], v[1:2], off
	s_waitcnt vmcnt(0)
	v_sub_co_u32 v3, vcc_lo, v3, v1
	v_sub_co_ci_u32_e32 v4, vcc_lo, v4, v2, vcc_lo
	s_delay_alu instid0(VALU_DEP_1)
	v_cmpx_le_i64_e64 v[3:4], v[6:7]
	s_xor_b32 s21, exec_lo, s21
	s_cbranch_execz .LBB50_14
; %bb.13:                               ;   in Loop: Header=BB50_11 Depth=1
	ds_store_2addr_b32 v12, v5, v5 offset1:1
                                        ; implicit-def: $vgpr1_vgpr2
.LBB50_14:                              ;   in Loop: Header=BB50_11 Depth=1
	s_and_not1_saveexec_b32 s21, s21
	s_cbranch_execz .LBB50_10
; %bb.15:                               ;   in Loop: Header=BB50_11 Depth=1
	v_sub_co_u32 v1, vcc_lo, v1, s12
	v_subrev_co_ci_u32_e32 v2, vcc_lo, 0, v2, vcc_lo
	s_delay_alu instid0(VALU_DEP_2) | instskip(NEXT) | instid1(VALU_DEP_2)
	v_add_co_u32 v1, vcc_lo, v1, v6
	v_add_co_ci_u32_e32 v2, vcc_lo, 0, v2, vcc_lo
	s_delay_alu instid0(VALU_DEP_1) | instskip(SKIP_1) | instid1(VALU_DEP_2)
	v_lshlrev_b64 v[3:4], 2, v[1:2]
	v_lshlrev_b64 v[1:2], 3, v[1:2]
	v_add_co_u32 v3, vcc_lo, s6, v3
	s_delay_alu instid0(VALU_DEP_3) | instskip(NEXT) | instid1(VALU_DEP_3)
	v_add_co_ci_u32_e32 v4, vcc_lo, s7, v4, vcc_lo
	v_add_co_u32 v1, vcc_lo, s8, v1
	s_delay_alu instid0(VALU_DEP_4)
	v_add_co_ci_u32_e32 v2, vcc_lo, s9, v2, vcc_lo
	global_load_b32 v3, v[3:4], off
	global_load_b64 v[1:2], v[1:2], off
	s_waitcnt vmcnt(1)
	v_subrev_nc_u32_e32 v3, s12, v3
	s_waitcnt vmcnt(0)
	v_cndmask_b32_e64 v2, v2, -v2, s19
	s_delay_alu instid0(VALU_DEP_2) | instskip(NEXT) | instid1(VALU_DEP_2)
	v_ashrrev_i32_e32 v4, 31, v3
	v_mul_f32_e32 v13, v2, v10
	v_mul_f32_e64 v2, v2, -v11
	s_delay_alu instid0(VALU_DEP_3) | instskip(NEXT) | instid1(VALU_DEP_2)
	v_lshlrev_b64 v[3:4], 3, v[3:4]
	v_fmac_f32_e32 v2, v10, v1
	s_delay_alu instid0(VALU_DEP_2) | instskip(NEXT) | instid1(VALU_DEP_3)
	v_add_co_u32 v3, vcc_lo, s10, v3
	v_add_co_ci_u32_e32 v4, vcc_lo, s11, v4, vcc_lo
	global_load_b64 v[3:4], v[3:4], off
	v_fmac_f32_e32 v13, v11, v1
	s_waitcnt vmcnt(0)
	s_delay_alu instid0(VALU_DEP_1) | instskip(NEXT) | instid1(VALU_DEP_1)
	v_mul_f32_e64 v1, v4, -v13
	v_dual_mul_f32 v4, v4, v2 :: v_dual_fmac_f32 v1, v2, v3
	s_delay_alu instid0(VALU_DEP_1)
	v_fmac_f32_e32 v4, v13, v3
	ds_store_2addr_b32 v12, v1, v4 offset1:1
	s_branch .LBB50_10
.LBB50_16:
	v_dual_mov_b32 v1, s4 :: v_dual_mov_b32 v2, s5
	flat_load_b32 v10, v[1:2]
	v_cndmask_b32_e64 v1, 0, 1, s6
	v_mov_b32_e32 v11, s5
	s_and_not1_b32 vcc_lo, exec_lo, s6
	s_cbranch_vccnz .LBB50_2
.LBB50_17:
	v_dual_mov_b32 v2, s4 :: v_dual_mov_b32 v3, s5
	flat_load_b32 v11, v[2:3] offset:4
	v_cmp_ne_u32_e32 vcc_lo, 1, v1
	v_mov_b32_e32 v8, s2
	s_cbranch_vccnz .LBB50_3
.LBB50_18:
	v_dual_mov_b32 v2, s2 :: v_dual_mov_b32 v3, s3
	flat_load_b32 v8, v[2:3]
	v_cmp_ne_u32_e32 vcc_lo, 1, v1
	v_mov_b32_e32 v9, s3
	s_cbranch_vccz .LBB50_4
	s_branch .LBB50_5
.LBB50_19:
	s_sub_i32 s3, s15, s14
	s_waitcnt lgkmcnt(0)
	v_cmp_gt_u32_e32 vcc_lo, s3, v0
	s_barrier
	buffer_gl0_inv
	s_and_b32 exec_lo, exec_lo, vcc_lo
	s_cbranch_execz .LBB50_25
; %bb.20:
	v_add3_u32 v1, s13, s14, v0
	v_mov_b32_e32 v2, 0
	s_load_b64 s[4:5], s[0:1], 0x58
	v_lshlrev_b32_e32 v0, s2, v0
	s_mov_b32 s0, 1
	s_delay_alu instid0(VALU_DEP_2) | instskip(SKIP_1) | instid1(VALU_DEP_3)
	v_lshlrev_b64 v[3:4], 2, v[1:2]
	v_mov_b32_e32 v1, v2
	v_lshl_add_u32 v0, v0, 3, 0
	s_delay_alu instid0(VALU_DEP_3) | instskip(NEXT) | instid1(VALU_DEP_4)
	v_add_co_u32 v3, vcc_lo, s16, v3
	v_add_co_ci_u32_e32 v4, vcc_lo, s17, v4, vcc_lo
	global_load_b32 v3, v[3:4], off
.LBB50_21:                              ; =>This Inner Loop Header: Depth=1
	ds_load_2addr_b32 v[4:5], v0 offset1:1
	v_add_nc_u32_e32 v0, 8, v0
	s_lshr_b32 s1, s0, s2
	s_add_i32 s0, s0, 1
	s_cmp_lg_u32 s1, 0
	s_waitcnt lgkmcnt(0)
	v_dual_add_f32 v1, v1, v4 :: v_dual_add_f32 v2, v2, v5
	s_cbranch_scc0 .LBB50_21
; %bb.22:
	s_waitcnt vmcnt(0)
	v_ashrrev_i32_e32 v4, 31, v3
	v_cmp_neq_f32_e32 vcc_lo, 0, v8
	v_cmp_neq_f32_e64 s0, 0, v9
	s_delay_alu instid0(VALU_DEP_3) | instskip(NEXT) | instid1(VALU_DEP_2)
	v_lshlrev_b64 v[3:4], 3, v[3:4]
	s_or_b32 s1, vcc_lo, s0
	s_delay_alu instid0(SALU_CYCLE_1)
	s_and_saveexec_b32 s0, s1
	s_cbranch_execz .LBB50_24
; %bb.23:
	s_delay_alu instid0(VALU_DEP_1) | instskip(NEXT) | instid1(VALU_DEP_2)
	v_add_co_u32 v5, vcc_lo, s4, v3
	v_add_co_ci_u32_e32 v6, vcc_lo, s5, v4, vcc_lo
	global_load_b64 v[5:6], v[5:6], off
	s_waitcnt vmcnt(0)
	v_fmac_f32_e32 v1, v8, v5
	v_fmac_f32_e32 v2, v9, v5
	s_delay_alu instid0(VALU_DEP_2) | instskip(NEXT) | instid1(VALU_DEP_2)
	v_fma_f32 v1, -v9, v6, v1
	v_fmac_f32_e32 v2, v8, v6
.LBB50_24:
	s_or_b32 exec_lo, exec_lo, s0
	s_delay_alu instid0(VALU_DEP_1)
	v_add_co_u32 v3, vcc_lo, s4, v3
	v_add_co_ci_u32_e32 v4, vcc_lo, s5, v4, vcc_lo
	global_store_b64 v[3:4], v[1:2], off
.LBB50_25:
	s_nop 0
	s_sendmsg sendmsg(MSG_DEALLOC_VGPRS)
	s_endpgm
	.section	.rodata,"a",@progbits
	.p2align	6, 0x0
	.amdhsa_kernel _ZN9rocsparseL28csrmvn_lrb_short_rows_kernelIli21rocsparse_complex_numIfES2_S2_S2_EEvbT_PT0_S5_jNS_24const_host_device_scalarIT4_EEPKS3_PKS4_PKT1_PKT2_S8_PT3_21rocsparse_index_base_b
		.amdhsa_group_segment_fixed_size 0
		.amdhsa_private_segment_fixed_size 0
		.amdhsa_kernarg_size 104
		.amdhsa_user_sgpr_count 15
		.amdhsa_user_sgpr_dispatch_ptr 0
		.amdhsa_user_sgpr_queue_ptr 0
		.amdhsa_user_sgpr_kernarg_segment_ptr 1
		.amdhsa_user_sgpr_dispatch_id 0
		.amdhsa_user_sgpr_private_segment_size 0
		.amdhsa_wavefront_size32 1
		.amdhsa_uses_dynamic_stack 0
		.amdhsa_enable_private_segment 0
		.amdhsa_system_sgpr_workgroup_id_x 1
		.amdhsa_system_sgpr_workgroup_id_y 0
		.amdhsa_system_sgpr_workgroup_id_z 0
		.amdhsa_system_sgpr_workgroup_info 0
		.amdhsa_system_vgpr_workitem_id 0
		.amdhsa_next_free_vgpr 14
		.amdhsa_next_free_sgpr 22
		.amdhsa_reserve_vcc 1
		.amdhsa_float_round_mode_32 0
		.amdhsa_float_round_mode_16_64 0
		.amdhsa_float_denorm_mode_32 3
		.amdhsa_float_denorm_mode_16_64 3
		.amdhsa_dx10_clamp 1
		.amdhsa_ieee_mode 1
		.amdhsa_fp16_overflow 0
		.amdhsa_workgroup_processor_mode 1
		.amdhsa_memory_ordered 1
		.amdhsa_forward_progress 0
		.amdhsa_shared_vgpr_count 0
		.amdhsa_exception_fp_ieee_invalid_op 0
		.amdhsa_exception_fp_denorm_src 0
		.amdhsa_exception_fp_ieee_div_zero 0
		.amdhsa_exception_fp_ieee_overflow 0
		.amdhsa_exception_fp_ieee_underflow 0
		.amdhsa_exception_fp_ieee_inexact 0
		.amdhsa_exception_int_div_zero 0
	.end_amdhsa_kernel
	.section	.text._ZN9rocsparseL28csrmvn_lrb_short_rows_kernelIli21rocsparse_complex_numIfES2_S2_S2_EEvbT_PT0_S5_jNS_24const_host_device_scalarIT4_EEPKS3_PKS4_PKT1_PKT2_S8_PT3_21rocsparse_index_base_b,"axG",@progbits,_ZN9rocsparseL28csrmvn_lrb_short_rows_kernelIli21rocsparse_complex_numIfES2_S2_S2_EEvbT_PT0_S5_jNS_24const_host_device_scalarIT4_EEPKS3_PKS4_PKT1_PKT2_S8_PT3_21rocsparse_index_base_b,comdat
.Lfunc_end50:
	.size	_ZN9rocsparseL28csrmvn_lrb_short_rows_kernelIli21rocsparse_complex_numIfES2_S2_S2_EEvbT_PT0_S5_jNS_24const_host_device_scalarIT4_EEPKS3_PKS4_PKT1_PKT2_S8_PT3_21rocsparse_index_base_b, .Lfunc_end50-_ZN9rocsparseL28csrmvn_lrb_short_rows_kernelIli21rocsparse_complex_numIfES2_S2_S2_EEvbT_PT0_S5_jNS_24const_host_device_scalarIT4_EEPKS3_PKS4_PKT1_PKT2_S8_PT3_21rocsparse_index_base_b
                                        ; -- End function
	.section	.AMDGPU.csdata,"",@progbits
; Kernel info:
; codeLenInByte = 1196
; NumSgprs: 24
; NumVgprs: 14
; ScratchSize: 0
; MemoryBound: 0
; FloatMode: 240
; IeeeMode: 1
; LDSByteSize: 0 bytes/workgroup (compile time only)
; SGPRBlocks: 2
; VGPRBlocks: 1
; NumSGPRsForWavesPerEU: 24
; NumVGPRsForWavesPerEU: 14
; Occupancy: 16
; WaveLimiterHint : 1
; COMPUTE_PGM_RSRC2:SCRATCH_EN: 0
; COMPUTE_PGM_RSRC2:USER_SGPR: 15
; COMPUTE_PGM_RSRC2:TRAP_HANDLER: 0
; COMPUTE_PGM_RSRC2:TGID_X_EN: 1
; COMPUTE_PGM_RSRC2:TGID_Y_EN: 0
; COMPUTE_PGM_RSRC2:TGID_Z_EN: 0
; COMPUTE_PGM_RSRC2:TIDIG_COMP_CNT: 0
	.section	.text._ZN9rocsparseL30csrmvn_lrb_short_rows_2_kernelIli21rocsparse_complex_numIfES2_S2_S2_EEvbT_PT0_S5_jNS_24const_host_device_scalarIT4_EEPKS3_PKS4_PKT1_PKT2_S8_PT3_21rocsparse_index_base_b,"axG",@progbits,_ZN9rocsparseL30csrmvn_lrb_short_rows_2_kernelIli21rocsparse_complex_numIfES2_S2_S2_EEvbT_PT0_S5_jNS_24const_host_device_scalarIT4_EEPKS3_PKS4_PKT1_PKT2_S8_PT3_21rocsparse_index_base_b,comdat
	.globl	_ZN9rocsparseL30csrmvn_lrb_short_rows_2_kernelIli21rocsparse_complex_numIfES2_S2_S2_EEvbT_PT0_S5_jNS_24const_host_device_scalarIT4_EEPKS3_PKS4_PKT1_PKT2_S8_PT3_21rocsparse_index_base_b ; -- Begin function _ZN9rocsparseL30csrmvn_lrb_short_rows_2_kernelIli21rocsparse_complex_numIfES2_S2_S2_EEvbT_PT0_S5_jNS_24const_host_device_scalarIT4_EEPKS3_PKS4_PKT1_PKT2_S8_PT3_21rocsparse_index_base_b
	.p2align	8
	.type	_ZN9rocsparseL30csrmvn_lrb_short_rows_2_kernelIli21rocsparse_complex_numIfES2_S2_S2_EEvbT_PT0_S5_jNS_24const_host_device_scalarIT4_EEPKS3_PKS4_PKT1_PKT2_S8_PT3_21rocsparse_index_base_b,@function
_ZN9rocsparseL30csrmvn_lrb_short_rows_2_kernelIli21rocsparse_complex_numIfES2_S2_S2_EEvbT_PT0_S5_jNS_24const_host_device_scalarIT4_EEPKS3_PKS4_PKT1_PKT2_S8_PT3_21rocsparse_index_base_b: ; @_ZN9rocsparseL30csrmvn_lrb_short_rows_2_kernelIli21rocsparse_complex_numIfES2_S2_S2_EEvbT_PT0_S5_jNS_24const_host_device_scalarIT4_EEPKS3_PKS4_PKT1_PKT2_S8_PT3_21rocsparse_index_base_b
; %bb.0:
	s_clause 0x2
	s_load_b64 s[12:13], s[0:1], 0x60
	s_load_b64 s[4:5], s[0:1], 0x28
	;; [unrolled: 1-line block ×3, first 2 shown]
	s_waitcnt lgkmcnt(0)
	s_bitcmp1_b32 s13, 0
	v_mov_b32_e32 v11, s4
	s_cselect_b32 s6, -1, 0
	s_delay_alu instid0(SALU_CYCLE_1)
	s_and_b32 vcc_lo, exec_lo, s6
	s_xor_b32 s6, s6, -1
	s_cbranch_vccz .LBB51_38
; %bb.1:
	v_cndmask_b32_e64 v1, 0, 1, s6
	v_mov_b32_e32 v12, s5
	s_and_not1_b32 vcc_lo, exec_lo, s6
	s_cbranch_vccz .LBB51_39
.LBB51_2:
	s_delay_alu instid0(VALU_DEP_2)
	v_cmp_ne_u32_e32 vcc_lo, 1, v1
	v_mov_b32_e32 v9, s2
	s_cbranch_vccz .LBB51_40
.LBB51_3:
	v_cmp_ne_u32_e32 vcc_lo, 1, v1
	v_mov_b32_e32 v10, s3
	s_cbranch_vccnz .LBB51_5
.LBB51_4:
	v_dual_mov_b32 v1, s2 :: v_dual_mov_b32 v2, s3
	flat_load_b32 v10, v[1:2] offset:4
.LBB51_5:
	s_waitcnt vmcnt(0) lgkmcnt(0)
	v_cmp_eq_f32_e32 vcc_lo, 0, v11
	v_cmp_eq_f32_e64 s2, 0, v12
	s_delay_alu instid0(VALU_DEP_1)
	s_and_b32 s4, vcc_lo, s2
	s_mov_b32 s2, -1
	s_and_saveexec_b32 s3, s4
; %bb.6:
	v_cmp_neq_f32_e32 vcc_lo, 1.0, v9
	v_cmp_neq_f32_e64 s2, 0, v10
	s_delay_alu instid0(VALU_DEP_1) | instskip(NEXT) | instid1(SALU_CYCLE_1)
	s_or_b32 s2, vcc_lo, s2
	s_or_not1_b32 s2, s2, exec_lo
; %bb.7:
	s_or_b32 exec_lo, exec_lo, s3
	s_and_saveexec_b32 s3, s2
	s_cbranch_execz .LBB51_37
; %bb.8:
	s_clause 0x2
	s_load_b32 s2, s[0:1], 0x20
	s_load_b32 s3, s[0:1], 0x0
	s_load_b128 s[16:19], s[0:1], 0x10
	v_mov_b32_e32 v6, 0
	s_waitcnt lgkmcnt(0)
	v_lshrrev_b32_e32 v1, s2, v0
	s_bitcmp1_b32 s3, 0
	s_mov_b32 s3, 0
	s_cselect_b32 s20, -1, 0
	s_lshl_b64 s[4:5], s[2:3], 2
	s_mov_b32 s7, s3
	s_add_u32 s4, s18, s4
	s_addc_u32 s5, s19, s5
	s_add_i32 s6, s2, 1
	v_bfe_u32 v5, v0, 0, s2
	s_lshl_b64 s[6:7], s[6:7], 2
	s_delay_alu instid0(SALU_CYCLE_1)
	s_add_u32 s6, s18, s6
	s_addc_u32 s7, s19, s7
	s_clause 0x1
	s_load_b32 s13, s[4:5], 0x0
	s_load_b32 s18, s[6:7], 0x0
	s_load_b256 s[4:11], s[0:1], 0x30
	s_lshr_b32 s3, 0x400, s2
	s_delay_alu instid0(SALU_CYCLE_1) | instskip(NEXT) | instid1(SALU_CYCLE_1)
	s_mul_i32 s14, s3, s15
	v_add_nc_u32_e32 v1, s14, v1
	s_add_i32 s15, s14, s3
	s_waitcnt lgkmcnt(0)
	s_sub_i32 s18, s18, s13
	s_delay_alu instid0(SALU_CYCLE_1)
	s_min_u32 s15, s18, s15
	s_mov_b32 s18, exec_lo
	v_cmpx_gt_u32_e64 s15, v1
	s_cbranch_execz .LBB51_13
; %bb.9:
	v_dual_mov_b32 v2, v6 :: v_dual_add_nc_u32 v1, s13, v1
	s_mov_b32 s19, exec_lo
	s_delay_alu instid0(VALU_DEP_1) | instskip(NEXT) | instid1(VALU_DEP_1)
	v_lshlrev_b64 v[1:2], 2, v[1:2]
	v_add_co_u32 v1, vcc_lo, s16, v1
	s_delay_alu instid0(VALU_DEP_2) | instskip(SKIP_3) | instid1(VALU_DEP_1)
	v_add_co_ci_u32_e32 v2, vcc_lo, s17, v2, vcc_lo
	global_load_b32 v1, v[1:2], off
	s_waitcnt vmcnt(0)
	v_ashrrev_i32_e32 v2, 31, v1
	v_lshlrev_b64 v[1:2], 3, v[1:2]
	s_delay_alu instid0(VALU_DEP_1) | instskip(NEXT) | instid1(VALU_DEP_2)
	v_add_co_u32 v1, vcc_lo, s4, v1
	v_add_co_ci_u32_e32 v2, vcc_lo, s5, v2, vcc_lo
	global_load_b128 v[1:4], v[1:2], off
	s_waitcnt vmcnt(0)
	v_sub_co_u32 v3, vcc_lo, v3, v1
	v_sub_co_ci_u32_e32 v4, vcc_lo, v4, v2, vcc_lo
	s_delay_alu instid0(VALU_DEP_1)
	v_cmpx_le_i64_e64 v[3:4], v[5:6]
	s_xor_b32 s19, exec_lo, s19
	s_cbranch_execz .LBB51_11
; %bb.10:
	v_mov_b32_e32 v1, 0
	s_delay_alu instid0(VALU_DEP_1)
	v_dual_mov_b32 v2, v1 :: v_dual_lshlrev_b32 v3, 3, v0
	ds_store_b64 v3, v[1:2]
                                        ; implicit-def: $vgpr1_vgpr2
.LBB51_11:
	s_and_not1_saveexec_b32 s19, s19
	s_cbranch_execz .LBB51_13
; %bb.12:
	v_sub_co_u32 v1, vcc_lo, v1, s12
	v_subrev_co_ci_u32_e32 v2, vcc_lo, 0, v2, vcc_lo
	s_delay_alu instid0(VALU_DEP_2) | instskip(NEXT) | instid1(VALU_DEP_2)
	v_add_co_u32 v1, vcc_lo, v1, v5
	v_add_co_ci_u32_e32 v2, vcc_lo, 0, v2, vcc_lo
	s_delay_alu instid0(VALU_DEP_1) | instskip(SKIP_1) | instid1(VALU_DEP_2)
	v_lshlrev_b64 v[3:4], 2, v[1:2]
	v_lshlrev_b64 v[1:2], 3, v[1:2]
	v_add_co_u32 v3, vcc_lo, s6, v3
	s_delay_alu instid0(VALU_DEP_3) | instskip(NEXT) | instid1(VALU_DEP_3)
	v_add_co_ci_u32_e32 v4, vcc_lo, s7, v4, vcc_lo
	v_add_co_u32 v1, vcc_lo, s8, v1
	s_delay_alu instid0(VALU_DEP_4)
	v_add_co_ci_u32_e32 v2, vcc_lo, s9, v2, vcc_lo
	global_load_b32 v3, v[3:4], off
	global_load_b64 v[1:2], v[1:2], off
	s_waitcnt vmcnt(1)
	v_subrev_nc_u32_e32 v3, s12, v3
	s_waitcnt vmcnt(0)
	v_cndmask_b32_e64 v2, v2, -v2, s20
	s_delay_alu instid0(VALU_DEP_2) | instskip(NEXT) | instid1(VALU_DEP_2)
	v_ashrrev_i32_e32 v4, 31, v3
	v_mul_f32_e64 v8, v2, -v12
	v_mul_f32_e32 v7, v2, v11
	s_delay_alu instid0(VALU_DEP_3) | instskip(NEXT) | instid1(VALU_DEP_3)
	v_lshlrev_b64 v[3:4], 3, v[3:4]
	v_fmac_f32_e32 v8, v11, v1
	s_delay_alu instid0(VALU_DEP_3) | instskip(NEXT) | instid1(VALU_DEP_3)
	v_fmac_f32_e32 v7, v12, v1
	v_add_co_u32 v3, vcc_lo, s10, v3
	s_delay_alu instid0(VALU_DEP_4) | instskip(SKIP_4) | instid1(VALU_DEP_2)
	v_add_co_ci_u32_e32 v4, vcc_lo, s11, v4, vcc_lo
	global_load_b64 v[3:4], v[3:4], off
	s_waitcnt vmcnt(0)
	v_mul_f32_e64 v1, v4, -v7
	v_mul_f32_e32 v2, v4, v8
	v_fmac_f32_e32 v1, v8, v3
	s_delay_alu instid0(VALU_DEP_2)
	v_dual_fmac_f32 v2, v7, v3 :: v_dual_lshlrev_b32 v3, 3, v0
	ds_store_b64 v3, v[1:2]
.LBB51_13:
	s_or_b32 exec_lo, exec_lo, s18
	v_or_b32_e32 v1, 0x100, v0
	s_mov_b32 s18, exec_lo
	s_delay_alu instid0(VALU_DEP_1) | instskip(NEXT) | instid1(VALU_DEP_1)
	v_lshrrev_b32_e32 v1, s2, v1
	v_add_nc_u32_e32 v1, s14, v1
	s_delay_alu instid0(VALU_DEP_1)
	v_cmpx_gt_u32_e64 s15, v1
	s_cbranch_execz .LBB51_18
; %bb.14:
	v_dual_mov_b32 v8, 0 :: v_dual_add_nc_u32 v7, s13, v1
	s_mov_b32 s19, exec_lo
	s_delay_alu instid0(VALU_DEP_1) | instskip(NEXT) | instid1(VALU_DEP_1)
	v_lshlrev_b64 v[1:2], 2, v[7:8]
	v_add_co_u32 v1, vcc_lo, s16, v1
	s_delay_alu instid0(VALU_DEP_2) | instskip(SKIP_3) | instid1(VALU_DEP_1)
	v_add_co_ci_u32_e32 v2, vcc_lo, s17, v2, vcc_lo
	global_load_b32 v1, v[1:2], off
	s_waitcnt vmcnt(0)
	v_ashrrev_i32_e32 v2, 31, v1
	v_lshlrev_b64 v[1:2], 3, v[1:2]
	s_delay_alu instid0(VALU_DEP_1) | instskip(NEXT) | instid1(VALU_DEP_2)
	v_add_co_u32 v1, vcc_lo, s4, v1
	v_add_co_ci_u32_e32 v2, vcc_lo, s5, v2, vcc_lo
	global_load_b128 v[1:4], v[1:2], off
	s_waitcnt vmcnt(0)
	v_sub_co_u32 v3, vcc_lo, v3, v1
	v_sub_co_ci_u32_e32 v4, vcc_lo, v4, v2, vcc_lo
	s_delay_alu instid0(VALU_DEP_1)
	v_cmpx_le_i64_e64 v[3:4], v[5:6]
	s_xor_b32 s19, exec_lo, s19
	s_cbranch_execz .LBB51_16
; %bb.15:
	v_lshlrev_b32_e32 v1, 3, v0
	v_mov_b32_e32 v7, v8
	ds_store_b64 v1, v[7:8] offset:2048
                                        ; implicit-def: $vgpr1_vgpr2
.LBB51_16:
	s_and_not1_saveexec_b32 s19, s19
	s_cbranch_execz .LBB51_18
; %bb.17:
	v_sub_co_u32 v1, vcc_lo, v1, s12
	v_subrev_co_ci_u32_e32 v2, vcc_lo, 0, v2, vcc_lo
	s_delay_alu instid0(VALU_DEP_2) | instskip(NEXT) | instid1(VALU_DEP_2)
	v_add_co_u32 v1, vcc_lo, v1, v5
	v_add_co_ci_u32_e32 v2, vcc_lo, 0, v2, vcc_lo
	s_delay_alu instid0(VALU_DEP_1) | instskip(SKIP_1) | instid1(VALU_DEP_2)
	v_lshlrev_b64 v[3:4], 2, v[1:2]
	v_lshlrev_b64 v[1:2], 3, v[1:2]
	v_add_co_u32 v3, vcc_lo, s6, v3
	s_delay_alu instid0(VALU_DEP_3) | instskip(NEXT) | instid1(VALU_DEP_3)
	v_add_co_ci_u32_e32 v4, vcc_lo, s7, v4, vcc_lo
	v_add_co_u32 v1, vcc_lo, s8, v1
	s_delay_alu instid0(VALU_DEP_4)
	v_add_co_ci_u32_e32 v2, vcc_lo, s9, v2, vcc_lo
	global_load_b32 v3, v[3:4], off
	global_load_b64 v[1:2], v[1:2], off
	s_waitcnt vmcnt(1)
	v_subrev_nc_u32_e32 v3, s12, v3
	s_waitcnt vmcnt(0)
	v_cndmask_b32_e64 v2, v2, -v2, s20
	s_delay_alu instid0(VALU_DEP_2) | instskip(NEXT) | instid1(VALU_DEP_2)
	v_ashrrev_i32_e32 v4, 31, v3
	v_mul_f32_e64 v8, v2, -v12
	v_mul_f32_e32 v7, v2, v11
	s_delay_alu instid0(VALU_DEP_3) | instskip(NEXT) | instid1(VALU_DEP_3)
	v_lshlrev_b64 v[3:4], 3, v[3:4]
	v_fmac_f32_e32 v8, v11, v1
	s_delay_alu instid0(VALU_DEP_3) | instskip(NEXT) | instid1(VALU_DEP_3)
	v_fmac_f32_e32 v7, v12, v1
	v_add_co_u32 v3, vcc_lo, s10, v3
	s_delay_alu instid0(VALU_DEP_4) | instskip(SKIP_4) | instid1(VALU_DEP_2)
	v_add_co_ci_u32_e32 v4, vcc_lo, s11, v4, vcc_lo
	global_load_b64 v[3:4], v[3:4], off
	s_waitcnt vmcnt(0)
	v_mul_f32_e64 v1, v4, -v7
	v_mul_f32_e32 v2, v4, v8
	v_fmac_f32_e32 v1, v8, v3
	s_delay_alu instid0(VALU_DEP_2)
	v_dual_fmac_f32 v2, v7, v3 :: v_dual_lshlrev_b32 v3, 3, v0
	ds_store_b64 v3, v[1:2] offset:2048
.LBB51_18:
	s_or_b32 exec_lo, exec_lo, s18
	v_or_b32_e32 v1, 0x200, v0
	s_mov_b32 s18, exec_lo
	s_delay_alu instid0(VALU_DEP_1) | instskip(NEXT) | instid1(VALU_DEP_1)
	v_lshrrev_b32_e32 v1, s2, v1
	v_add_nc_u32_e32 v1, s14, v1
	s_delay_alu instid0(VALU_DEP_1)
	v_cmpx_gt_u32_e64 s15, v1
	s_cbranch_execz .LBB51_23
; %bb.19:
	v_dual_mov_b32 v8, 0 :: v_dual_add_nc_u32 v7, s13, v1
	s_mov_b32 s19, exec_lo
	s_delay_alu instid0(VALU_DEP_1) | instskip(NEXT) | instid1(VALU_DEP_1)
	v_lshlrev_b64 v[1:2], 2, v[7:8]
	v_add_co_u32 v1, vcc_lo, s16, v1
	s_delay_alu instid0(VALU_DEP_2) | instskip(SKIP_3) | instid1(VALU_DEP_1)
	v_add_co_ci_u32_e32 v2, vcc_lo, s17, v2, vcc_lo
	global_load_b32 v1, v[1:2], off
	s_waitcnt vmcnt(0)
	v_ashrrev_i32_e32 v2, 31, v1
	v_lshlrev_b64 v[1:2], 3, v[1:2]
	s_delay_alu instid0(VALU_DEP_1) | instskip(NEXT) | instid1(VALU_DEP_2)
	v_add_co_u32 v1, vcc_lo, s4, v1
	v_add_co_ci_u32_e32 v2, vcc_lo, s5, v2, vcc_lo
	global_load_b128 v[1:4], v[1:2], off
	s_waitcnt vmcnt(0)
	v_sub_co_u32 v3, vcc_lo, v3, v1
	v_sub_co_ci_u32_e32 v4, vcc_lo, v4, v2, vcc_lo
	s_delay_alu instid0(VALU_DEP_1)
	v_cmpx_le_i64_e64 v[3:4], v[5:6]
	s_xor_b32 s19, exec_lo, s19
	s_cbranch_execz .LBB51_21
; %bb.20:
	v_lshlrev_b32_e32 v1, 3, v0
	v_mov_b32_e32 v7, v8
	ds_store_b64 v1, v[7:8] offset:4096
                                        ; implicit-def: $vgpr1_vgpr2
.LBB51_21:
	s_and_not1_saveexec_b32 s19, s19
	s_cbranch_execz .LBB51_23
; %bb.22:
	v_sub_co_u32 v1, vcc_lo, v1, s12
	v_subrev_co_ci_u32_e32 v2, vcc_lo, 0, v2, vcc_lo
	s_delay_alu instid0(VALU_DEP_2) | instskip(NEXT) | instid1(VALU_DEP_2)
	v_add_co_u32 v1, vcc_lo, v1, v5
	v_add_co_ci_u32_e32 v2, vcc_lo, 0, v2, vcc_lo
	s_delay_alu instid0(VALU_DEP_1) | instskip(SKIP_1) | instid1(VALU_DEP_2)
	v_lshlrev_b64 v[3:4], 2, v[1:2]
	v_lshlrev_b64 v[1:2], 3, v[1:2]
	v_add_co_u32 v3, vcc_lo, s6, v3
	s_delay_alu instid0(VALU_DEP_3) | instskip(NEXT) | instid1(VALU_DEP_3)
	v_add_co_ci_u32_e32 v4, vcc_lo, s7, v4, vcc_lo
	v_add_co_u32 v1, vcc_lo, s8, v1
	s_delay_alu instid0(VALU_DEP_4)
	v_add_co_ci_u32_e32 v2, vcc_lo, s9, v2, vcc_lo
	global_load_b32 v3, v[3:4], off
	global_load_b64 v[1:2], v[1:2], off
	s_waitcnt vmcnt(1)
	v_subrev_nc_u32_e32 v3, s12, v3
	s_waitcnt vmcnt(0)
	v_cndmask_b32_e64 v2, v2, -v2, s20
	s_delay_alu instid0(VALU_DEP_2) | instskip(NEXT) | instid1(VALU_DEP_2)
	v_ashrrev_i32_e32 v4, 31, v3
	v_mul_f32_e64 v8, v2, -v12
	v_mul_f32_e32 v7, v2, v11
	s_delay_alu instid0(VALU_DEP_3) | instskip(NEXT) | instid1(VALU_DEP_3)
	v_lshlrev_b64 v[3:4], 3, v[3:4]
	v_fmac_f32_e32 v8, v11, v1
	s_delay_alu instid0(VALU_DEP_3) | instskip(NEXT) | instid1(VALU_DEP_3)
	v_fmac_f32_e32 v7, v12, v1
	v_add_co_u32 v3, vcc_lo, s10, v3
	s_delay_alu instid0(VALU_DEP_4) | instskip(SKIP_4) | instid1(VALU_DEP_2)
	v_add_co_ci_u32_e32 v4, vcc_lo, s11, v4, vcc_lo
	global_load_b64 v[3:4], v[3:4], off
	s_waitcnt vmcnt(0)
	v_mul_f32_e64 v1, v4, -v7
	v_mul_f32_e32 v2, v4, v8
	v_fmac_f32_e32 v1, v8, v3
	s_delay_alu instid0(VALU_DEP_2)
	v_dual_fmac_f32 v2, v7, v3 :: v_dual_lshlrev_b32 v3, 3, v0
	ds_store_b64 v3, v[1:2] offset:4096
.LBB51_23:
	s_or_b32 exec_lo, exec_lo, s18
	v_or_b32_e32 v1, 0x300, v0
	s_mov_b32 s18, exec_lo
	s_delay_alu instid0(VALU_DEP_1) | instskip(NEXT) | instid1(VALU_DEP_1)
	v_lshrrev_b32_e32 v1, s2, v1
	v_add_nc_u32_e32 v1, s14, v1
	s_delay_alu instid0(VALU_DEP_1)
	v_cmpx_gt_u32_e64 s15, v1
	s_cbranch_execz .LBB51_28
; %bb.24:
	v_dual_mov_b32 v8, 0 :: v_dual_add_nc_u32 v7, s13, v1
	s_delay_alu instid0(VALU_DEP_1) | instskip(NEXT) | instid1(VALU_DEP_1)
	v_lshlrev_b64 v[1:2], 2, v[7:8]
	v_add_co_u32 v1, vcc_lo, s16, v1
	s_delay_alu instid0(VALU_DEP_2) | instskip(SKIP_3) | instid1(VALU_DEP_1)
	v_add_co_ci_u32_e32 v2, vcc_lo, s17, v2, vcc_lo
	global_load_b32 v1, v[1:2], off
	s_waitcnt vmcnt(0)
	v_ashrrev_i32_e32 v2, 31, v1
	v_lshlrev_b64 v[1:2], 3, v[1:2]
	s_delay_alu instid0(VALU_DEP_1) | instskip(NEXT) | instid1(VALU_DEP_2)
	v_add_co_u32 v1, vcc_lo, s4, v1
	v_add_co_ci_u32_e32 v2, vcc_lo, s5, v2, vcc_lo
	global_load_b128 v[1:4], v[1:2], off
	s_waitcnt vmcnt(0)
	v_sub_co_u32 v3, vcc_lo, v3, v1
	v_sub_co_ci_u32_e32 v4, vcc_lo, v4, v2, vcc_lo
	s_delay_alu instid0(VALU_DEP_1) | instskip(SKIP_2) | instid1(SALU_CYCLE_1)
	v_cmp_le_i64_e32 vcc_lo, v[3:4], v[5:6]
	v_lshlrev_b32_e32 v3, 3, v0
	s_and_saveexec_b32 s4, vcc_lo
	s_xor_b32 s4, exec_lo, s4
	s_cbranch_execz .LBB51_26
; %bb.25:
	v_mov_b32_e32 v7, v8
                                        ; implicit-def: $vgpr1_vgpr2
                                        ; implicit-def: $vgpr5_vgpr6
                                        ; implicit-def: $vgpr12
                                        ; implicit-def: $vgpr11
	ds_store_b64 v3, v[7:8] offset:6144
                                        ; implicit-def: $vgpr3
.LBB51_26:
	s_and_not1_saveexec_b32 s4, s4
	s_cbranch_execz .LBB51_28
; %bb.27:
	v_sub_co_u32 v1, vcc_lo, v1, s12
	v_subrev_co_ci_u32_e32 v2, vcc_lo, 0, v2, vcc_lo
	s_delay_alu instid0(VALU_DEP_2) | instskip(NEXT) | instid1(VALU_DEP_2)
	v_add_co_u32 v1, vcc_lo, v1, v5
	v_add_co_ci_u32_e32 v2, vcc_lo, 0, v2, vcc_lo
	s_delay_alu instid0(VALU_DEP_1) | instskip(SKIP_1) | instid1(VALU_DEP_2)
	v_lshlrev_b64 v[4:5], 2, v[1:2]
	v_lshlrev_b64 v[1:2], 3, v[1:2]
	v_add_co_u32 v4, vcc_lo, s6, v4
	s_delay_alu instid0(VALU_DEP_3) | instskip(NEXT) | instid1(VALU_DEP_3)
	v_add_co_ci_u32_e32 v5, vcc_lo, s7, v5, vcc_lo
	v_add_co_u32 v1, vcc_lo, s8, v1
	s_delay_alu instid0(VALU_DEP_4)
	v_add_co_ci_u32_e32 v2, vcc_lo, s9, v2, vcc_lo
	global_load_b32 v4, v[4:5], off
	global_load_b64 v[1:2], v[1:2], off
	s_waitcnt vmcnt(1)
	v_subrev_nc_u32_e32 v4, s12, v4
	s_waitcnt vmcnt(0)
	v_cndmask_b32_e64 v2, v2, -v2, s20
	s_delay_alu instid0(VALU_DEP_2) | instskip(NEXT) | instid1(VALU_DEP_2)
	v_ashrrev_i32_e32 v5, 31, v4
	v_mul_f32_e64 v7, v2, -v12
	v_mul_f32_e32 v6, v2, v11
	s_delay_alu instid0(VALU_DEP_3) | instskip(NEXT) | instid1(VALU_DEP_3)
	v_lshlrev_b64 v[4:5], 3, v[4:5]
	v_fmac_f32_e32 v7, v11, v1
	s_delay_alu instid0(VALU_DEP_2) | instskip(NEXT) | instid1(VALU_DEP_3)
	v_add_co_u32 v4, vcc_lo, s10, v4
	v_add_co_ci_u32_e32 v5, vcc_lo, s11, v5, vcc_lo
	global_load_b64 v[4:5], v[4:5], off
	v_fmac_f32_e32 v6, v12, v1
	s_waitcnt vmcnt(0)
	s_delay_alu instid0(VALU_DEP_1) | instskip(NEXT) | instid1(VALU_DEP_1)
	v_mul_f32_e64 v1, v5, -v6
	v_dual_mul_f32 v2, v5, v7 :: v_dual_fmac_f32 v1, v7, v4
	s_delay_alu instid0(VALU_DEP_1)
	v_fmac_f32_e32 v2, v6, v4
	ds_store_b64 v3, v[1:2] offset:6144
.LBB51_28:
	s_or_b32 exec_lo, exec_lo, s18
	s_cmp_lt_u32 s2, 11
	s_waitcnt lgkmcnt(0)
	s_barrier
	buffer_gl0_inv
	s_cbranch_scc0 .LBB51_37
; %bb.29:
	s_load_b64 s[4:5], s[0:1], 0x58
	v_cmp_neq_f32_e32 vcc_lo, 0, v9
	v_cmp_neq_f32_e64 s0, 0, v10
	v_mov_b32_e32 v2, 0
	s_sub_i32 s1, s15, s14
	s_add_i32 s13, s13, s14
	s_mov_b32 s6, 0
	s_or_b32 s0, vcc_lo, s0
	s_branch .LBB51_32
.LBB51_30:                              ;   in Loop: Header=BB51_32 Depth=1
	s_or_b32 exec_lo, exec_lo, s8
	s_delay_alu instid0(VALU_DEP_1) | instskip(NEXT) | instid1(VALU_DEP_2)
	v_add_co_u32 v5, vcc_lo, s4, v5
	v_add_co_ci_u32_e32 v6, vcc_lo, s5, v6, vcc_lo
	global_store_b64 v[5:6], v[3:4], off
.LBB51_31:                              ;   in Loop: Header=BB51_32 Depth=1
	s_or_b32 exec_lo, exec_lo, s7
	s_addk_i32 s6, 0x100
	s_delay_alu instid0(SALU_CYCLE_1)
	s_cmp_lt_u32 s6, s3
	s_cbranch_scc0 .LBB51_37
.LBB51_32:                              ; =>This Loop Header: Depth=1
                                        ;     Child Loop BB51_34 Depth 2
	v_add_nc_u32_e32 v3, s6, v0
	s_mov_b32 s7, exec_lo
	s_delay_alu instid0(VALU_DEP_1)
	v_cmpx_gt_u32_e64 s1, v3
	s_cbranch_execz .LBB51_31
; %bb.33:                               ;   in Loop: Header=BB51_32 Depth=1
	v_add_nc_u32_e32 v1, s13, v3
	s_mov_b32 s8, 1
	s_delay_alu instid0(VALU_DEP_1) | instskip(SKIP_1) | instid1(VALU_DEP_1)
	v_lshlrev_b64 v[4:5], 2, v[1:2]
	v_lshlrev_b32_e32 v1, s2, v3
	v_lshlrev_b32_e32 v1, 3, v1
	s_delay_alu instid0(VALU_DEP_3) | instskip(NEXT) | instid1(VALU_DEP_4)
	v_add_co_u32 v4, vcc_lo, s16, v4
	v_add_co_ci_u32_e32 v5, vcc_lo, s17, v5, vcc_lo
	global_load_b32 v5, v[4:5], off
	v_mov_b32_e32 v4, 0
	s_delay_alu instid0(VALU_DEP_1)
	v_mov_b32_e32 v3, v4
.LBB51_34:                              ;   Parent Loop BB51_32 Depth=1
                                        ; =>  This Inner Loop Header: Depth=2
	ds_load_b64 v[6:7], v1
	v_add_nc_u32_e32 v1, 8, v1
	s_lshr_b32 s9, s8, s2
	s_add_i32 s8, s8, 1
	s_cmp_lg_u32 s9, 0
	s_waitcnt lgkmcnt(0)
	v_dual_add_f32 v4, v4, v7 :: v_dual_add_f32 v3, v3, v6
	s_cbranch_scc0 .LBB51_34
; %bb.35:                               ;   in Loop: Header=BB51_32 Depth=1
	s_waitcnt vmcnt(0)
	v_ashrrev_i32_e32 v6, 31, v5
	s_delay_alu instid0(VALU_DEP_1)
	v_lshlrev_b64 v[5:6], 3, v[5:6]
	s_and_saveexec_b32 s8, s0
	s_cbranch_execz .LBB51_30
; %bb.36:                               ;   in Loop: Header=BB51_32 Depth=1
	s_delay_alu instid0(VALU_DEP_1) | instskip(NEXT) | instid1(VALU_DEP_2)
	v_add_co_u32 v7, vcc_lo, s4, v5
	v_add_co_ci_u32_e32 v8, vcc_lo, s5, v6, vcc_lo
	global_load_b64 v[7:8], v[7:8], off
	s_waitcnt vmcnt(0)
	v_fmac_f32_e32 v3, v9, v7
	v_fmac_f32_e32 v4, v10, v7
	s_delay_alu instid0(VALU_DEP_2) | instskip(NEXT) | instid1(VALU_DEP_2)
	v_fma_f32 v3, -v10, v8, v3
	v_fmac_f32_e32 v4, v9, v8
	s_branch .LBB51_30
.LBB51_37:
	s_nop 0
	s_sendmsg sendmsg(MSG_DEALLOC_VGPRS)
	s_endpgm
.LBB51_38:
	v_dual_mov_b32 v1, s4 :: v_dual_mov_b32 v2, s5
	flat_load_b32 v11, v[1:2]
	v_cndmask_b32_e64 v1, 0, 1, s6
	v_mov_b32_e32 v12, s5
	s_and_not1_b32 vcc_lo, exec_lo, s6
	s_cbranch_vccnz .LBB51_2
.LBB51_39:
	v_dual_mov_b32 v2, s4 :: v_dual_mov_b32 v3, s5
	flat_load_b32 v12, v[2:3] offset:4
	v_cmp_ne_u32_e32 vcc_lo, 1, v1
	v_mov_b32_e32 v9, s2
	s_cbranch_vccnz .LBB51_3
.LBB51_40:
	v_dual_mov_b32 v2, s2 :: v_dual_mov_b32 v3, s3
	flat_load_b32 v9, v[2:3]
	v_cmp_ne_u32_e32 vcc_lo, 1, v1
	v_mov_b32_e32 v10, s3
	s_cbranch_vccz .LBB51_4
	s_branch .LBB51_5
	.section	.rodata,"a",@progbits
	.p2align	6, 0x0
	.amdhsa_kernel _ZN9rocsparseL30csrmvn_lrb_short_rows_2_kernelIli21rocsparse_complex_numIfES2_S2_S2_EEvbT_PT0_S5_jNS_24const_host_device_scalarIT4_EEPKS3_PKS4_PKT1_PKT2_S8_PT3_21rocsparse_index_base_b
		.amdhsa_group_segment_fixed_size 8192
		.amdhsa_private_segment_fixed_size 0
		.amdhsa_kernarg_size 104
		.amdhsa_user_sgpr_count 15
		.amdhsa_user_sgpr_dispatch_ptr 0
		.amdhsa_user_sgpr_queue_ptr 0
		.amdhsa_user_sgpr_kernarg_segment_ptr 1
		.amdhsa_user_sgpr_dispatch_id 0
		.amdhsa_user_sgpr_private_segment_size 0
		.amdhsa_wavefront_size32 1
		.amdhsa_uses_dynamic_stack 0
		.amdhsa_enable_private_segment 0
		.amdhsa_system_sgpr_workgroup_id_x 1
		.amdhsa_system_sgpr_workgroup_id_y 0
		.amdhsa_system_sgpr_workgroup_id_z 0
		.amdhsa_system_sgpr_workgroup_info 0
		.amdhsa_system_vgpr_workitem_id 0
		.amdhsa_next_free_vgpr 13
		.amdhsa_next_free_sgpr 21
		.amdhsa_reserve_vcc 1
		.amdhsa_float_round_mode_32 0
		.amdhsa_float_round_mode_16_64 0
		.amdhsa_float_denorm_mode_32 3
		.amdhsa_float_denorm_mode_16_64 3
		.amdhsa_dx10_clamp 1
		.amdhsa_ieee_mode 1
		.amdhsa_fp16_overflow 0
		.amdhsa_workgroup_processor_mode 1
		.amdhsa_memory_ordered 1
		.amdhsa_forward_progress 0
		.amdhsa_shared_vgpr_count 0
		.amdhsa_exception_fp_ieee_invalid_op 0
		.amdhsa_exception_fp_denorm_src 0
		.amdhsa_exception_fp_ieee_div_zero 0
		.amdhsa_exception_fp_ieee_overflow 0
		.amdhsa_exception_fp_ieee_underflow 0
		.amdhsa_exception_fp_ieee_inexact 0
		.amdhsa_exception_int_div_zero 0
	.end_amdhsa_kernel
	.section	.text._ZN9rocsparseL30csrmvn_lrb_short_rows_2_kernelIli21rocsparse_complex_numIfES2_S2_S2_EEvbT_PT0_S5_jNS_24const_host_device_scalarIT4_EEPKS3_PKS4_PKT1_PKT2_S8_PT3_21rocsparse_index_base_b,"axG",@progbits,_ZN9rocsparseL30csrmvn_lrb_short_rows_2_kernelIli21rocsparse_complex_numIfES2_S2_S2_EEvbT_PT0_S5_jNS_24const_host_device_scalarIT4_EEPKS3_PKS4_PKT1_PKT2_S8_PT3_21rocsparse_index_base_b,comdat
.Lfunc_end51:
	.size	_ZN9rocsparseL30csrmvn_lrb_short_rows_2_kernelIli21rocsparse_complex_numIfES2_S2_S2_EEvbT_PT0_S5_jNS_24const_host_device_scalarIT4_EEPKS3_PKS4_PKT1_PKT2_S8_PT3_21rocsparse_index_base_b, .Lfunc_end51-_ZN9rocsparseL30csrmvn_lrb_short_rows_2_kernelIli21rocsparse_complex_numIfES2_S2_S2_EEvbT_PT0_S5_jNS_24const_host_device_scalarIT4_EEPKS3_PKS4_PKT1_PKT2_S8_PT3_21rocsparse_index_base_b
                                        ; -- End function
	.section	.AMDGPU.csdata,"",@progbits
; Kernel info:
; codeLenInByte = 2432
; NumSgprs: 23
; NumVgprs: 13
; ScratchSize: 0
; MemoryBound: 0
; FloatMode: 240
; IeeeMode: 1
; LDSByteSize: 8192 bytes/workgroup (compile time only)
; SGPRBlocks: 2
; VGPRBlocks: 1
; NumSGPRsForWavesPerEU: 23
; NumVGPRsForWavesPerEU: 13
; Occupancy: 16
; WaveLimiterHint : 1
; COMPUTE_PGM_RSRC2:SCRATCH_EN: 0
; COMPUTE_PGM_RSRC2:USER_SGPR: 15
; COMPUTE_PGM_RSRC2:TRAP_HANDLER: 0
; COMPUTE_PGM_RSRC2:TGID_X_EN: 1
; COMPUTE_PGM_RSRC2:TGID_Y_EN: 0
; COMPUTE_PGM_RSRC2:TGID_Z_EN: 0
; COMPUTE_PGM_RSRC2:TIDIG_COMP_CNT: 0
	.section	.text._ZN9rocsparseL41csrmvn_lrb_medium_rows_warp_reduce_kernelILj256ELj32Eli21rocsparse_complex_numIfES2_S2_S2_EEvbT1_lPT2_S5_jNS_24const_host_device_scalarIT6_EEPKS3_PKS4_PKT3_PKT4_S8_PT5_21rocsparse_index_base_b,"axG",@progbits,_ZN9rocsparseL41csrmvn_lrb_medium_rows_warp_reduce_kernelILj256ELj32Eli21rocsparse_complex_numIfES2_S2_S2_EEvbT1_lPT2_S5_jNS_24const_host_device_scalarIT6_EEPKS3_PKS4_PKT3_PKT4_S8_PT5_21rocsparse_index_base_b,comdat
	.globl	_ZN9rocsparseL41csrmvn_lrb_medium_rows_warp_reduce_kernelILj256ELj32Eli21rocsparse_complex_numIfES2_S2_S2_EEvbT1_lPT2_S5_jNS_24const_host_device_scalarIT6_EEPKS3_PKS4_PKT3_PKT4_S8_PT5_21rocsparse_index_base_b ; -- Begin function _ZN9rocsparseL41csrmvn_lrb_medium_rows_warp_reduce_kernelILj256ELj32Eli21rocsparse_complex_numIfES2_S2_S2_EEvbT1_lPT2_S5_jNS_24const_host_device_scalarIT6_EEPKS3_PKS4_PKT3_PKT4_S8_PT5_21rocsparse_index_base_b
	.p2align	8
	.type	_ZN9rocsparseL41csrmvn_lrb_medium_rows_warp_reduce_kernelILj256ELj32Eli21rocsparse_complex_numIfES2_S2_S2_EEvbT1_lPT2_S5_jNS_24const_host_device_scalarIT6_EEPKS3_PKS4_PKT3_PKT4_S8_PT5_21rocsparse_index_base_b,@function
_ZN9rocsparseL41csrmvn_lrb_medium_rows_warp_reduce_kernelILj256ELj32Eli21rocsparse_complex_numIfES2_S2_S2_EEvbT1_lPT2_S5_jNS_24const_host_device_scalarIT6_EEPKS3_PKS4_PKT3_PKT4_S8_PT5_21rocsparse_index_base_b: ; @_ZN9rocsparseL41csrmvn_lrb_medium_rows_warp_reduce_kernelILj256ELj32Eli21rocsparse_complex_numIfES2_S2_S2_EEvbT1_lPT2_S5_jNS_24const_host_device_scalarIT6_EEPKS3_PKS4_PKT3_PKT4_S8_PT5_21rocsparse_index_base_b
; %bb.0:
	s_clause 0x2
	s_load_b64 s[4:5], s[0:1], 0x68
	s_load_b64 s[6:7], s[0:1], 0x30
	;; [unrolled: 1-line block ×3, first 2 shown]
	s_waitcnt lgkmcnt(0)
	s_bitcmp1_b32 s5, 0
	v_mov_b32_e32 v13, s6
	s_cselect_b32 s5, -1, 0
	s_delay_alu instid0(SALU_CYCLE_1)
	s_and_b32 vcc_lo, exec_lo, s5
	s_xor_b32 s5, s5, -1
	s_cbranch_vccz .LBB52_18
; %bb.1:
	v_cndmask_b32_e64 v1, 0, 1, s5
	v_mov_b32_e32 v14, s7
	s_and_not1_b32 vcc_lo, exec_lo, s5
	s_cbranch_vccz .LBB52_19
.LBB52_2:
	s_delay_alu instid0(VALU_DEP_2)
	v_cmp_ne_u32_e32 vcc_lo, 1, v1
	v_mov_b32_e32 v11, s2
	s_cbranch_vccz .LBB52_20
.LBB52_3:
	v_cmp_ne_u32_e32 vcc_lo, 1, v1
	v_mov_b32_e32 v12, s3
	s_cbranch_vccnz .LBB52_5
.LBB52_4:
	v_dual_mov_b32 v1, s2 :: v_dual_mov_b32 v2, s3
	flat_load_b32 v12, v[1:2] offset:4
.LBB52_5:
	s_waitcnt vmcnt(0) lgkmcnt(0)
	v_cmp_eq_f32_e32 vcc_lo, 0, v13
	v_cmp_eq_f32_e64 s2, 0, v14
	s_delay_alu instid0(VALU_DEP_1)
	s_and_b32 s5, vcc_lo, s2
	s_mov_b32 s2, -1
	s_and_saveexec_b32 s3, s5
; %bb.6:
	v_cmp_neq_f32_e32 vcc_lo, 1.0, v11
	v_cmp_neq_f32_e64 s2, 0, v12
	s_delay_alu instid0(VALU_DEP_1) | instskip(NEXT) | instid1(SALU_CYCLE_1)
	s_or_b32 s2, vcc_lo, s2
	s_or_not1_b32 s2, s2, exec_lo
; %bb.7:
	s_or_b32 exec_lo, exec_lo, s3
	s_and_saveexec_b32 s3, s2
	s_cbranch_execz .LBB52_17
; %bb.8:
	s_load_b64 s[2:3], s[0:1], 0x10
	v_lshrrev_b32_e32 v1, 5, v0
	s_delay_alu instid0(VALU_DEP_1) | instskip(NEXT) | instid1(VALU_DEP_1)
	v_lshl_or_b32 v1, s15, 3, v1
	v_ashrrev_i32_e32 v2, 31, v1
	s_waitcnt lgkmcnt(0)
	s_delay_alu instid0(VALU_DEP_1)
	v_cmp_gt_i64_e32 vcc_lo, s[2:3], v[1:2]
	s_and_b32 exec_lo, exec_lo, vcc_lo
	s_cbranch_execz .LBB52_17
; %bb.9:
	s_clause 0x1
	s_load_b32 s6, s[0:1], 0x28
	s_load_b128 s[8:11], s[0:1], 0x18
	s_mov_b32 s7, 0
	v_dual_mov_b32 v15, 0 :: v_dual_and_b32 v0, 31, v0
	v_mov_b32_e32 v16, 0
	s_delay_alu instid0(VALU_DEP_2) | instskip(NEXT) | instid1(VALU_DEP_1)
	v_sub_co_u32 v9, s5, v0, s4
	v_sub_co_ci_u32_e64 v10, null, 0, 0, s5
	s_mov_b32 s5, exec_lo
	s_waitcnt lgkmcnt(0)
	s_lshl_b64 s[2:3], s[6:7], 2
	s_delay_alu instid0(SALU_CYCLE_1)
	s_add_u32 s2, s10, s2
	s_addc_u32 s3, s11, s3
	s_load_b32 s2, s[2:3], 0x0
	s_waitcnt lgkmcnt(0)
	v_add_nc_u32_e32 v1, s2, v1
	s_load_b64 s[2:3], s[0:1], 0x38
	s_delay_alu instid0(VALU_DEP_1) | instskip(NEXT) | instid1(VALU_DEP_1)
	v_ashrrev_i32_e32 v2, 31, v1
	v_lshlrev_b64 v[1:2], 2, v[1:2]
	s_delay_alu instid0(VALU_DEP_1) | instskip(NEXT) | instid1(VALU_DEP_2)
	v_add_co_u32 v1, vcc_lo, s8, v1
	v_add_co_ci_u32_e32 v2, vcc_lo, s9, v2, vcc_lo
	global_load_b32 v1, v[1:2], off
	s_waitcnt vmcnt(0)
	v_ashrrev_i32_e32 v2, 31, v1
	s_delay_alu instid0(VALU_DEP_1) | instskip(SKIP_1) | instid1(VALU_DEP_1)
	v_lshlrev_b64 v[1:2], 3, v[1:2]
	s_waitcnt lgkmcnt(0)
	v_add_co_u32 v3, vcc_lo, s2, v1
	s_delay_alu instid0(VALU_DEP_2)
	v_add_co_ci_u32_e32 v4, vcc_lo, s3, v2, vcc_lo
	s_load_b64 s[2:3], s[0:1], 0x60
	global_load_b128 v[5:8], v[3:4], off
	s_waitcnt vmcnt(0)
	v_sub_co_u32 v3, vcc_lo, v7, s4
	v_subrev_co_ci_u32_e32 v4, vcc_lo, 0, v8, vcc_lo
	v_add_co_u32 v5, vcc_lo, v5, v9
	v_add_co_ci_u32_e32 v6, vcc_lo, v6, v10, vcc_lo
	s_delay_alu instid0(VALU_DEP_1)
	v_cmpx_lt_i64_e64 v[5:6], v[3:4]
	s_cbranch_execz .LBB52_13
; %bb.10:
	s_clause 0x2
	s_load_b128 s[12:15], s[0:1], 0x40
	s_load_b32 s6, s[0:1], 0x0
	s_load_b64 s[8:9], s[0:1], 0x50
	v_lshlrev_b64 v[7:8], 3, v[5:6]
	v_lshlrev_b64 v[9:10], 2, v[5:6]
	v_mov_b32_e32 v15, 0
	s_waitcnt lgkmcnt(0)
	s_delay_alu instid0(VALU_DEP_3) | instskip(NEXT) | instid1(VALU_DEP_4)
	v_add_co_u32 v16, vcc_lo, v7, s14
	v_add_co_ci_u32_e32 v17, vcc_lo, s15, v8, vcc_lo
	s_delay_alu instid0(VALU_DEP_4) | instskip(SKIP_1) | instid1(VALU_DEP_4)
	v_add_co_u32 v7, vcc_lo, s12, v9
	v_add_co_ci_u32_e32 v8, vcc_lo, s13, v10, vcc_lo
	v_add_co_u32 v9, vcc_lo, v16, 4
	v_mov_b32_e32 v16, 0
	v_add_co_ci_u32_e32 v10, vcc_lo, 0, v17, vcc_lo
	s_bitcmp1_b32 s6, 0
	s_cselect_b32 s1, -1, 0
	s_set_inst_prefetch_distance 0x1
	.p2align	6
.LBB52_11:                              ; =>This Inner Loop Header: Depth=1
	global_load_b32 v17, v[7:8], off
	global_load_b64 v[19:20], v[9:10], off offset:-4
	s_waitcnt vmcnt(1)
	v_subrev_nc_u32_e32 v17, s4, v17
	s_waitcnt vmcnt(0)
	v_cndmask_b32_e64 v20, v20, -v20, s1
	s_delay_alu instid0(VALU_DEP_2) | instskip(NEXT) | instid1(VALU_DEP_2)
	v_ashrrev_i32_e32 v18, 31, v17
	v_mul_f32_e64 v21, v20, -v14
	v_mul_f32_e32 v20, v20, v13
	s_delay_alu instid0(VALU_DEP_3) | instskip(NEXT) | instid1(VALU_DEP_3)
	v_lshlrev_b64 v[17:18], 3, v[17:18]
	v_fmac_f32_e32 v21, v13, v19
	s_delay_alu instid0(VALU_DEP_2) | instskip(NEXT) | instid1(VALU_DEP_3)
	v_add_co_u32 v17, vcc_lo, s8, v17
	v_add_co_ci_u32_e32 v18, vcc_lo, s9, v18, vcc_lo
	v_add_co_u32 v5, vcc_lo, v5, 32
	v_add_co_ci_u32_e32 v6, vcc_lo, 0, v6, vcc_lo
	global_load_b64 v[17:18], v[17:18], off
	v_fmac_f32_e32 v20, v14, v19
	v_add_co_u32 v9, vcc_lo, 0x100, v9
	v_add_co_ci_u32_e32 v10, vcc_lo, 0, v10, vcc_lo
	v_cmp_ge_i64_e64 s0, v[5:6], v[3:4]
	v_add_co_u32 v7, vcc_lo, 0x80, v7
	v_add_co_ci_u32_e32 v8, vcc_lo, 0, v8, vcc_lo
	s_delay_alu instid0(VALU_DEP_3) | instskip(SKIP_3) | instid1(VALU_DEP_1)
	s_or_b32 s7, s0, s7
	s_waitcnt vmcnt(0)
	v_fmac_f32_e32 v16, v21, v17
	v_fmac_f32_e32 v15, v20, v17
	;; [unrolled: 1-line block ×3, first 2 shown]
	s_delay_alu instid0(VALU_DEP_3)
	v_fma_f32 v16, -v20, v18, v16
	s_and_not1_b32 exec_lo, exec_lo, s7
	s_cbranch_execnz .LBB52_11
; %bb.12:
	s_set_inst_prefetch_distance 0x2
	s_or_b32 exec_lo, exec_lo, s7
.LBB52_13:
	s_delay_alu instid0(SALU_CYCLE_1) | instskip(SKIP_1) | instid1(VALU_DEP_1)
	s_or_b32 exec_lo, exec_lo, s5
	v_mbcnt_lo_u32_b32 v3, -1, 0
	v_xor_b32_e32 v4, 16, v3
	v_xor_b32_e32 v6, 8, v3
	;; [unrolled: 1-line block ×3, first 2 shown]
	s_delay_alu instid0(VALU_DEP_3) | instskip(SKIP_1) | instid1(VALU_DEP_4)
	v_cmp_gt_i32_e32 vcc_lo, 32, v4
	v_cndmask_b32_e32 v4, v3, v4, vcc_lo
	v_cmp_gt_i32_e32 vcc_lo, 32, v6
	s_delay_alu instid0(VALU_DEP_2)
	v_lshlrev_b32_e32 v4, 2, v4
	v_cndmask_b32_e32 v6, v3, v6, vcc_lo
	v_cmp_gt_i32_e32 vcc_lo, 32, v8
	ds_bpermute_b32 v5, v4, v16
	v_lshlrev_b32_e32 v6, 2, v6
	v_cndmask_b32_e32 v8, v3, v8, vcc_lo
	s_waitcnt lgkmcnt(0)
	s_delay_alu instid0(VALU_DEP_1)
	v_dual_add_f32 v5, v16, v5 :: v_dual_lshlrev_b32 v8, 2, v8
	ds_bpermute_b32 v7, v6, v5
	s_waitcnt lgkmcnt(0)
	v_add_f32_e32 v5, v5, v7
	ds_bpermute_b32 v4, v4, v15
	s_waitcnt lgkmcnt(0)
	v_add_f32_e32 v4, v15, v4
	;; [unrolled: 3-line block ×3, first 2 shown]
	ds_bpermute_b32 v6, v8, v5
	ds_bpermute_b32 v7, v8, v4
	v_xor_b32_e32 v8, 2, v3
	s_delay_alu instid0(VALU_DEP_1) | instskip(SKIP_2) | instid1(VALU_DEP_1)
	v_cmp_gt_i32_e32 vcc_lo, 32, v8
	s_waitcnt lgkmcnt(1)
	v_dual_cndmask_b32 v8, v3, v8 :: v_dual_add_f32 v5, v5, v6
	v_lshlrev_b32_e32 v8, 2, v8
	s_waitcnt lgkmcnt(0)
	v_add_f32_e32 v4, v4, v7
	ds_bpermute_b32 v6, v8, v5
	ds_bpermute_b32 v7, v8, v4
	v_xor_b32_e32 v8, 1, v3
	s_delay_alu instid0(VALU_DEP_1) | instskip(SKIP_3) | instid1(VALU_DEP_2)
	v_cmp_gt_i32_e32 vcc_lo, 32, v8
	v_cndmask_b32_e32 v3, v3, v8, vcc_lo
	v_cmp_eq_u32_e32 vcc_lo, 31, v0
	s_waitcnt lgkmcnt(1)
	v_dual_add_f32 v3, v5, v6 :: v_dual_lshlrev_b32 v8, 2, v3
	s_waitcnt lgkmcnt(0)
	v_add_f32_e32 v4, v4, v7
	ds_bpermute_b32 v5, v8, v3
	ds_bpermute_b32 v6, v8, v4
	s_and_b32 exec_lo, exec_lo, vcc_lo
	s_cbranch_execz .LBB52_17
; %bb.14:
	v_cmp_neq_f32_e32 vcc_lo, 0, v11
	v_cmp_neq_f32_e64 s0, 0, v12
	s_waitcnt lgkmcnt(0)
	v_dual_add_f32 v3, v3, v5 :: v_dual_add_f32 v4, v4, v6
	s_delay_alu instid0(VALU_DEP_2) | instskip(NEXT) | instid1(SALU_CYCLE_1)
	s_or_b32 s1, vcc_lo, s0
	s_and_saveexec_b32 s0, s1
	s_cbranch_execz .LBB52_16
; %bb.15:
	v_add_co_u32 v5, vcc_lo, s2, v1
	v_add_co_ci_u32_e32 v6, vcc_lo, s3, v2, vcc_lo
	global_load_b64 v[5:6], v[5:6], off
	s_waitcnt vmcnt(0)
	v_fmac_f32_e32 v3, v11, v5
	v_fmac_f32_e32 v4, v12, v5
	s_delay_alu instid0(VALU_DEP_2) | instskip(NEXT) | instid1(VALU_DEP_2)
	v_fma_f32 v3, -v12, v6, v3
	v_fmac_f32_e32 v4, v11, v6
.LBB52_16:
	s_or_b32 exec_lo, exec_lo, s0
	v_add_co_u32 v0, vcc_lo, s2, v1
	v_add_co_ci_u32_e32 v1, vcc_lo, s3, v2, vcc_lo
	global_store_b64 v[0:1], v[3:4], off
.LBB52_17:
	s_nop 0
	s_sendmsg sendmsg(MSG_DEALLOC_VGPRS)
	s_endpgm
.LBB52_18:
	v_dual_mov_b32 v1, s6 :: v_dual_mov_b32 v2, s7
	flat_load_b32 v13, v[1:2]
	v_cndmask_b32_e64 v1, 0, 1, s5
	v_mov_b32_e32 v14, s7
	s_and_not1_b32 vcc_lo, exec_lo, s5
	s_cbranch_vccnz .LBB52_2
.LBB52_19:
	v_dual_mov_b32 v2, s6 :: v_dual_mov_b32 v3, s7
	flat_load_b32 v14, v[2:3] offset:4
	v_cmp_ne_u32_e32 vcc_lo, 1, v1
	v_mov_b32_e32 v11, s2
	s_cbranch_vccnz .LBB52_3
.LBB52_20:
	v_dual_mov_b32 v2, s2 :: v_dual_mov_b32 v3, s3
	flat_load_b32 v11, v[2:3]
	v_cmp_ne_u32_e32 vcc_lo, 1, v1
	v_mov_b32_e32 v12, s3
	s_cbranch_vccz .LBB52_4
	s_branch .LBB52_5
	.section	.rodata,"a",@progbits
	.p2align	6, 0x0
	.amdhsa_kernel _ZN9rocsparseL41csrmvn_lrb_medium_rows_warp_reduce_kernelILj256ELj32Eli21rocsparse_complex_numIfES2_S2_S2_EEvbT1_lPT2_S5_jNS_24const_host_device_scalarIT6_EEPKS3_PKS4_PKT3_PKT4_S8_PT5_21rocsparse_index_base_b
		.amdhsa_group_segment_fixed_size 0
		.amdhsa_private_segment_fixed_size 0
		.amdhsa_kernarg_size 112
		.amdhsa_user_sgpr_count 15
		.amdhsa_user_sgpr_dispatch_ptr 0
		.amdhsa_user_sgpr_queue_ptr 0
		.amdhsa_user_sgpr_kernarg_segment_ptr 1
		.amdhsa_user_sgpr_dispatch_id 0
		.amdhsa_user_sgpr_private_segment_size 0
		.amdhsa_wavefront_size32 1
		.amdhsa_uses_dynamic_stack 0
		.amdhsa_enable_private_segment 0
		.amdhsa_system_sgpr_workgroup_id_x 1
		.amdhsa_system_sgpr_workgroup_id_y 0
		.amdhsa_system_sgpr_workgroup_id_z 0
		.amdhsa_system_sgpr_workgroup_info 0
		.amdhsa_system_vgpr_workitem_id 0
		.amdhsa_next_free_vgpr 22
		.amdhsa_next_free_sgpr 16
		.amdhsa_reserve_vcc 1
		.amdhsa_float_round_mode_32 0
		.amdhsa_float_round_mode_16_64 0
		.amdhsa_float_denorm_mode_32 3
		.amdhsa_float_denorm_mode_16_64 3
		.amdhsa_dx10_clamp 1
		.amdhsa_ieee_mode 1
		.amdhsa_fp16_overflow 0
		.amdhsa_workgroup_processor_mode 1
		.amdhsa_memory_ordered 1
		.amdhsa_forward_progress 0
		.amdhsa_shared_vgpr_count 0
		.amdhsa_exception_fp_ieee_invalid_op 0
		.amdhsa_exception_fp_denorm_src 0
		.amdhsa_exception_fp_ieee_div_zero 0
		.amdhsa_exception_fp_ieee_overflow 0
		.amdhsa_exception_fp_ieee_underflow 0
		.amdhsa_exception_fp_ieee_inexact 0
		.amdhsa_exception_int_div_zero 0
	.end_amdhsa_kernel
	.section	.text._ZN9rocsparseL41csrmvn_lrb_medium_rows_warp_reduce_kernelILj256ELj32Eli21rocsparse_complex_numIfES2_S2_S2_EEvbT1_lPT2_S5_jNS_24const_host_device_scalarIT6_EEPKS3_PKS4_PKT3_PKT4_S8_PT5_21rocsparse_index_base_b,"axG",@progbits,_ZN9rocsparseL41csrmvn_lrb_medium_rows_warp_reduce_kernelILj256ELj32Eli21rocsparse_complex_numIfES2_S2_S2_EEvbT1_lPT2_S5_jNS_24const_host_device_scalarIT6_EEPKS3_PKS4_PKT3_PKT4_S8_PT5_21rocsparse_index_base_b,comdat
.Lfunc_end52:
	.size	_ZN9rocsparseL41csrmvn_lrb_medium_rows_warp_reduce_kernelILj256ELj32Eli21rocsparse_complex_numIfES2_S2_S2_EEvbT1_lPT2_S5_jNS_24const_host_device_scalarIT6_EEPKS3_PKS4_PKT3_PKT4_S8_PT5_21rocsparse_index_base_b, .Lfunc_end52-_ZN9rocsparseL41csrmvn_lrb_medium_rows_warp_reduce_kernelILj256ELj32Eli21rocsparse_complex_numIfES2_S2_S2_EEvbT1_lPT2_S5_jNS_24const_host_device_scalarIT6_EEPKS3_PKS4_PKT3_PKT4_S8_PT5_21rocsparse_index_base_b
                                        ; -- End function
	.section	.AMDGPU.csdata,"",@progbits
; Kernel info:
; codeLenInByte = 1292
; NumSgprs: 18
; NumVgprs: 22
; ScratchSize: 0
; MemoryBound: 0
; FloatMode: 240
; IeeeMode: 1
; LDSByteSize: 0 bytes/workgroup (compile time only)
; SGPRBlocks: 2
; VGPRBlocks: 2
; NumSGPRsForWavesPerEU: 18
; NumVGPRsForWavesPerEU: 22
; Occupancy: 16
; WaveLimiterHint : 1
; COMPUTE_PGM_RSRC2:SCRATCH_EN: 0
; COMPUTE_PGM_RSRC2:USER_SGPR: 15
; COMPUTE_PGM_RSRC2:TRAP_HANDLER: 0
; COMPUTE_PGM_RSRC2:TGID_X_EN: 1
; COMPUTE_PGM_RSRC2:TGID_Y_EN: 0
; COMPUTE_PGM_RSRC2:TGID_Z_EN: 0
; COMPUTE_PGM_RSRC2:TIDIG_COMP_CNT: 0
	.section	.text._ZN9rocsparseL41csrmvn_lrb_medium_rows_warp_reduce_kernelILj256ELj64Eli21rocsparse_complex_numIfES2_S2_S2_EEvbT1_lPT2_S5_jNS_24const_host_device_scalarIT6_EEPKS3_PKS4_PKT3_PKT4_S8_PT5_21rocsparse_index_base_b,"axG",@progbits,_ZN9rocsparseL41csrmvn_lrb_medium_rows_warp_reduce_kernelILj256ELj64Eli21rocsparse_complex_numIfES2_S2_S2_EEvbT1_lPT2_S5_jNS_24const_host_device_scalarIT6_EEPKS3_PKS4_PKT3_PKT4_S8_PT5_21rocsparse_index_base_b,comdat
	.globl	_ZN9rocsparseL41csrmvn_lrb_medium_rows_warp_reduce_kernelILj256ELj64Eli21rocsparse_complex_numIfES2_S2_S2_EEvbT1_lPT2_S5_jNS_24const_host_device_scalarIT6_EEPKS3_PKS4_PKT3_PKT4_S8_PT5_21rocsparse_index_base_b ; -- Begin function _ZN9rocsparseL41csrmvn_lrb_medium_rows_warp_reduce_kernelILj256ELj64Eli21rocsparse_complex_numIfES2_S2_S2_EEvbT1_lPT2_S5_jNS_24const_host_device_scalarIT6_EEPKS3_PKS4_PKT3_PKT4_S8_PT5_21rocsparse_index_base_b
	.p2align	8
	.type	_ZN9rocsparseL41csrmvn_lrb_medium_rows_warp_reduce_kernelILj256ELj64Eli21rocsparse_complex_numIfES2_S2_S2_EEvbT1_lPT2_S5_jNS_24const_host_device_scalarIT6_EEPKS3_PKS4_PKT3_PKT4_S8_PT5_21rocsparse_index_base_b,@function
_ZN9rocsparseL41csrmvn_lrb_medium_rows_warp_reduce_kernelILj256ELj64Eli21rocsparse_complex_numIfES2_S2_S2_EEvbT1_lPT2_S5_jNS_24const_host_device_scalarIT6_EEPKS3_PKS4_PKT3_PKT4_S8_PT5_21rocsparse_index_base_b: ; @_ZN9rocsparseL41csrmvn_lrb_medium_rows_warp_reduce_kernelILj256ELj64Eli21rocsparse_complex_numIfES2_S2_S2_EEvbT1_lPT2_S5_jNS_24const_host_device_scalarIT6_EEPKS3_PKS4_PKT3_PKT4_S8_PT5_21rocsparse_index_base_b
; %bb.0:
	s_clause 0x2
	s_load_b64 s[4:5], s[0:1], 0x68
	s_load_b64 s[6:7], s[0:1], 0x30
	;; [unrolled: 1-line block ×3, first 2 shown]
	s_waitcnt lgkmcnt(0)
	s_bitcmp1_b32 s5, 0
	v_mov_b32_e32 v13, s6
	s_cselect_b32 s5, -1, 0
	s_delay_alu instid0(SALU_CYCLE_1)
	s_and_b32 vcc_lo, exec_lo, s5
	s_xor_b32 s5, s5, -1
	s_cbranch_vccz .LBB53_18
; %bb.1:
	v_cndmask_b32_e64 v1, 0, 1, s5
	v_mov_b32_e32 v14, s7
	s_and_not1_b32 vcc_lo, exec_lo, s5
	s_cbranch_vccz .LBB53_19
.LBB53_2:
	s_delay_alu instid0(VALU_DEP_2)
	v_cmp_ne_u32_e32 vcc_lo, 1, v1
	v_mov_b32_e32 v11, s2
	s_cbranch_vccz .LBB53_20
.LBB53_3:
	v_cmp_ne_u32_e32 vcc_lo, 1, v1
	v_mov_b32_e32 v12, s3
	s_cbranch_vccnz .LBB53_5
.LBB53_4:
	v_dual_mov_b32 v1, s2 :: v_dual_mov_b32 v2, s3
	flat_load_b32 v12, v[1:2] offset:4
.LBB53_5:
	s_waitcnt vmcnt(0) lgkmcnt(0)
	v_cmp_eq_f32_e32 vcc_lo, 0, v13
	v_cmp_eq_f32_e64 s2, 0, v14
	s_delay_alu instid0(VALU_DEP_1)
	s_and_b32 s5, vcc_lo, s2
	s_mov_b32 s2, -1
	s_and_saveexec_b32 s3, s5
; %bb.6:
	v_cmp_neq_f32_e32 vcc_lo, 1.0, v11
	v_cmp_neq_f32_e64 s2, 0, v12
	s_delay_alu instid0(VALU_DEP_1) | instskip(NEXT) | instid1(SALU_CYCLE_1)
	s_or_b32 s2, vcc_lo, s2
	s_or_not1_b32 s2, s2, exec_lo
; %bb.7:
	s_or_b32 exec_lo, exec_lo, s3
	s_and_saveexec_b32 s3, s2
	s_cbranch_execz .LBB53_17
; %bb.8:
	s_load_b64 s[2:3], s[0:1], 0x10
	v_lshrrev_b32_e32 v1, 6, v0
	s_delay_alu instid0(VALU_DEP_1) | instskip(NEXT) | instid1(VALU_DEP_1)
	v_lshl_or_b32 v1, s15, 2, v1
	v_ashrrev_i32_e32 v2, 31, v1
	s_waitcnt lgkmcnt(0)
	s_delay_alu instid0(VALU_DEP_1)
	v_cmp_gt_i64_e32 vcc_lo, s[2:3], v[1:2]
	s_and_b32 exec_lo, exec_lo, vcc_lo
	s_cbranch_execz .LBB53_17
; %bb.9:
	s_clause 0x1
	s_load_b32 s6, s[0:1], 0x28
	s_load_b128 s[8:11], s[0:1], 0x18
	s_mov_b32 s7, 0
	v_dual_mov_b32 v15, 0 :: v_dual_and_b32 v0, 63, v0
	v_mov_b32_e32 v16, 0
	s_delay_alu instid0(VALU_DEP_2) | instskip(NEXT) | instid1(VALU_DEP_1)
	v_sub_co_u32 v9, s5, v0, s4
	v_sub_co_ci_u32_e64 v10, null, 0, 0, s5
	s_mov_b32 s5, exec_lo
	s_waitcnt lgkmcnt(0)
	s_lshl_b64 s[2:3], s[6:7], 2
	s_delay_alu instid0(SALU_CYCLE_1)
	s_add_u32 s2, s10, s2
	s_addc_u32 s3, s11, s3
	s_load_b32 s2, s[2:3], 0x0
	s_waitcnt lgkmcnt(0)
	v_add_nc_u32_e32 v1, s2, v1
	s_load_b64 s[2:3], s[0:1], 0x38
	s_delay_alu instid0(VALU_DEP_1) | instskip(NEXT) | instid1(VALU_DEP_1)
	v_ashrrev_i32_e32 v2, 31, v1
	v_lshlrev_b64 v[1:2], 2, v[1:2]
	s_delay_alu instid0(VALU_DEP_1) | instskip(NEXT) | instid1(VALU_DEP_2)
	v_add_co_u32 v1, vcc_lo, s8, v1
	v_add_co_ci_u32_e32 v2, vcc_lo, s9, v2, vcc_lo
	global_load_b32 v1, v[1:2], off
	s_waitcnt vmcnt(0)
	v_ashrrev_i32_e32 v2, 31, v1
	s_delay_alu instid0(VALU_DEP_1) | instskip(SKIP_1) | instid1(VALU_DEP_1)
	v_lshlrev_b64 v[1:2], 3, v[1:2]
	s_waitcnt lgkmcnt(0)
	v_add_co_u32 v3, vcc_lo, s2, v1
	s_delay_alu instid0(VALU_DEP_2)
	v_add_co_ci_u32_e32 v4, vcc_lo, s3, v2, vcc_lo
	s_load_b64 s[2:3], s[0:1], 0x60
	global_load_b128 v[5:8], v[3:4], off
	s_waitcnt vmcnt(0)
	v_sub_co_u32 v3, vcc_lo, v7, s4
	v_subrev_co_ci_u32_e32 v4, vcc_lo, 0, v8, vcc_lo
	v_add_co_u32 v5, vcc_lo, v5, v9
	v_add_co_ci_u32_e32 v6, vcc_lo, v6, v10, vcc_lo
	s_delay_alu instid0(VALU_DEP_1)
	v_cmpx_lt_i64_e64 v[5:6], v[3:4]
	s_cbranch_execz .LBB53_13
; %bb.10:
	s_clause 0x2
	s_load_b128 s[12:15], s[0:1], 0x40
	s_load_b32 s6, s[0:1], 0x0
	s_load_b64 s[8:9], s[0:1], 0x50
	v_lshlrev_b64 v[7:8], 3, v[5:6]
	v_lshlrev_b64 v[9:10], 2, v[5:6]
	v_mov_b32_e32 v15, 0
	s_waitcnt lgkmcnt(0)
	s_delay_alu instid0(VALU_DEP_3) | instskip(NEXT) | instid1(VALU_DEP_4)
	v_add_co_u32 v16, vcc_lo, v7, s14
	v_add_co_ci_u32_e32 v17, vcc_lo, s15, v8, vcc_lo
	s_delay_alu instid0(VALU_DEP_4) | instskip(SKIP_1) | instid1(VALU_DEP_4)
	v_add_co_u32 v7, vcc_lo, s12, v9
	v_add_co_ci_u32_e32 v8, vcc_lo, s13, v10, vcc_lo
	v_add_co_u32 v9, vcc_lo, v16, 4
	v_mov_b32_e32 v16, 0
	v_add_co_ci_u32_e32 v10, vcc_lo, 0, v17, vcc_lo
	s_bitcmp1_b32 s6, 0
	s_cselect_b32 s1, -1, 0
	s_set_inst_prefetch_distance 0x1
	.p2align	6
.LBB53_11:                              ; =>This Inner Loop Header: Depth=1
	global_load_b32 v17, v[7:8], off
	global_load_b64 v[19:20], v[9:10], off offset:-4
	s_waitcnt vmcnt(1)
	v_subrev_nc_u32_e32 v17, s4, v17
	s_waitcnt vmcnt(0)
	v_cndmask_b32_e64 v20, v20, -v20, s1
	s_delay_alu instid0(VALU_DEP_2) | instskip(NEXT) | instid1(VALU_DEP_2)
	v_ashrrev_i32_e32 v18, 31, v17
	v_mul_f32_e64 v21, v20, -v14
	v_mul_f32_e32 v20, v20, v13
	s_delay_alu instid0(VALU_DEP_3) | instskip(NEXT) | instid1(VALU_DEP_3)
	v_lshlrev_b64 v[17:18], 3, v[17:18]
	v_fmac_f32_e32 v21, v13, v19
	s_delay_alu instid0(VALU_DEP_2) | instskip(NEXT) | instid1(VALU_DEP_3)
	v_add_co_u32 v17, vcc_lo, s8, v17
	v_add_co_ci_u32_e32 v18, vcc_lo, s9, v18, vcc_lo
	v_add_co_u32 v5, vcc_lo, v5, 64
	v_add_co_ci_u32_e32 v6, vcc_lo, 0, v6, vcc_lo
	global_load_b64 v[17:18], v[17:18], off
	v_fmac_f32_e32 v20, v14, v19
	v_add_co_u32 v9, vcc_lo, 0x200, v9
	v_add_co_ci_u32_e32 v10, vcc_lo, 0, v10, vcc_lo
	v_cmp_ge_i64_e64 s0, v[5:6], v[3:4]
	v_add_co_u32 v7, vcc_lo, 0x100, v7
	v_add_co_ci_u32_e32 v8, vcc_lo, 0, v8, vcc_lo
	s_delay_alu instid0(VALU_DEP_3) | instskip(SKIP_3) | instid1(VALU_DEP_1)
	s_or_b32 s7, s0, s7
	s_waitcnt vmcnt(0)
	v_fmac_f32_e32 v16, v21, v17
	v_fmac_f32_e32 v15, v20, v17
	;; [unrolled: 1-line block ×3, first 2 shown]
	s_delay_alu instid0(VALU_DEP_3)
	v_fma_f32 v16, -v20, v18, v16
	s_and_not1_b32 exec_lo, exec_lo, s7
	s_cbranch_execnz .LBB53_11
; %bb.12:
	s_set_inst_prefetch_distance 0x2
	s_or_b32 exec_lo, exec_lo, s7
.LBB53_13:
	s_delay_alu instid0(SALU_CYCLE_1) | instskip(SKIP_1) | instid1(VALU_DEP_1)
	s_or_b32 exec_lo, exec_lo, s5
	v_mbcnt_lo_u32_b32 v3, -1, 0
	v_or_b32_e32 v4, 32, v3
	v_xor_b32_e32 v6, 16, v3
	v_xor_b32_e32 v8, 8, v3
	s_delay_alu instid0(VALU_DEP_3) | instskip(SKIP_1) | instid1(VALU_DEP_4)
	v_cmp_gt_i32_e32 vcc_lo, 32, v4
	v_cndmask_b32_e32 v4, v3, v4, vcc_lo
	v_cmp_gt_i32_e32 vcc_lo, 32, v6
	s_delay_alu instid0(VALU_DEP_2)
	v_lshlrev_b32_e32 v4, 2, v4
	v_cndmask_b32_e32 v6, v3, v6, vcc_lo
	v_cmp_gt_i32_e32 vcc_lo, 32, v8
	ds_bpermute_b32 v5, v4, v16
	v_lshlrev_b32_e32 v6, 2, v6
	v_cndmask_b32_e32 v8, v3, v8, vcc_lo
	s_waitcnt lgkmcnt(0)
	s_delay_alu instid0(VALU_DEP_1)
	v_dual_add_f32 v5, v16, v5 :: v_dual_lshlrev_b32 v8, 2, v8
	ds_bpermute_b32 v7, v6, v5
	s_waitcnt lgkmcnt(0)
	v_add_f32_e32 v5, v5, v7
	ds_bpermute_b32 v4, v4, v15
	s_waitcnt lgkmcnt(0)
	v_add_f32_e32 v4, v15, v4
	ds_bpermute_b32 v6, v6, v4
	s_waitcnt lgkmcnt(0)
	v_add_f32_e32 v4, v4, v6
	ds_bpermute_b32 v6, v8, v5
	ds_bpermute_b32 v7, v8, v4
	v_xor_b32_e32 v8, 4, v3
	s_delay_alu instid0(VALU_DEP_1) | instskip(SKIP_2) | instid1(VALU_DEP_1)
	v_cmp_gt_i32_e32 vcc_lo, 32, v8
	s_waitcnt lgkmcnt(1)
	v_dual_cndmask_b32 v8, v3, v8 :: v_dual_add_f32 v5, v5, v6
	v_lshlrev_b32_e32 v8, 2, v8
	s_waitcnt lgkmcnt(0)
	v_add_f32_e32 v4, v4, v7
	ds_bpermute_b32 v6, v8, v5
	ds_bpermute_b32 v7, v8, v4
	v_xor_b32_e32 v8, 2, v3
	s_delay_alu instid0(VALU_DEP_1) | instskip(SKIP_2) | instid1(VALU_DEP_1)
	v_cmp_gt_i32_e32 vcc_lo, 32, v8
	v_cndmask_b32_e32 v8, v3, v8, vcc_lo
	s_waitcnt lgkmcnt(1)
	v_dual_add_f32 v5, v5, v6 :: v_dual_lshlrev_b32 v8, 2, v8
	s_waitcnt lgkmcnt(0)
	v_add_f32_e32 v4, v4, v7
	ds_bpermute_b32 v6, v8, v5
	ds_bpermute_b32 v7, v8, v4
	v_xor_b32_e32 v8, 1, v3
	s_delay_alu instid0(VALU_DEP_1) | instskip(SKIP_3) | instid1(VALU_DEP_2)
	v_cmp_gt_i32_e32 vcc_lo, 32, v8
	v_cndmask_b32_e32 v3, v3, v8, vcc_lo
	v_cmp_eq_u32_e32 vcc_lo, 63, v0
	s_waitcnt lgkmcnt(1)
	v_dual_add_f32 v3, v5, v6 :: v_dual_lshlrev_b32 v8, 2, v3
	s_waitcnt lgkmcnt(0)
	v_add_f32_e32 v4, v4, v7
	ds_bpermute_b32 v5, v8, v3
	ds_bpermute_b32 v6, v8, v4
	s_and_b32 exec_lo, exec_lo, vcc_lo
	s_cbranch_execz .LBB53_17
; %bb.14:
	v_cmp_neq_f32_e32 vcc_lo, 0, v11
	v_cmp_neq_f32_e64 s0, 0, v12
	s_waitcnt lgkmcnt(0)
	v_dual_add_f32 v3, v3, v5 :: v_dual_add_f32 v4, v4, v6
	s_delay_alu instid0(VALU_DEP_2) | instskip(NEXT) | instid1(SALU_CYCLE_1)
	s_or_b32 s1, vcc_lo, s0
	s_and_saveexec_b32 s0, s1
	s_cbranch_execz .LBB53_16
; %bb.15:
	v_add_co_u32 v5, vcc_lo, s2, v1
	v_add_co_ci_u32_e32 v6, vcc_lo, s3, v2, vcc_lo
	global_load_b64 v[5:6], v[5:6], off
	s_waitcnt vmcnt(0)
	v_fmac_f32_e32 v3, v11, v5
	v_fmac_f32_e32 v4, v12, v5
	s_delay_alu instid0(VALU_DEP_2) | instskip(NEXT) | instid1(VALU_DEP_2)
	v_fma_f32 v3, -v12, v6, v3
	v_fmac_f32_e32 v4, v11, v6
.LBB53_16:
	s_or_b32 exec_lo, exec_lo, s0
	v_add_co_u32 v0, vcc_lo, s2, v1
	v_add_co_ci_u32_e32 v1, vcc_lo, s3, v2, vcc_lo
	global_store_b64 v[0:1], v[3:4], off
.LBB53_17:
	s_nop 0
	s_sendmsg sendmsg(MSG_DEALLOC_VGPRS)
	s_endpgm
.LBB53_18:
	v_dual_mov_b32 v1, s6 :: v_dual_mov_b32 v2, s7
	flat_load_b32 v13, v[1:2]
	v_cndmask_b32_e64 v1, 0, 1, s5
	v_mov_b32_e32 v14, s7
	s_and_not1_b32 vcc_lo, exec_lo, s5
	s_cbranch_vccnz .LBB53_2
.LBB53_19:
	v_dual_mov_b32 v2, s6 :: v_dual_mov_b32 v3, s7
	flat_load_b32 v14, v[2:3] offset:4
	v_cmp_ne_u32_e32 vcc_lo, 1, v1
	v_mov_b32_e32 v11, s2
	s_cbranch_vccnz .LBB53_3
.LBB53_20:
	v_dual_mov_b32 v2, s2 :: v_dual_mov_b32 v3, s3
	flat_load_b32 v11, v[2:3]
	v_cmp_ne_u32_e32 vcc_lo, 1, v1
	v_mov_b32_e32 v12, s3
	s_cbranch_vccz .LBB53_4
	s_branch .LBB53_5
	.section	.rodata,"a",@progbits
	.p2align	6, 0x0
	.amdhsa_kernel _ZN9rocsparseL41csrmvn_lrb_medium_rows_warp_reduce_kernelILj256ELj64Eli21rocsparse_complex_numIfES2_S2_S2_EEvbT1_lPT2_S5_jNS_24const_host_device_scalarIT6_EEPKS3_PKS4_PKT3_PKT4_S8_PT5_21rocsparse_index_base_b
		.amdhsa_group_segment_fixed_size 0
		.amdhsa_private_segment_fixed_size 0
		.amdhsa_kernarg_size 112
		.amdhsa_user_sgpr_count 15
		.amdhsa_user_sgpr_dispatch_ptr 0
		.amdhsa_user_sgpr_queue_ptr 0
		.amdhsa_user_sgpr_kernarg_segment_ptr 1
		.amdhsa_user_sgpr_dispatch_id 0
		.amdhsa_user_sgpr_private_segment_size 0
		.amdhsa_wavefront_size32 1
		.amdhsa_uses_dynamic_stack 0
		.amdhsa_enable_private_segment 0
		.amdhsa_system_sgpr_workgroup_id_x 1
		.amdhsa_system_sgpr_workgroup_id_y 0
		.amdhsa_system_sgpr_workgroup_id_z 0
		.amdhsa_system_sgpr_workgroup_info 0
		.amdhsa_system_vgpr_workitem_id 0
		.amdhsa_next_free_vgpr 22
		.amdhsa_next_free_sgpr 16
		.amdhsa_reserve_vcc 1
		.amdhsa_float_round_mode_32 0
		.amdhsa_float_round_mode_16_64 0
		.amdhsa_float_denorm_mode_32 3
		.amdhsa_float_denorm_mode_16_64 3
		.amdhsa_dx10_clamp 1
		.amdhsa_ieee_mode 1
		.amdhsa_fp16_overflow 0
		.amdhsa_workgroup_processor_mode 1
		.amdhsa_memory_ordered 1
		.amdhsa_forward_progress 0
		.amdhsa_shared_vgpr_count 0
		.amdhsa_exception_fp_ieee_invalid_op 0
		.amdhsa_exception_fp_denorm_src 0
		.amdhsa_exception_fp_ieee_div_zero 0
		.amdhsa_exception_fp_ieee_overflow 0
		.amdhsa_exception_fp_ieee_underflow 0
		.amdhsa_exception_fp_ieee_inexact 0
		.amdhsa_exception_int_div_zero 0
	.end_amdhsa_kernel
	.section	.text._ZN9rocsparseL41csrmvn_lrb_medium_rows_warp_reduce_kernelILj256ELj64Eli21rocsparse_complex_numIfES2_S2_S2_EEvbT1_lPT2_S5_jNS_24const_host_device_scalarIT6_EEPKS3_PKS4_PKT3_PKT4_S8_PT5_21rocsparse_index_base_b,"axG",@progbits,_ZN9rocsparseL41csrmvn_lrb_medium_rows_warp_reduce_kernelILj256ELj64Eli21rocsparse_complex_numIfES2_S2_S2_EEvbT1_lPT2_S5_jNS_24const_host_device_scalarIT6_EEPKS3_PKS4_PKT3_PKT4_S8_PT5_21rocsparse_index_base_b,comdat
.Lfunc_end53:
	.size	_ZN9rocsparseL41csrmvn_lrb_medium_rows_warp_reduce_kernelILj256ELj64Eli21rocsparse_complex_numIfES2_S2_S2_EEvbT1_lPT2_S5_jNS_24const_host_device_scalarIT6_EEPKS3_PKS4_PKT3_PKT4_S8_PT5_21rocsparse_index_base_b, .Lfunc_end53-_ZN9rocsparseL41csrmvn_lrb_medium_rows_warp_reduce_kernelILj256ELj64Eli21rocsparse_complex_numIfES2_S2_S2_EEvbT1_lPT2_S5_jNS_24const_host_device_scalarIT6_EEPKS3_PKS4_PKT3_PKT4_S8_PT5_21rocsparse_index_base_b
                                        ; -- End function
	.section	.AMDGPU.csdata,"",@progbits
; Kernel info:
; codeLenInByte = 1344
; NumSgprs: 18
; NumVgprs: 22
; ScratchSize: 0
; MemoryBound: 0
; FloatMode: 240
; IeeeMode: 1
; LDSByteSize: 0 bytes/workgroup (compile time only)
; SGPRBlocks: 2
; VGPRBlocks: 2
; NumSGPRsForWavesPerEU: 18
; NumVGPRsForWavesPerEU: 22
; Occupancy: 16
; WaveLimiterHint : 1
; COMPUTE_PGM_RSRC2:SCRATCH_EN: 0
; COMPUTE_PGM_RSRC2:USER_SGPR: 15
; COMPUTE_PGM_RSRC2:TRAP_HANDLER: 0
; COMPUTE_PGM_RSRC2:TGID_X_EN: 1
; COMPUTE_PGM_RSRC2:TGID_Y_EN: 0
; COMPUTE_PGM_RSRC2:TGID_Z_EN: 0
; COMPUTE_PGM_RSRC2:TIDIG_COMP_CNT: 0
	.section	.text._ZN9rocsparseL29csrmvn_lrb_medium_rows_kernelILj256Eli21rocsparse_complex_numIfES2_S2_S2_EEvbT0_PT1_S5_jNS_24const_host_device_scalarIT5_EEPKS3_PKS4_PKT2_PKT3_S8_PT4_21rocsparse_index_base_b,"axG",@progbits,_ZN9rocsparseL29csrmvn_lrb_medium_rows_kernelILj256Eli21rocsparse_complex_numIfES2_S2_S2_EEvbT0_PT1_S5_jNS_24const_host_device_scalarIT5_EEPKS3_PKS4_PKT2_PKT3_S8_PT4_21rocsparse_index_base_b,comdat
	.globl	_ZN9rocsparseL29csrmvn_lrb_medium_rows_kernelILj256Eli21rocsparse_complex_numIfES2_S2_S2_EEvbT0_PT1_S5_jNS_24const_host_device_scalarIT5_EEPKS3_PKS4_PKT2_PKT3_S8_PT4_21rocsparse_index_base_b ; -- Begin function _ZN9rocsparseL29csrmvn_lrb_medium_rows_kernelILj256Eli21rocsparse_complex_numIfES2_S2_S2_EEvbT0_PT1_S5_jNS_24const_host_device_scalarIT5_EEPKS3_PKS4_PKT2_PKT3_S8_PT4_21rocsparse_index_base_b
	.p2align	8
	.type	_ZN9rocsparseL29csrmvn_lrb_medium_rows_kernelILj256Eli21rocsparse_complex_numIfES2_S2_S2_EEvbT0_PT1_S5_jNS_24const_host_device_scalarIT5_EEPKS3_PKS4_PKT2_PKT3_S8_PT4_21rocsparse_index_base_b,@function
_ZN9rocsparseL29csrmvn_lrb_medium_rows_kernelILj256Eli21rocsparse_complex_numIfES2_S2_S2_EEvbT0_PT1_S5_jNS_24const_host_device_scalarIT5_EEPKS3_PKS4_PKT2_PKT3_S8_PT4_21rocsparse_index_base_b: ; @_ZN9rocsparseL29csrmvn_lrb_medium_rows_kernelILj256Eli21rocsparse_complex_numIfES2_S2_S2_EEvbT0_PT1_S5_jNS_24const_host_device_scalarIT5_EEPKS3_PKS4_PKT2_PKT3_S8_PT4_21rocsparse_index_base_b
; %bb.0:
	s_clause 0x2
	s_load_b64 s[6:7], s[0:1], 0x60
	s_load_b64 s[4:5], s[0:1], 0x28
	;; [unrolled: 1-line block ×3, first 2 shown]
	s_waitcnt lgkmcnt(0)
	s_bitcmp1_b32 s7, 0
	v_mov_b32_e32 v11, s4
	s_cselect_b32 s7, -1, 0
	s_delay_alu instid0(SALU_CYCLE_1)
	s_and_b32 vcc_lo, exec_lo, s7
	s_xor_b32 s7, s7, -1
	s_cbranch_vccz .LBB54_33
; %bb.1:
	v_cndmask_b32_e64 v1, 0, 1, s7
	v_mov_b32_e32 v12, s5
	s_and_not1_b32 vcc_lo, exec_lo, s7
	s_cbranch_vccz .LBB54_34
.LBB54_2:
	s_delay_alu instid0(VALU_DEP_2)
	v_cmp_ne_u32_e32 vcc_lo, 1, v1
	v_mov_b32_e32 v9, s2
	s_cbranch_vccz .LBB54_35
.LBB54_3:
	v_cmp_ne_u32_e32 vcc_lo, 1, v1
	v_mov_b32_e32 v10, s3
	s_cbranch_vccnz .LBB54_5
.LBB54_4:
	v_dual_mov_b32 v1, s2 :: v_dual_mov_b32 v2, s3
	flat_load_b32 v10, v[1:2] offset:4
.LBB54_5:
	s_waitcnt vmcnt(0) lgkmcnt(0)
	v_cmp_eq_f32_e32 vcc_lo, 0, v11
	v_cmp_eq_f32_e64 s2, 0, v12
	s_delay_alu instid0(VALU_DEP_1)
	s_and_b32 s4, vcc_lo, s2
	s_mov_b32 s2, -1
	s_and_saveexec_b32 s3, s4
; %bb.6:
	v_cmp_neq_f32_e32 vcc_lo, 1.0, v9
	v_cmp_neq_f32_e64 s2, 0, v10
	s_delay_alu instid0(VALU_DEP_1) | instskip(NEXT) | instid1(SALU_CYCLE_1)
	s_or_b32 s2, vcc_lo, s2
	s_or_not1_b32 s2, s2, exec_lo
; %bb.7:
	s_or_b32 exec_lo, exec_lo, s3
	s_and_saveexec_b32 s3, s2
	s_cbranch_execz .LBB54_32
; %bb.8:
	s_clause 0x1
	s_load_b32 s8, s[0:1], 0x20
	s_load_b128 s[16:19], s[0:1], 0x10
	s_mov_b32 s9, 0
	v_sub_co_u32 v1, s7, v0, s6
	s_delay_alu instid0(VALU_DEP_1) | instskip(SKIP_4) | instid1(SALU_CYCLE_1)
	v_sub_co_ci_u32_e64 v2, null, 0, 0, s7
	v_dual_mov_b32 v4, 0 :: v_dual_mov_b32 v3, 0
	s_mov_b32 s7, exec_lo
	s_waitcnt lgkmcnt(0)
	s_lshl_b64 s[2:3], s[8:9], 2
	s_add_u32 s2, s18, s2
	s_addc_u32 s3, s19, s3
	s_load_b32 s2, s[2:3], 0x0
	s_waitcnt lgkmcnt(0)
	s_add_i32 s2, s2, s15
	s_delay_alu instid0(SALU_CYCLE_1) | instskip(NEXT) | instid1(SALU_CYCLE_1)
	s_ashr_i32 s3, s2, 31
	s_lshl_b64 s[2:3], s[2:3], 2
	s_delay_alu instid0(SALU_CYCLE_1)
	s_add_u32 s2, s16, s2
	s_addc_u32 s3, s17, s3
	s_load_b32 s2, s[2:3], 0x0
	s_load_b64 s[4:5], s[0:1], 0x30
	s_waitcnt lgkmcnt(0)
	s_ashr_i32 s3, s2, 31
	s_delay_alu instid0(SALU_CYCLE_1) | instskip(NEXT) | instid1(SALU_CYCLE_1)
	s_lshl_b64 s[2:3], s[2:3], 3
	s_add_u32 s4, s4, s2
	s_addc_u32 s5, s5, s3
	s_load_b128 s[12:15], s[4:5], 0x0
	s_load_b64 s[4:5], s[0:1], 0x58
	s_waitcnt lgkmcnt(0)
	v_add_co_u32 v1, vcc_lo, s12, v1
	v_add_co_ci_u32_e32 v2, vcc_lo, s13, v2, vcc_lo
	s_sub_u32 s10, s14, s6
	s_subb_u32 s11, s15, 0
	s_delay_alu instid0(VALU_DEP_1) | instid1(SALU_CYCLE_1)
	v_cmpx_gt_i64_e64 s[10:11], v[1:2]
	s_cbranch_execz .LBB54_12
; %bb.9:
	s_clause 0x2
	s_load_b128 s[16:19], s[0:1], 0x38
	s_load_b32 s8, s[0:1], 0x0
	s_load_b64 s[12:13], s[0:1], 0x48
	v_lshlrev_b64 v[5:6], 3, v[1:2]
	v_lshlrev_b64 v[7:8], 2, v[1:2]
	v_mov_b32_e32 v4, 0
	s_waitcnt lgkmcnt(0)
	s_delay_alu instid0(VALU_DEP_3) | instskip(NEXT) | instid1(VALU_DEP_4)
	v_add_co_u32 v3, vcc_lo, v5, s18
	v_add_co_ci_u32_e32 v13, vcc_lo, s19, v6, vcc_lo
	s_delay_alu instid0(VALU_DEP_4) | instskip(SKIP_1) | instid1(VALU_DEP_4)
	v_add_co_u32 v5, vcc_lo, s16, v7
	v_add_co_ci_u32_e32 v6, vcc_lo, s17, v8, vcc_lo
	v_add_co_u32 v7, vcc_lo, v3, 4
	s_delay_alu instid0(VALU_DEP_4)
	v_add_co_ci_u32_e32 v8, vcc_lo, 0, v13, vcc_lo
	v_mov_b32_e32 v3, v4
	s_bitcmp1_b32 s8, 0
	s_cselect_b32 s1, -1, 0
	s_set_inst_prefetch_distance 0x1
	.p2align	6
.LBB54_10:                              ; =>This Inner Loop Header: Depth=1
	global_load_b32 v13, v[5:6], off
	global_load_b64 v[15:16], v[7:8], off offset:-4
	s_waitcnt vmcnt(1)
	v_subrev_nc_u32_e32 v13, s6, v13
	s_waitcnt vmcnt(0)
	v_cndmask_b32_e64 v16, v16, -v16, s1
	s_delay_alu instid0(VALU_DEP_2) | instskip(NEXT) | instid1(VALU_DEP_2)
	v_ashrrev_i32_e32 v14, 31, v13
	v_mul_f32_e64 v17, v16, -v12
	s_delay_alu instid0(VALU_DEP_2) | instskip(NEXT) | instid1(VALU_DEP_1)
	v_lshlrev_b64 v[13:14], 3, v[13:14]
	v_add_co_u32 v13, vcc_lo, s12, v13
	s_delay_alu instid0(VALU_DEP_2)
	v_add_co_ci_u32_e32 v14, vcc_lo, s13, v14, vcc_lo
	v_add_co_u32 v1, vcc_lo, 0x100, v1
	v_add_co_ci_u32_e32 v2, vcc_lo, 0, v2, vcc_lo
	global_load_b64 v[13:14], v[13:14], off
	v_fmac_f32_e32 v17, v11, v15
	v_mul_f32_e32 v16, v16, v11
	v_add_co_u32 v7, vcc_lo, 0x800, v7
	v_add_co_ci_u32_e32 v8, vcc_lo, 0, v8, vcc_lo
	v_cmp_le_i64_e64 s0, s[10:11], v[1:2]
	v_add_co_u32 v5, vcc_lo, 0x400, v5
	v_add_co_ci_u32_e32 v6, vcc_lo, 0, v6, vcc_lo
	s_delay_alu instid0(VALU_DEP_3) | instskip(SKIP_2) | instid1(VALU_DEP_1)
	s_or_b32 s9, s0, s9
	s_waitcnt vmcnt(0)
	v_dual_fmac_f32 v3, v17, v13 :: v_dual_fmac_f32 v16, v12, v15
	v_fmac_f32_e32 v4, v16, v13
	s_delay_alu instid0(VALU_DEP_2) | instskip(NEXT) | instid1(VALU_DEP_2)
	v_fma_f32 v3, -v16, v14, v3
	v_fmac_f32_e32 v4, v17, v14
	s_and_not1_b32 exec_lo, exec_lo, s9
	s_cbranch_execnz .LBB54_10
; %bb.11:
	s_set_inst_prefetch_distance 0x2
	s_or_b32 exec_lo, exec_lo, s9
.LBB54_12:
	s_delay_alu instid0(SALU_CYCLE_1)
	s_or_b32 exec_lo, exec_lo, s7
	v_lshlrev_b32_e32 v1, 3, v0
	s_mov_b32 s0, exec_lo
	ds_store_b64 v1, v[3:4]
	s_waitcnt lgkmcnt(0)
	s_barrier
	buffer_gl0_inv
	v_cmpx_gt_u32_e32 0x80, v0
	s_cbranch_execz .LBB54_14
; %bb.13:
	ds_load_2addr_stride64_b64 v[2:5], v1 offset1:2
	s_waitcnt lgkmcnt(0)
	v_dual_add_f32 v2, v4, v2 :: v_dual_add_f32 v3, v5, v3
	ds_store_b64 v1, v[2:3]
.LBB54_14:
	s_or_b32 exec_lo, exec_lo, s0
	s_delay_alu instid0(SALU_CYCLE_1)
	s_mov_b32 s0, exec_lo
	s_waitcnt lgkmcnt(0)
	s_barrier
	buffer_gl0_inv
	v_cmpx_gt_u32_e32 64, v0
	s_cbranch_execz .LBB54_16
; %bb.15:
	ds_load_2addr_stride64_b64 v[2:5], v1 offset1:1
	s_waitcnt lgkmcnt(0)
	v_dual_add_f32 v2, v4, v2 :: v_dual_add_f32 v3, v5, v3
	ds_store_b64 v1, v[2:3]
.LBB54_16:
	s_or_b32 exec_lo, exec_lo, s0
	s_delay_alu instid0(SALU_CYCLE_1)
	s_mov_b32 s0, exec_lo
	s_waitcnt lgkmcnt(0)
	s_barrier
	buffer_gl0_inv
	v_cmpx_gt_u32_e32 32, v0
	s_cbranch_execz .LBB54_18
; %bb.17:
	ds_load_2addr_b64 v[2:5], v1 offset1:32
	s_waitcnt lgkmcnt(0)
	v_dual_add_f32 v2, v4, v2 :: v_dual_add_f32 v3, v5, v3
	ds_store_b64 v1, v[2:3]
.LBB54_18:
	s_or_b32 exec_lo, exec_lo, s0
	s_delay_alu instid0(SALU_CYCLE_1)
	s_mov_b32 s0, exec_lo
	s_waitcnt lgkmcnt(0)
	s_barrier
	buffer_gl0_inv
	v_cmpx_gt_u32_e32 16, v0
	s_cbranch_execz .LBB54_20
; %bb.19:
	ds_load_2addr_b64 v[2:5], v1 offset1:16
	s_waitcnt lgkmcnt(0)
	v_dual_add_f32 v2, v4, v2 :: v_dual_add_f32 v3, v5, v3
	ds_store_b64 v1, v[2:3]
.LBB54_20:
	s_or_b32 exec_lo, exec_lo, s0
	s_delay_alu instid0(SALU_CYCLE_1)
	s_mov_b32 s0, exec_lo
	s_waitcnt lgkmcnt(0)
	s_barrier
	buffer_gl0_inv
	v_cmpx_gt_u32_e32 8, v0
	s_cbranch_execz .LBB54_22
; %bb.21:
	ds_load_2addr_b64 v[2:5], v1 offset1:8
	s_waitcnt lgkmcnt(0)
	v_dual_add_f32 v2, v4, v2 :: v_dual_add_f32 v3, v5, v3
	ds_store_b64 v1, v[2:3]
.LBB54_22:
	s_or_b32 exec_lo, exec_lo, s0
	s_delay_alu instid0(SALU_CYCLE_1)
	s_mov_b32 s0, exec_lo
	s_waitcnt lgkmcnt(0)
	s_barrier
	buffer_gl0_inv
	v_cmpx_gt_u32_e32 4, v0
	s_cbranch_execz .LBB54_24
; %bb.23:
	ds_load_2addr_b64 v[2:5], v1 offset1:4
	s_waitcnt lgkmcnt(0)
	v_dual_add_f32 v2, v4, v2 :: v_dual_add_f32 v3, v5, v3
	ds_store_b64 v1, v[2:3]
.LBB54_24:
	s_or_b32 exec_lo, exec_lo, s0
	s_delay_alu instid0(SALU_CYCLE_1)
	s_mov_b32 s0, exec_lo
	s_waitcnt lgkmcnt(0)
	s_barrier
	buffer_gl0_inv
	v_cmpx_gt_u32_e32 2, v0
	s_cbranch_execz .LBB54_26
; %bb.25:
	ds_load_2addr_b64 v[2:5], v1 offset1:2
	s_waitcnt lgkmcnt(0)
	v_dual_add_f32 v2, v4, v2 :: v_dual_add_f32 v3, v5, v3
	ds_store_b64 v1, v[2:3]
.LBB54_26:
	s_or_b32 exec_lo, exec_lo, s0
	v_cmp_eq_u32_e32 vcc_lo, 0, v0
	s_waitcnt lgkmcnt(0)
	s_barrier
	buffer_gl0_inv
	s_and_saveexec_b32 s0, vcc_lo
	s_cbranch_execz .LBB54_28
; %bb.27:
	v_mov_b32_e32 v4, 0
	ds_load_2addr_b64 v[0:3], v4 offset1:1
	s_waitcnt lgkmcnt(0)
	v_dual_add_f32 v1, v3, v1 :: v_dual_add_f32 v0, v2, v0
	ds_store_b64 v4, v[0:1]
.LBB54_28:
	s_or_b32 exec_lo, exec_lo, s0
	s_waitcnt lgkmcnt(0)
	s_barrier
	buffer_gl0_inv
	s_and_b32 exec_lo, exec_lo, vcc_lo
	s_cbranch_execz .LBB54_32
; %bb.29:
	v_mov_b32_e32 v2, 0
	v_cmp_neq_f32_e32 vcc_lo, 0, v9
	v_cmp_neq_f32_e64 s0, 0, v10
	ds_load_b64 v[0:1], v2
	s_or_b32 s1, vcc_lo, s0
	s_delay_alu instid0(SALU_CYCLE_1)
	s_and_saveexec_b32 s0, s1
	s_cbranch_execz .LBB54_31
; %bb.30:
	s_add_u32 s6, s4, s2
	s_addc_u32 s7, s5, s3
	s_load_b64 s[6:7], s[6:7], 0x0
	s_waitcnt lgkmcnt(0)
	v_fma_f32 v0, s6, v9, v0
	v_fmac_f32_e32 v1, s6, v10
	s_delay_alu instid0(VALU_DEP_2) | instskip(NEXT) | instid1(VALU_DEP_2)
	v_fma_f32 v0, -v10, s7, v0
	v_fmac_f32_e32 v1, s7, v9
.LBB54_31:
	s_or_b32 exec_lo, exec_lo, s0
	s_add_u32 s0, s4, s2
	s_addc_u32 s1, s5, s3
	s_waitcnt lgkmcnt(0)
	global_store_b64 v2, v[0:1], s[0:1]
.LBB54_32:
	s_nop 0
	s_sendmsg sendmsg(MSG_DEALLOC_VGPRS)
	s_endpgm
.LBB54_33:
	v_dual_mov_b32 v1, s4 :: v_dual_mov_b32 v2, s5
	flat_load_b32 v11, v[1:2]
	v_cndmask_b32_e64 v1, 0, 1, s7
	v_mov_b32_e32 v12, s5
	s_and_not1_b32 vcc_lo, exec_lo, s7
	s_cbranch_vccnz .LBB54_2
.LBB54_34:
	v_dual_mov_b32 v2, s4 :: v_dual_mov_b32 v3, s5
	flat_load_b32 v12, v[2:3] offset:4
	v_cmp_ne_u32_e32 vcc_lo, 1, v1
	v_mov_b32_e32 v9, s2
	s_cbranch_vccnz .LBB54_3
.LBB54_35:
	v_dual_mov_b32 v2, s2 :: v_dual_mov_b32 v3, s3
	flat_load_b32 v9, v[2:3]
	v_cmp_ne_u32_e32 vcc_lo, 1, v1
	v_mov_b32_e32 v10, s3
	s_cbranch_vccz .LBB54_4
	s_branch .LBB54_5
	.section	.rodata,"a",@progbits
	.p2align	6, 0x0
	.amdhsa_kernel _ZN9rocsparseL29csrmvn_lrb_medium_rows_kernelILj256Eli21rocsparse_complex_numIfES2_S2_S2_EEvbT0_PT1_S5_jNS_24const_host_device_scalarIT5_EEPKS3_PKS4_PKT2_PKT3_S8_PT4_21rocsparse_index_base_b
		.amdhsa_group_segment_fixed_size 2048
		.amdhsa_private_segment_fixed_size 0
		.amdhsa_kernarg_size 104
		.amdhsa_user_sgpr_count 15
		.amdhsa_user_sgpr_dispatch_ptr 0
		.amdhsa_user_sgpr_queue_ptr 0
		.amdhsa_user_sgpr_kernarg_segment_ptr 1
		.amdhsa_user_sgpr_dispatch_id 0
		.amdhsa_user_sgpr_private_segment_size 0
		.amdhsa_wavefront_size32 1
		.amdhsa_uses_dynamic_stack 0
		.amdhsa_enable_private_segment 0
		.amdhsa_system_sgpr_workgroup_id_x 1
		.amdhsa_system_sgpr_workgroup_id_y 0
		.amdhsa_system_sgpr_workgroup_id_z 0
		.amdhsa_system_sgpr_workgroup_info 0
		.amdhsa_system_vgpr_workitem_id 0
		.amdhsa_next_free_vgpr 18
		.amdhsa_next_free_sgpr 20
		.amdhsa_reserve_vcc 1
		.amdhsa_float_round_mode_32 0
		.amdhsa_float_round_mode_16_64 0
		.amdhsa_float_denorm_mode_32 3
		.amdhsa_float_denorm_mode_16_64 3
		.amdhsa_dx10_clamp 1
		.amdhsa_ieee_mode 1
		.amdhsa_fp16_overflow 0
		.amdhsa_workgroup_processor_mode 1
		.amdhsa_memory_ordered 1
		.amdhsa_forward_progress 0
		.amdhsa_shared_vgpr_count 0
		.amdhsa_exception_fp_ieee_invalid_op 0
		.amdhsa_exception_fp_denorm_src 0
		.amdhsa_exception_fp_ieee_div_zero 0
		.amdhsa_exception_fp_ieee_overflow 0
		.amdhsa_exception_fp_ieee_underflow 0
		.amdhsa_exception_fp_ieee_inexact 0
		.amdhsa_exception_int_div_zero 0
	.end_amdhsa_kernel
	.section	.text._ZN9rocsparseL29csrmvn_lrb_medium_rows_kernelILj256Eli21rocsparse_complex_numIfES2_S2_S2_EEvbT0_PT1_S5_jNS_24const_host_device_scalarIT5_EEPKS3_PKS4_PKT2_PKT3_S8_PT4_21rocsparse_index_base_b,"axG",@progbits,_ZN9rocsparseL29csrmvn_lrb_medium_rows_kernelILj256Eli21rocsparse_complex_numIfES2_S2_S2_EEvbT0_PT1_S5_jNS_24const_host_device_scalarIT5_EEPKS3_PKS4_PKT2_PKT3_S8_PT4_21rocsparse_index_base_b,comdat
.Lfunc_end54:
	.size	_ZN9rocsparseL29csrmvn_lrb_medium_rows_kernelILj256Eli21rocsparse_complex_numIfES2_S2_S2_EEvbT0_PT1_S5_jNS_24const_host_device_scalarIT5_EEPKS3_PKS4_PKT2_PKT3_S8_PT4_21rocsparse_index_base_b, .Lfunc_end54-_ZN9rocsparseL29csrmvn_lrb_medium_rows_kernelILj256Eli21rocsparse_complex_numIfES2_S2_S2_EEvbT0_PT1_S5_jNS_24const_host_device_scalarIT5_EEPKS3_PKS4_PKT2_PKT3_S8_PT4_21rocsparse_index_base_b
                                        ; -- End function
	.section	.AMDGPU.csdata,"",@progbits
; Kernel info:
; codeLenInByte = 1500
; NumSgprs: 22
; NumVgprs: 18
; ScratchSize: 0
; MemoryBound: 0
; FloatMode: 240
; IeeeMode: 1
; LDSByteSize: 2048 bytes/workgroup (compile time only)
; SGPRBlocks: 2
; VGPRBlocks: 2
; NumSGPRsForWavesPerEU: 22
; NumVGPRsForWavesPerEU: 18
; Occupancy: 16
; WaveLimiterHint : 1
; COMPUTE_PGM_RSRC2:SCRATCH_EN: 0
; COMPUTE_PGM_RSRC2:USER_SGPR: 15
; COMPUTE_PGM_RSRC2:TRAP_HANDLER: 0
; COMPUTE_PGM_RSRC2:TGID_X_EN: 1
; COMPUTE_PGM_RSRC2:TGID_Y_EN: 0
; COMPUTE_PGM_RSRC2:TGID_Z_EN: 0
; COMPUTE_PGM_RSRC2:TIDIG_COMP_CNT: 0
	.section	.text._ZN9rocsparseL27csrmvn_lrb_long_rows_kernelIli21rocsparse_complex_numIfES2_S2_S2_EEvbT_PjPT0_S6_jNS_24const_host_device_scalarIT4_EEPKS3_PKS5_PKT1_PKT2_S9_PT3_21rocsparse_index_base_b,"axG",@progbits,_ZN9rocsparseL27csrmvn_lrb_long_rows_kernelIli21rocsparse_complex_numIfES2_S2_S2_EEvbT_PjPT0_S6_jNS_24const_host_device_scalarIT4_EEPKS3_PKS5_PKT1_PKT2_S9_PT3_21rocsparse_index_base_b,comdat
	.globl	_ZN9rocsparseL27csrmvn_lrb_long_rows_kernelIli21rocsparse_complex_numIfES2_S2_S2_EEvbT_PjPT0_S6_jNS_24const_host_device_scalarIT4_EEPKS3_PKS5_PKT1_PKT2_S9_PT3_21rocsparse_index_base_b ; -- Begin function _ZN9rocsparseL27csrmvn_lrb_long_rows_kernelIli21rocsparse_complex_numIfES2_S2_S2_EEvbT_PjPT0_S6_jNS_24const_host_device_scalarIT4_EEPKS3_PKS5_PKT1_PKT2_S9_PT3_21rocsparse_index_base_b
	.p2align	8
	.type	_ZN9rocsparseL27csrmvn_lrb_long_rows_kernelIli21rocsparse_complex_numIfES2_S2_S2_EEvbT_PjPT0_S6_jNS_24const_host_device_scalarIT4_EEPKS3_PKS5_PKT1_PKT2_S9_PT3_21rocsparse_index_base_b,@function
_ZN9rocsparseL27csrmvn_lrb_long_rows_kernelIli21rocsparse_complex_numIfES2_S2_S2_EEvbT_PjPT0_S6_jNS_24const_host_device_scalarIT4_EEPKS3_PKS5_PKT1_PKT2_S9_PT3_21rocsparse_index_base_b: ; @_ZN9rocsparseL27csrmvn_lrb_long_rows_kernelIli21rocsparse_complex_numIfES2_S2_S2_EEvbT_PjPT0_S6_jNS_24const_host_device_scalarIT4_EEPKS3_PKS5_PKT1_PKT2_S9_PT3_21rocsparse_index_base_b
; %bb.0:
	s_clause 0x2
	s_load_b64 s[16:17], s[0:1], 0x68
	s_load_b64 s[4:5], s[0:1], 0x30
	;; [unrolled: 1-line block ×3, first 2 shown]
	s_mov_b32 s8, s15
	s_waitcnt lgkmcnt(0)
	s_bitcmp1_b32 s17, 0
	v_mov_b32_e32 v9, s4
	s_cselect_b32 s6, -1, 0
	s_delay_alu instid0(SALU_CYCLE_1)
	s_and_b32 vcc_lo, exec_lo, s6
	s_xor_b32 s6, s6, -1
	s_cbranch_vccz .LBB55_38
; %bb.1:
	v_cndmask_b32_e64 v1, 0, 1, s6
	v_mov_b32_e32 v10, s5
	s_and_not1_b32 vcc_lo, exec_lo, s6
	s_cbranch_vccz .LBB55_39
.LBB55_2:
	s_delay_alu instid0(VALU_DEP_2)
	v_cmp_ne_u32_e32 vcc_lo, 1, v1
	v_mov_b32_e32 v4, s2
	s_cbranch_vccz .LBB55_40
.LBB55_3:
	v_cmp_ne_u32_e32 vcc_lo, 1, v1
	v_mov_b32_e32 v3, s3
	s_cbranch_vccnz .LBB55_5
.LBB55_4:
	v_dual_mov_b32 v1, s2 :: v_dual_mov_b32 v2, s3
	flat_load_b32 v3, v[1:2] offset:4
.LBB55_5:
	s_waitcnt vmcnt(0) lgkmcnt(0)
	v_cmp_eq_f32_e32 vcc_lo, 0, v9
	v_cmp_eq_f32_e64 s2, 0, v10
	s_delay_alu instid0(VALU_DEP_1)
	s_and_b32 s4, vcc_lo, s2
	s_mov_b32 s2, -1
	s_and_saveexec_b32 s3, s4
; %bb.6:
	v_cmp_neq_f32_e32 vcc_lo, 1.0, v4
	v_cmp_neq_f32_e64 s2, 0, v3
	s_delay_alu instid0(VALU_DEP_1) | instskip(NEXT) | instid1(SALU_CYCLE_1)
	s_or_b32 s2, vcc_lo, s2
	s_or_not1_b32 s2, s2, exec_lo
; %bb.7:
	s_or_b32 exec_lo, exec_lo, s3
	s_and_saveexec_b32 s3, s2
	s_cbranch_execz .LBB55_48
; %bb.8:
	s_clause 0x1
	s_load_b32 s18, s[0:1], 0x28
	s_load_b64 s[2:3], s[0:1], 0x20
	s_mov_b32 s19, 0
	v_mov_b32_e32 v2, 0
	s_waitcnt lgkmcnt(0)
	s_lshl_b64 s[4:5], s[18:19], 2
	s_delay_alu instid0(SALU_CYCLE_1) | instskip(SKIP_4) | instid1(SALU_CYCLE_1)
	s_add_u32 s2, s2, s4
	s_addc_u32 s3, s3, s5
	s_lshl_b32 s4, -1, s18
	s_load_b32 s2, s[2:3], 0x0
	s_not_b32 s4, s4
	s_mul_hi_u32 s4, s4, 0x2aaaaaab
	s_delay_alu instid0(SALU_CYCLE_1) | instskip(NEXT) | instid1(SALU_CYCLE_1)
	s_lshr_b32 s4, s4, 7
	s_add_i32 s9, s4, 1
	s_not_b32 s4, s4
	v_cvt_f32_u32_e32 v1, s9
	s_delay_alu instid0(VALU_DEP_1) | instskip(SKIP_2) | instid1(VALU_DEP_1)
	v_rcp_iflag_f32_e32 v1, v1
	s_waitcnt_depctr 0xfff
	v_mul_f32_e32 v1, 0x4f7ffffe, v1
	v_cvt_u32_f32_e32 v1, v1
	s_delay_alu instid0(VALU_DEP_1) | instskip(NEXT) | instid1(VALU_DEP_1)
	v_readfirstlane_b32 s5, v1
	s_mul_i32 s4, s4, s5
	s_delay_alu instid0(SALU_CYCLE_1) | instskip(NEXT) | instid1(SALU_CYCLE_1)
	s_mul_hi_u32 s3, s5, s4
	s_add_i32 s5, s5, s3
	s_delay_alu instid0(SALU_CYCLE_1) | instskip(SKIP_4) | instid1(SALU_CYCLE_1)
	s_mul_hi_u32 s3, s8, s5
	s_load_b128 s[4:7], s[0:1], 0x10
	s_mul_i32 s10, s3, s9
	s_add_i32 s11, s3, 1
	s_sub_i32 s10, s8, s10
	s_sub_i32 s12, s10, s9
	s_cmp_ge_u32 s10, s9
	s_cselect_b32 s3, s11, s3
	s_cselect_b32 s10, s12, s10
	s_add_i32 s11, s3, 1
	s_cmp_ge_u32 s10, s9
	s_cselect_b32 s10, s11, s3
	s_waitcnt lgkmcnt(0)
	s_add_i32 s2, s10, s2
	s_mul_i32 s14, s10, s9
	s_ashr_i32 s3, s2, 31
	s_sub_i32 s22, s8, s14
	s_lshl_b64 s[2:3], s[2:3], 2
	v_or_b32_e32 v1, s22, v0
	s_add_u32 s2, s6, s2
	s_addc_u32 s3, s7, s3
	s_load_b32 s2, s[2:3], 0x0
	s_load_b64 s[6:7], s[0:1], 0x38
	v_cmp_eq_u32_e32 vcc_lo, 0, v1
	v_mov_b32_e32 v1, 0
	s_waitcnt lgkmcnt(0)
	s_ashr_i32 s3, s2, 31
	s_delay_alu instid0(SALU_CYCLE_1) | instskip(NEXT) | instid1(SALU_CYCLE_1)
	s_lshl_b64 s[2:3], s[2:3], 3
	s_add_u32 s10, s6, s2
	s_addc_u32 s11, s7, s3
	s_ashr_i32 s9, s8, 31
	s_load_b64 s[6:7], s[0:1], 0x60
	s_lshl_b64 s[8:9], s[8:9], 2
	s_delay_alu instid0(SALU_CYCLE_1)
	s_add_u32 s12, s4, s8
	s_addc_u32 s13, s5, s9
	s_load_b128 s[8:11], s[10:11], 0x0
	s_load_b32 s17, s[12:13], 0x0
	s_and_saveexec_b32 s18, vcc_lo
	s_cbranch_execz .LBB55_12
; %bb.9:
	s_waitcnt lgkmcnt(0)
	s_add_u32 s20, s6, s2
	s_addc_u32 s21, s7, s3
	v_add_f32_e32 v4, -1.0, v4
	s_load_b64 s[20:21], s[20:21], 0x0
	s_mov_b32 s23, exec_lo
	s_waitcnt lgkmcnt(0)
	v_mbcnt_lo_u32_b32 v5, s23, 0
	s_waitcnt vmcnt(0) expcnt(0) lgkmcnt(0)
	v_mul_f32_e64 v1, s21, -v3
	v_mul_f32_e32 v2, s21, v4
	s_mov_b32 s21, exec_lo
	v_cmpx_eq_u32_e32 0, v5
	s_cbranch_execz .LBB55_11
; %bb.10:
	s_ashr_i32 s15, s14, 31
	s_delay_alu instid0(SALU_CYCLE_1) | instskip(NEXT) | instid1(SALU_CYCLE_1)
	s_lshl_b64 s[24:25], s[14:15], 2
	s_add_u32 s24, s4, s24
	s_addc_u32 s25, s5, s25
	s_bcnt1_i32_b32 s15, s23
	s_delay_alu instid0(SALU_CYCLE_1) | instskip(NEXT) | instid1(SALU_CYCLE_1)
	s_and_b32 s15, s15, 1
	v_dual_mov_b32 v5, 0 :: v_dual_mov_b32 v6, s15
	global_atomic_xor_b32 v5, v6, s[24:25]
.LBB55_11:
	s_or_b32 exec_lo, exec_lo, s21
	v_dual_fmac_f32 v1, s20, v4 :: v_dual_fmac_f32 v2, s20, v3
.LBB55_12:
	s_or_b32 exec_lo, exec_lo, s18
	s_mul_i32 s18, s22, 3
	s_delay_alu instid0(SALU_CYCLE_1)
	s_lshl_b64 s[18:19], s[18:19], 8
	s_waitcnt lgkmcnt(0)
	s_sub_u32 s8, s8, s16
	s_subb_u32 s9, s9, 0
	s_add_u32 s15, s8, s18
	s_addc_u32 s18, s9, s19
	s_sub_u32 s8, s10, s16
	s_subb_u32 s9, s11, 0
	s_add_u32 s10, s15, 0x300
	s_addc_u32 s11, s18, 0
	v_add_co_u32 v3, s15, s15, v0
	v_cmp_lt_i64_e64 s19, s[10:11], s[8:9]
	v_add_co_ci_u32_e64 v4, null, s18, 0, s15
	s_delay_alu instid0(VALU_DEP_2)
	s_and_b32 s15, s19, exec_lo
	s_cselect_b32 s9, s11, s9
	s_cselect_b32 s8, s10, s8
	s_mov_b32 s15, exec_lo
	v_cmpx_gt_i64_e64 s[8:9], v[3:4]
	s_cbranch_execz .LBB55_16
; %bb.13:
	s_clause 0x1
	s_load_b128 s[24:27], s[0:1], 0x40
	s_load_b32 s18, s[0:1], 0x0
	v_lshlrev_b64 v[5:6], 3, v[3:4]
	s_load_b64 s[10:11], s[0:1], 0x50
	v_lshlrev_b64 v[7:8], 2, v[3:4]
	s_waitcnt lgkmcnt(0)
	s_delay_alu instid0(VALU_DEP_2) | instskip(NEXT) | instid1(VALU_DEP_3)
	v_add_co_u32 v5, vcc_lo, v5, s26
	v_add_co_ci_u32_e32 v6, vcc_lo, s27, v6, vcc_lo
	s_bitcmp1_b32 s18, 0
	s_delay_alu instid0(VALU_DEP_2) | instskip(NEXT) | instid1(VALU_DEP_2)
	v_add_co_u32 v5, vcc_lo, v5, 4
	v_add_co_ci_u32_e32 v6, vcc_lo, 0, v6, vcc_lo
	v_add_co_u32 v7, vcc_lo, s24, v7
	v_add_co_ci_u32_e32 v8, vcc_lo, s25, v8, vcc_lo
	s_cselect_b32 s1, -1, 0
	s_mov_b32 s18, 0
	s_set_inst_prefetch_distance 0x1
	.p2align	6
.LBB55_14:                              ; =>This Inner Loop Header: Depth=1
	global_load_b32 v11, v[7:8], off
	global_load_b64 v[13:14], v[5:6], off offset:-4
	s_waitcnt vmcnt(1)
	v_subrev_nc_u32_e32 v11, s16, v11
	s_waitcnt vmcnt(0)
	v_cndmask_b32_e64 v14, v14, -v14, s1
	s_delay_alu instid0(VALU_DEP_2) | instskip(NEXT) | instid1(VALU_DEP_2)
	v_ashrrev_i32_e32 v12, 31, v11
	v_mul_f32_e64 v15, v14, -v10
	s_delay_alu instid0(VALU_DEP_2) | instskip(NEXT) | instid1(VALU_DEP_1)
	v_lshlrev_b64 v[11:12], 3, v[11:12]
	v_add_co_u32 v11, vcc_lo, s10, v11
	s_delay_alu instid0(VALU_DEP_2)
	v_add_co_ci_u32_e32 v12, vcc_lo, s11, v12, vcc_lo
	v_add_co_u32 v3, vcc_lo, 0x100, v3
	v_add_co_ci_u32_e32 v4, vcc_lo, 0, v4, vcc_lo
	global_load_b64 v[11:12], v[11:12], off
	v_fmac_f32_e32 v15, v9, v13
	v_mul_f32_e32 v14, v14, v9
	v_add_co_u32 v5, vcc_lo, 0x800, v5
	v_add_co_ci_u32_e32 v6, vcc_lo, 0, v6, vcc_lo
	v_cmp_le_i64_e64 s0, s[8:9], v[3:4]
	v_add_co_u32 v7, vcc_lo, 0x400, v7
	v_add_co_ci_u32_e32 v8, vcc_lo, 0, v8, vcc_lo
	s_delay_alu instid0(VALU_DEP_3) | instskip(SKIP_2) | instid1(VALU_DEP_1)
	s_or_b32 s18, s0, s18
	s_waitcnt vmcnt(0)
	v_dual_fmac_f32 v1, v15, v11 :: v_dual_fmac_f32 v14, v10, v13
	v_fmac_f32_e32 v2, v14, v11
	s_delay_alu instid0(VALU_DEP_2) | instskip(NEXT) | instid1(VALU_DEP_2)
	v_fma_f32 v1, -v14, v12, v1
	v_fmac_f32_e32 v2, v15, v12
	s_and_not1_b32 exec_lo, exec_lo, s18
	s_cbranch_execnz .LBB55_14
; %bb.15:
	s_set_inst_prefetch_distance 0x2
	s_or_b32 exec_lo, exec_lo, s18
.LBB55_16:
	s_delay_alu instid0(SALU_CYCLE_1)
	s_or_b32 exec_lo, exec_lo, s15
	v_lshlrev_b32_e32 v3, 3, v0
	s_mov_b32 s0, exec_lo
	ds_store_b64 v3, v[1:2]
	s_waitcnt lgkmcnt(0)
	s_waitcnt_vscnt null, 0x0
	s_barrier
	buffer_gl0_inv
	v_cmpx_gt_u32_e32 0x80, v0
	s_cbranch_execz .LBB55_18
; %bb.17:
	ds_load_2addr_stride64_b64 v[4:7], v3 offset1:2
	s_waitcnt lgkmcnt(0)
	v_dual_add_f32 v1, v6, v4 :: v_dual_add_f32 v2, v7, v5
	ds_store_b64 v3, v[1:2]
.LBB55_18:
	s_or_b32 exec_lo, exec_lo, s0
	s_delay_alu instid0(SALU_CYCLE_1)
	s_mov_b32 s0, exec_lo
	s_waitcnt lgkmcnt(0)
	s_barrier
	buffer_gl0_inv
	v_cmpx_gt_u32_e32 64, v0
	s_cbranch_execz .LBB55_20
; %bb.19:
	ds_load_2addr_stride64_b64 v[4:7], v3 offset1:1
	s_waitcnt lgkmcnt(0)
	v_dual_add_f32 v1, v6, v4 :: v_dual_add_f32 v2, v7, v5
	ds_store_b64 v3, v[1:2]
.LBB55_20:
	s_or_b32 exec_lo, exec_lo, s0
	s_delay_alu instid0(SALU_CYCLE_1)
	s_mov_b32 s0, exec_lo
	s_waitcnt lgkmcnt(0)
	s_barrier
	buffer_gl0_inv
	v_cmpx_gt_u32_e32 32, v0
	s_cbranch_execz .LBB55_22
; %bb.21:
	ds_load_2addr_b64 v[4:7], v3 offset1:32
	s_waitcnt lgkmcnt(0)
	v_dual_add_f32 v1, v6, v4 :: v_dual_add_f32 v2, v7, v5
	ds_store_b64 v3, v[1:2]
.LBB55_22:
	s_or_b32 exec_lo, exec_lo, s0
	s_delay_alu instid0(SALU_CYCLE_1)
	s_mov_b32 s0, exec_lo
	s_waitcnt lgkmcnt(0)
	s_barrier
	buffer_gl0_inv
	v_cmpx_gt_u32_e32 16, v0
	s_cbranch_execz .LBB55_24
; %bb.23:
	ds_load_2addr_b64 v[4:7], v3 offset1:16
	s_waitcnt lgkmcnt(0)
	v_dual_add_f32 v1, v6, v4 :: v_dual_add_f32 v2, v7, v5
	ds_store_b64 v3, v[1:2]
.LBB55_24:
	;; [unrolled: 14-line block ×5, first 2 shown]
	s_or_b32 exec_lo, exec_lo, s0
	v_cmp_eq_u32_e32 vcc_lo, 0, v0
	s_waitcnt lgkmcnt(0)
	s_barrier
	buffer_gl0_inv
	s_and_saveexec_b32 s0, vcc_lo
	s_cbranch_execz .LBB55_32
; %bb.31:
	v_mov_b32_e32 v4, 0
	ds_load_2addr_b64 v[0:3], v4 offset1:1
	s_waitcnt lgkmcnt(0)
	v_dual_add_f32 v1, v3, v1 :: v_dual_add_f32 v0, v2, v0
	ds_store_b64 v4, v[0:1]
.LBB55_32:
	s_or_b32 exec_lo, exec_lo, s0
	s_waitcnt lgkmcnt(0)
	s_barrier
	buffer_gl0_inv
	s_and_b32 exec_lo, exec_lo, vcc_lo
	s_cbranch_execz .LBB55_48
; %bb.33:
	s_cmp_eq_u32 s22, 0
	s_cbranch_scc1 .LBB55_42
; %bb.34:
	s_ashr_i32 s15, s14, 31
	v_mov_b32_e32 v0, 0
	s_lshl_b64 s[0:1], s[14:15], 2
	s_delay_alu instid0(SALU_CYCLE_1)
	s_add_u32 s0, s4, s0
	s_addc_u32 s1, s5, s1
	s_branch .LBB55_36
.LBB55_35:                              ;   in Loop: Header=BB55_36 Depth=1
	s_or_b32 exec_lo, exec_lo, s4
	s_waitcnt vmcnt(0)
	v_readfirstlane_b32 s4, v1
	s_delay_alu instid0(VALU_DEP_1)
	s_cmp_eq_u32 s4, s17
	s_cbranch_scc0 .LBB55_41
.LBB55_36:                              ; =>This Inner Loop Header: Depth=1
	v_mbcnt_lo_u32_b32 v1, exec_lo, 0
	s_delay_alu instid0(VALU_DEP_1)
	v_cmp_eq_u32_e32 vcc_lo, 0, v1
                                        ; implicit-def: $vgpr1
	s_and_saveexec_b32 s4, vcc_lo
	s_cbranch_execz .LBB55_35
; %bb.37:                               ;   in Loop: Header=BB55_36 Depth=1
	global_load_b32 v1, v0, s[0:1] glc
	s_branch .LBB55_35
.LBB55_38:
	v_dual_mov_b32 v1, s4 :: v_dual_mov_b32 v2, s5
	flat_load_b32 v9, v[1:2]
	v_cndmask_b32_e64 v1, 0, 1, s6
	v_mov_b32_e32 v10, s5
	s_and_not1_b32 vcc_lo, exec_lo, s6
	s_cbranch_vccnz .LBB55_2
.LBB55_39:
	v_dual_mov_b32 v2, s4 :: v_dual_mov_b32 v3, s5
	flat_load_b32 v10, v[2:3] offset:4
	v_cmp_ne_u32_e32 vcc_lo, 1, v1
	v_mov_b32_e32 v4, s2
	s_cbranch_vccnz .LBB55_3
.LBB55_40:
	v_dual_mov_b32 v2, s2 :: v_dual_mov_b32 v3, s3
	flat_load_b32 v4, v[2:3]
	v_cmp_ne_u32_e32 vcc_lo, 1, v1
	v_mov_b32_e32 v3, s3
	s_cbranch_vccz .LBB55_4
	s_branch .LBB55_5
.LBB55_41:
	v_mov_b32_e32 v0, 0
	global_load_b32 v1, v0, s[12:13]
	s_waitcnt vmcnt(0)
	v_xor_b32_e32 v1, 1, v1
	global_store_b32 v0, v1, s[12:13]
.LBB55_42:
	v_mov_b32_e32 v4, 0
	s_mov_b32 s4, exec_lo
	s_add_u32 s0, s6, s2
	v_mbcnt_lo_u32_b32 v2, s4, 0
	s_addc_u32 s1, s7, s3
	ds_load_b64 v[0:1], v4
	s_mov_b32 s2, exec_lo
	v_cmpx_eq_u32_e32 0, v2
	s_cbranch_execz .LBB55_45
; %bb.43:
	global_load_b32 v3, v4, s[0:1]
	s_bcnt1_i32_b32 s3, s4
	s_delay_alu instid0(SALU_CYCLE_1) | instskip(SKIP_2) | instid1(VALU_DEP_1)
	v_cvt_f32_ubyte0_e32 v2, s3
	s_mov_b32 s3, 0
	s_waitcnt lgkmcnt(0)
	v_mul_f32_e32 v0, v0, v2
.LBB55_44:                              ; =>This Inner Loop Header: Depth=1
	s_waitcnt vmcnt(0)
	s_delay_alu instid0(VALU_DEP_1)
	v_add_f32_e32 v2, v3, v0
	global_atomic_cmpswap_b32 v2, v4, v[2:3], s[0:1] glc
	s_waitcnt vmcnt(0)
	v_cmp_eq_u32_e32 vcc_lo, v2, v3
	v_mov_b32_e32 v3, v2
	s_or_b32 s3, vcc_lo, s3
	s_delay_alu instid0(SALU_CYCLE_1)
	s_and_not1_b32 exec_lo, exec_lo, s3
	s_cbranch_execnz .LBB55_44
.LBB55_45:
	s_or_b32 exec_lo, exec_lo, s2
	s_delay_alu instid0(SALU_CYCLE_1) | instskip(SKIP_3) | instid1(VALU_DEP_1)
	s_mov_b32 s3, exec_lo
	s_mov_b32 s2, 0
	s_waitcnt lgkmcnt(0)
	v_mbcnt_lo_u32_b32 v0, s3, 0
	v_cmp_eq_u32_e32 vcc_lo, 0, v0
	s_and_b32 s4, exec_lo, vcc_lo
	s_delay_alu instid0(SALU_CYCLE_1)
	s_mov_b32 exec_lo, s4
	s_cbranch_execz .LBB55_48
; %bb.46:
	s_bcnt1_i32_b32 s3, s3
	s_delay_alu instid0(SALU_CYCLE_1) | instskip(NEXT) | instid1(VALU_DEP_1)
	v_cvt_f32_ubyte0_e32 v3, s3
	v_dual_mov_b32 v0, 0 :: v_dual_mul_f32 v3, v1, v3
	global_load_b32 v2, v0, s[0:1] offset:4
.LBB55_47:                              ; =>This Inner Loop Header: Depth=1
	s_waitcnt vmcnt(0)
	v_add_f32_e32 v1, v2, v3
	global_atomic_cmpswap_b32 v1, v0, v[1:2], s[0:1] offset:4 glc
	s_waitcnt vmcnt(0)
	v_cmp_eq_u32_e32 vcc_lo, v1, v2
	v_mov_b32_e32 v2, v1
	s_or_b32 s2, vcc_lo, s2
	s_delay_alu instid0(SALU_CYCLE_1)
	s_and_not1_b32 exec_lo, exec_lo, s2
	s_cbranch_execnz .LBB55_47
.LBB55_48:
	s_nop 0
	s_sendmsg sendmsg(MSG_DEALLOC_VGPRS)
	s_endpgm
	.section	.rodata,"a",@progbits
	.p2align	6, 0x0
	.amdhsa_kernel _ZN9rocsparseL27csrmvn_lrb_long_rows_kernelIli21rocsparse_complex_numIfES2_S2_S2_EEvbT_PjPT0_S6_jNS_24const_host_device_scalarIT4_EEPKS3_PKS5_PKT1_PKT2_S9_PT3_21rocsparse_index_base_b
		.amdhsa_group_segment_fixed_size 2048
		.amdhsa_private_segment_fixed_size 0
		.amdhsa_kernarg_size 112
		.amdhsa_user_sgpr_count 15
		.amdhsa_user_sgpr_dispatch_ptr 0
		.amdhsa_user_sgpr_queue_ptr 0
		.amdhsa_user_sgpr_kernarg_segment_ptr 1
		.amdhsa_user_sgpr_dispatch_id 0
		.amdhsa_user_sgpr_private_segment_size 0
		.amdhsa_wavefront_size32 1
		.amdhsa_uses_dynamic_stack 0
		.amdhsa_enable_private_segment 0
		.amdhsa_system_sgpr_workgroup_id_x 1
		.amdhsa_system_sgpr_workgroup_id_y 0
		.amdhsa_system_sgpr_workgroup_id_z 0
		.amdhsa_system_sgpr_workgroup_info 0
		.amdhsa_system_vgpr_workitem_id 0
		.amdhsa_next_free_vgpr 16
		.amdhsa_next_free_sgpr 28
		.amdhsa_reserve_vcc 1
		.amdhsa_float_round_mode_32 0
		.amdhsa_float_round_mode_16_64 0
		.amdhsa_float_denorm_mode_32 3
		.amdhsa_float_denorm_mode_16_64 3
		.amdhsa_dx10_clamp 1
		.amdhsa_ieee_mode 1
		.amdhsa_fp16_overflow 0
		.amdhsa_workgroup_processor_mode 1
		.amdhsa_memory_ordered 1
		.amdhsa_forward_progress 0
		.amdhsa_shared_vgpr_count 0
		.amdhsa_exception_fp_ieee_invalid_op 0
		.amdhsa_exception_fp_denorm_src 0
		.amdhsa_exception_fp_ieee_div_zero 0
		.amdhsa_exception_fp_ieee_overflow 0
		.amdhsa_exception_fp_ieee_underflow 0
		.amdhsa_exception_fp_ieee_inexact 0
		.amdhsa_exception_int_div_zero 0
	.end_amdhsa_kernel
	.section	.text._ZN9rocsparseL27csrmvn_lrb_long_rows_kernelIli21rocsparse_complex_numIfES2_S2_S2_EEvbT_PjPT0_S6_jNS_24const_host_device_scalarIT4_EEPKS3_PKS5_PKT1_PKT2_S9_PT3_21rocsparse_index_base_b,"axG",@progbits,_ZN9rocsparseL27csrmvn_lrb_long_rows_kernelIli21rocsparse_complex_numIfES2_S2_S2_EEvbT_PjPT0_S6_jNS_24const_host_device_scalarIT4_EEPKS3_PKS5_PKT1_PKT2_S9_PT3_21rocsparse_index_base_b,comdat
.Lfunc_end55:
	.size	_ZN9rocsparseL27csrmvn_lrb_long_rows_kernelIli21rocsparse_complex_numIfES2_S2_S2_EEvbT_PjPT0_S6_jNS_24const_host_device_scalarIT4_EEPKS3_PKS5_PKT1_PKT2_S9_PT3_21rocsparse_index_base_b, .Lfunc_end55-_ZN9rocsparseL27csrmvn_lrb_long_rows_kernelIli21rocsparse_complex_numIfES2_S2_S2_EEvbT_PjPT0_S6_jNS_24const_host_device_scalarIT4_EEPKS3_PKS5_PKT1_PKT2_S9_PT3_21rocsparse_index_base_b
                                        ; -- End function
	.section	.AMDGPU.csdata,"",@progbits
; Kernel info:
; codeLenInByte = 2120
; NumSgprs: 30
; NumVgprs: 16
; ScratchSize: 0
; MemoryBound: 0
; FloatMode: 240
; IeeeMode: 1
; LDSByteSize: 2048 bytes/workgroup (compile time only)
; SGPRBlocks: 3
; VGPRBlocks: 1
; NumSGPRsForWavesPerEU: 30
; NumVGPRsForWavesPerEU: 16
; Occupancy: 16
; WaveLimiterHint : 1
; COMPUTE_PGM_RSRC2:SCRATCH_EN: 0
; COMPUTE_PGM_RSRC2:USER_SGPR: 15
; COMPUTE_PGM_RSRC2:TRAP_HANDLER: 0
; COMPUTE_PGM_RSRC2:TGID_X_EN: 1
; COMPUTE_PGM_RSRC2:TGID_Y_EN: 0
; COMPUTE_PGM_RSRC2:TGID_Z_EN: 0
; COMPUTE_PGM_RSRC2:TIDIG_COMP_CNT: 0
	.section	.text._ZN9rocsparseL28csrmvn_lrb_short_rows_kernelIll21rocsparse_complex_numIfES2_S2_S2_EEvbT_PT0_S5_jNS_24const_host_device_scalarIT4_EEPKS3_PKS4_PKT1_PKT2_S8_PT3_21rocsparse_index_base_b,"axG",@progbits,_ZN9rocsparseL28csrmvn_lrb_short_rows_kernelIll21rocsparse_complex_numIfES2_S2_S2_EEvbT_PT0_S5_jNS_24const_host_device_scalarIT4_EEPKS3_PKS4_PKT1_PKT2_S8_PT3_21rocsparse_index_base_b,comdat
	.globl	_ZN9rocsparseL28csrmvn_lrb_short_rows_kernelIll21rocsparse_complex_numIfES2_S2_S2_EEvbT_PT0_S5_jNS_24const_host_device_scalarIT4_EEPKS3_PKS4_PKT1_PKT2_S8_PT3_21rocsparse_index_base_b ; -- Begin function _ZN9rocsparseL28csrmvn_lrb_short_rows_kernelIll21rocsparse_complex_numIfES2_S2_S2_EEvbT_PT0_S5_jNS_24const_host_device_scalarIT4_EEPKS3_PKS4_PKT1_PKT2_S8_PT3_21rocsparse_index_base_b
	.p2align	8
	.type	_ZN9rocsparseL28csrmvn_lrb_short_rows_kernelIll21rocsparse_complex_numIfES2_S2_S2_EEvbT_PT0_S5_jNS_24const_host_device_scalarIT4_EEPKS3_PKS4_PKT1_PKT2_S8_PT3_21rocsparse_index_base_b,@function
_ZN9rocsparseL28csrmvn_lrb_short_rows_kernelIll21rocsparse_complex_numIfES2_S2_S2_EEvbT_PT0_S5_jNS_24const_host_device_scalarIT4_EEPKS3_PKS4_PKT1_PKT2_S8_PT3_21rocsparse_index_base_b: ; @_ZN9rocsparseL28csrmvn_lrb_short_rows_kernelIll21rocsparse_complex_numIfES2_S2_S2_EEvbT_PT0_S5_jNS_24const_host_device_scalarIT4_EEPKS3_PKS4_PKT1_PKT2_S8_PT3_21rocsparse_index_base_b
; %bb.0:
	s_clause 0x2
	s_load_b64 s[12:13], s[0:1], 0x60
	s_load_b64 s[4:5], s[0:1], 0x28
	;; [unrolled: 1-line block ×3, first 2 shown]
	s_waitcnt lgkmcnt(0)
	s_bitcmp1_b32 s13, 0
	v_mov_b32_e32 v10, s4
	s_cselect_b32 s6, -1, 0
	s_delay_alu instid0(SALU_CYCLE_1)
	s_and_b32 vcc_lo, exec_lo, s6
	s_xor_b32 s6, s6, -1
	s_cbranch_vccz .LBB56_16
; %bb.1:
	v_cndmask_b32_e64 v1, 0, 1, s6
	v_mov_b32_e32 v11, s5
	s_and_not1_b32 vcc_lo, exec_lo, s6
	s_cbranch_vccz .LBB56_17
.LBB56_2:
	s_delay_alu instid0(VALU_DEP_2)
	v_cmp_ne_u32_e32 vcc_lo, 1, v1
	v_mov_b32_e32 v8, s2
	s_cbranch_vccz .LBB56_18
.LBB56_3:
	v_cmp_ne_u32_e32 vcc_lo, 1, v1
	v_mov_b32_e32 v9, s3
	s_cbranch_vccnz .LBB56_5
.LBB56_4:
	v_dual_mov_b32 v1, s2 :: v_dual_mov_b32 v2, s3
	flat_load_b32 v9, v[1:2] offset:4
.LBB56_5:
	s_waitcnt vmcnt(0) lgkmcnt(0)
	v_cmp_eq_f32_e32 vcc_lo, 0, v10
	v_cmp_eq_f32_e64 s2, 0, v11
	s_delay_alu instid0(VALU_DEP_1)
	s_and_b32 s4, vcc_lo, s2
	s_mov_b32 s2, -1
	s_and_saveexec_b32 s3, s4
; %bb.6:
	v_cmp_neq_f32_e32 vcc_lo, 1.0, v8
	v_cmp_neq_f32_e64 s2, 0, v9
	s_delay_alu instid0(VALU_DEP_1) | instskip(NEXT) | instid1(SALU_CYCLE_1)
	s_or_b32 s2, vcc_lo, s2
	s_or_not1_b32 s2, s2, exec_lo
; %bb.7:
	s_or_b32 exec_lo, exec_lo, s3
	s_and_saveexec_b32 s3, s2
	s_cbranch_execz .LBB56_25
; %bb.8:
	s_clause 0x1
	s_load_b32 s2, s[0:1], 0x20
	s_load_b128 s[16:19], s[0:1], 0x10
	s_mov_b32 s3, 0
	s_delay_alu instid0(SALU_CYCLE_1) | instskip(SKIP_2) | instid1(SALU_CYCLE_1)
	s_mov_b32 s7, s3
	s_waitcnt lgkmcnt(0)
	s_lshl_b64 s[4:5], s[2:3], 3
	s_add_u32 s4, s18, s4
	s_addc_u32 s5, s19, s5
	s_add_i32 s6, s2, 1
	s_delay_alu instid0(SALU_CYCLE_1) | instskip(NEXT) | instid1(SALU_CYCLE_1)
	s_lshl_b64 s[6:7], s[6:7], 3
	s_add_u32 s6, s18, s6
	s_addc_u32 s7, s19, s7
	s_clause 0x1
	s_load_b64 s[18:19], s[4:5], 0x0
	s_load_b32 s4, s[6:7], 0x0
	s_lshl_b32 s14, s15, 8
	s_delay_alu instid0(SALU_CYCLE_1) | instskip(SKIP_2) | instid1(SALU_CYCLE_1)
	s_add_i32 s5, s14, 0x100
	s_waitcnt lgkmcnt(0)
	s_sub_i32 s4, s4, s18
	s_min_u32 s13, s4, s5
	s_cmp_gt_u32 s2, 23
	s_cbranch_scc1 .LBB56_19
; %bb.9:
	s_clause 0x1
	s_load_b32 s20, s[0:1], 0x0
	s_load_b256 s[4:11], s[0:1], 0x30
	v_mov_b32_e32 v5, 0
	s_lshl_b32 s15, 0x100, s2
	v_bfe_u32 v6, v0, 0, s2
	v_lshl_add_u32 v12, v0, 3, 0
	s_delay_alu instid0(VALU_DEP_3) | instskip(SKIP_4) | instid1(SALU_CYCLE_1)
	v_mov_b32_e32 v7, v5
	s_waitcnt lgkmcnt(0)
	s_bitcmp1_b32 s20, 0
	s_cselect_b32 s20, -1, 0
	s_lshl_b64 s[22:23], s[18:19], 3
	s_add_u32 s21, s16, s22
	s_addc_u32 s22, s17, s23
	s_branch .LBB56_11
.LBB56_10:                              ;   in Loop: Header=BB56_11 Depth=1
	s_or_b32 exec_lo, exec_lo, s23
	v_add_nc_u32_e32 v12, 0x800, v12
	s_addk_i32 s3, 0x100
	s_delay_alu instid0(SALU_CYCLE_1)
	s_cmp_ge_u32 s3, s15
	s_cbranch_scc1 .LBB56_19
.LBB56_11:                              ; =>This Inner Loop Header: Depth=1
	v_add_nc_u32_e32 v1, s3, v0
	s_mov_b32 s23, exec_lo
	s_delay_alu instid0(VALU_DEP_1) | instskip(NEXT) | instid1(VALU_DEP_1)
	v_lshrrev_b32_e32 v1, s2, v1
	v_add_nc_u32_e32 v4, s14, v1
	s_delay_alu instid0(VALU_DEP_1)
	v_cmpx_gt_u32_e64 s13, v4
	s_cbranch_execz .LBB56_10
; %bb.12:                               ;   in Loop: Header=BB56_11 Depth=1
	v_lshlrev_b64 v[1:2], 3, v[4:5]
	s_mov_b32 s24, exec_lo
	s_delay_alu instid0(VALU_DEP_1) | instskip(NEXT) | instid1(VALU_DEP_2)
	v_add_co_u32 v1, vcc_lo, s21, v1
	v_add_co_ci_u32_e32 v2, vcc_lo, s22, v2, vcc_lo
	global_load_b64 v[1:2], v[1:2], off
	s_waitcnt vmcnt(0)
	v_lshlrev_b64 v[1:2], 3, v[1:2]
	s_delay_alu instid0(VALU_DEP_1) | instskip(NEXT) | instid1(VALU_DEP_2)
	v_add_co_u32 v1, vcc_lo, s4, v1
	v_add_co_ci_u32_e32 v2, vcc_lo, s5, v2, vcc_lo
	global_load_b128 v[1:4], v[1:2], off
	s_waitcnt vmcnt(0)
	v_sub_co_u32 v3, vcc_lo, v3, v1
	v_sub_co_ci_u32_e32 v4, vcc_lo, v4, v2, vcc_lo
	s_delay_alu instid0(VALU_DEP_1)
	v_cmpx_le_i64_e64 v[3:4], v[6:7]
	s_xor_b32 s24, exec_lo, s24
	s_cbranch_execz .LBB56_14
; %bb.13:                               ;   in Loop: Header=BB56_11 Depth=1
	ds_store_2addr_b32 v12, v5, v5 offset1:1
                                        ; implicit-def: $vgpr1_vgpr2
.LBB56_14:                              ;   in Loop: Header=BB56_11 Depth=1
	s_and_not1_saveexec_b32 s24, s24
	s_cbranch_execz .LBB56_10
; %bb.15:                               ;   in Loop: Header=BB56_11 Depth=1
	v_sub_co_u32 v1, vcc_lo, v1, s12
	v_subrev_co_ci_u32_e32 v2, vcc_lo, 0, v2, vcc_lo
	s_delay_alu instid0(VALU_DEP_2) | instskip(NEXT) | instid1(VALU_DEP_2)
	v_add_co_u32 v1, vcc_lo, v1, v6
	v_add_co_ci_u32_e32 v2, vcc_lo, 0, v2, vcc_lo
	s_delay_alu instid0(VALU_DEP_1) | instskip(NEXT) | instid1(VALU_DEP_1)
	v_lshlrev_b64 v[1:2], 3, v[1:2]
	v_add_co_u32 v3, vcc_lo, s6, v1
	s_delay_alu instid0(VALU_DEP_2)
	v_add_co_ci_u32_e32 v4, vcc_lo, s7, v2, vcc_lo
	v_add_co_u32 v1, vcc_lo, s8, v1
	v_add_co_ci_u32_e32 v2, vcc_lo, s9, v2, vcc_lo
	global_load_b64 v[3:4], v[3:4], off
	global_load_b64 v[1:2], v[1:2], off
	s_waitcnt vmcnt(1)
	v_sub_co_u32 v3, vcc_lo, v3, s12
	v_subrev_co_ci_u32_e32 v4, vcc_lo, 0, v4, vcc_lo
	s_waitcnt vmcnt(0)
	v_cndmask_b32_e64 v2, v2, -v2, s20
	s_delay_alu instid0(VALU_DEP_2) | instskip(NEXT) | instid1(VALU_DEP_2)
	v_lshlrev_b64 v[3:4], 3, v[3:4]
	v_mul_f32_e32 v13, v2, v10
	v_mul_f32_e64 v2, v2, -v11
	s_delay_alu instid0(VALU_DEP_3) | instskip(NEXT) | instid1(VALU_DEP_4)
	v_add_co_u32 v3, vcc_lo, s10, v3
	v_add_co_ci_u32_e32 v4, vcc_lo, s11, v4, vcc_lo
	s_delay_alu instid0(VALU_DEP_3) | instskip(SKIP_3) | instid1(VALU_DEP_1)
	v_fmac_f32_e32 v2, v10, v1
	global_load_b64 v[3:4], v[3:4], off
	v_fmac_f32_e32 v13, v11, v1
	s_waitcnt vmcnt(0)
	v_mul_f32_e64 v1, v4, -v13
	s_delay_alu instid0(VALU_DEP_1) | instskip(NEXT) | instid1(VALU_DEP_1)
	v_dual_mul_f32 v4, v4, v2 :: v_dual_fmac_f32 v1, v2, v3
	v_fmac_f32_e32 v4, v13, v3
	ds_store_2addr_b32 v12, v1, v4 offset1:1
	s_branch .LBB56_10
.LBB56_16:
	v_dual_mov_b32 v1, s4 :: v_dual_mov_b32 v2, s5
	flat_load_b32 v10, v[1:2]
	v_cndmask_b32_e64 v1, 0, 1, s6
	v_mov_b32_e32 v11, s5
	s_and_not1_b32 vcc_lo, exec_lo, s6
	s_cbranch_vccnz .LBB56_2
.LBB56_17:
	v_dual_mov_b32 v2, s4 :: v_dual_mov_b32 v3, s5
	flat_load_b32 v11, v[2:3] offset:4
	v_cmp_ne_u32_e32 vcc_lo, 1, v1
	v_mov_b32_e32 v8, s2
	s_cbranch_vccnz .LBB56_3
.LBB56_18:
	v_dual_mov_b32 v2, s2 :: v_dual_mov_b32 v3, s3
	flat_load_b32 v8, v[2:3]
	v_cmp_ne_u32_e32 vcc_lo, 1, v1
	v_mov_b32_e32 v9, s3
	s_cbranch_vccz .LBB56_4
	s_branch .LBB56_5
.LBB56_19:
	s_sub_i32 s3, s13, s14
	s_waitcnt lgkmcnt(0)
	v_cmp_gt_u32_e32 vcc_lo, s3, v0
	s_barrier
	buffer_gl0_inv
	s_and_b32 exec_lo, exec_lo, vcc_lo
	s_cbranch_execz .LBB56_25
; %bb.20:
	s_lshl_b64 s[4:5], s[18:19], 3
	s_mov_b32 s15, 0
	s_add_u32 s3, s16, s4
	s_addc_u32 s6, s17, s5
	s_lshl_b64 s[4:5], s[14:15], 3
	v_lshlrev_b32_e32 v1, 3, v0
	s_add_u32 s4, s3, s4
	s_addc_u32 s5, s6, s5
	v_lshlrev_b32_e32 v0, s2, v0
	global_load_b64 v[2:3], v1, s[4:5]
	v_mov_b32_e32 v1, 0
	s_load_b64 s[4:5], s[0:1], 0x58
	v_lshl_add_u32 v4, v0, 3, 0
	s_mov_b32 s0, 1
	s_delay_alu instid0(VALU_DEP_2)
	v_mov_b32_e32 v0, v1
.LBB56_21:                              ; =>This Inner Loop Header: Depth=1
	ds_load_2addr_b32 v[5:6], v4 offset1:1
	v_add_nc_u32_e32 v4, 8, v4
	s_lshr_b32 s1, s0, s2
	s_add_i32 s0, s0, 1
	s_cmp_lg_u32 s1, 0
	s_waitcnt lgkmcnt(0)
	v_dual_add_f32 v1, v1, v6 :: v_dual_add_f32 v0, v0, v5
	s_cbranch_scc0 .LBB56_21
; %bb.22:
	v_cmp_neq_f32_e32 vcc_lo, 0, v8
	v_cmp_neq_f32_e64 s0, 0, v9
	s_waitcnt vmcnt(0)
	v_lshlrev_b64 v[2:3], 3, v[2:3]
	s_delay_alu instid0(VALU_DEP_2) | instskip(NEXT) | instid1(SALU_CYCLE_1)
	s_or_b32 s1, vcc_lo, s0
	s_and_saveexec_b32 s0, s1
	s_cbranch_execz .LBB56_24
; %bb.23:
	s_delay_alu instid0(VALU_DEP_1) | instskip(NEXT) | instid1(VALU_DEP_2)
	v_add_co_u32 v4, vcc_lo, s4, v2
	v_add_co_ci_u32_e32 v5, vcc_lo, s5, v3, vcc_lo
	global_load_b64 v[4:5], v[4:5], off
	s_waitcnt vmcnt(0)
	v_fmac_f32_e32 v0, v8, v4
	v_fmac_f32_e32 v1, v9, v4
	s_delay_alu instid0(VALU_DEP_2) | instskip(NEXT) | instid1(VALU_DEP_2)
	v_fma_f32 v0, -v9, v5, v0
	v_fmac_f32_e32 v1, v8, v5
.LBB56_24:
	s_or_b32 exec_lo, exec_lo, s0
	s_delay_alu instid0(VALU_DEP_1)
	v_add_co_u32 v2, vcc_lo, s4, v2
	v_add_co_ci_u32_e32 v3, vcc_lo, s5, v3, vcc_lo
	global_store_b64 v[2:3], v[0:1], off
.LBB56_25:
	s_nop 0
	s_sendmsg sendmsg(MSG_DEALLOC_VGPRS)
	s_endpgm
	.section	.rodata,"a",@progbits
	.p2align	6, 0x0
	.amdhsa_kernel _ZN9rocsparseL28csrmvn_lrb_short_rows_kernelIll21rocsparse_complex_numIfES2_S2_S2_EEvbT_PT0_S5_jNS_24const_host_device_scalarIT4_EEPKS3_PKS4_PKT1_PKT2_S8_PT3_21rocsparse_index_base_b
		.amdhsa_group_segment_fixed_size 0
		.amdhsa_private_segment_fixed_size 0
		.amdhsa_kernarg_size 104
		.amdhsa_user_sgpr_count 15
		.amdhsa_user_sgpr_dispatch_ptr 0
		.amdhsa_user_sgpr_queue_ptr 0
		.amdhsa_user_sgpr_kernarg_segment_ptr 1
		.amdhsa_user_sgpr_dispatch_id 0
		.amdhsa_user_sgpr_private_segment_size 0
		.amdhsa_wavefront_size32 1
		.amdhsa_uses_dynamic_stack 0
		.amdhsa_enable_private_segment 0
		.amdhsa_system_sgpr_workgroup_id_x 1
		.amdhsa_system_sgpr_workgroup_id_y 0
		.amdhsa_system_sgpr_workgroup_id_z 0
		.amdhsa_system_sgpr_workgroup_info 0
		.amdhsa_system_vgpr_workitem_id 0
		.amdhsa_next_free_vgpr 14
		.amdhsa_next_free_sgpr 25
		.amdhsa_reserve_vcc 1
		.amdhsa_float_round_mode_32 0
		.amdhsa_float_round_mode_16_64 0
		.amdhsa_float_denorm_mode_32 3
		.amdhsa_float_denorm_mode_16_64 3
		.amdhsa_dx10_clamp 1
		.amdhsa_ieee_mode 1
		.amdhsa_fp16_overflow 0
		.amdhsa_workgroup_processor_mode 1
		.amdhsa_memory_ordered 1
		.amdhsa_forward_progress 0
		.amdhsa_shared_vgpr_count 0
		.amdhsa_exception_fp_ieee_invalid_op 0
		.amdhsa_exception_fp_denorm_src 0
		.amdhsa_exception_fp_ieee_div_zero 0
		.amdhsa_exception_fp_ieee_overflow 0
		.amdhsa_exception_fp_ieee_underflow 0
		.amdhsa_exception_fp_ieee_inexact 0
		.amdhsa_exception_int_div_zero 0
	.end_amdhsa_kernel
	.section	.text._ZN9rocsparseL28csrmvn_lrb_short_rows_kernelIll21rocsparse_complex_numIfES2_S2_S2_EEvbT_PT0_S5_jNS_24const_host_device_scalarIT4_EEPKS3_PKS4_PKT1_PKT2_S8_PT3_21rocsparse_index_base_b,"axG",@progbits,_ZN9rocsparseL28csrmvn_lrb_short_rows_kernelIll21rocsparse_complex_numIfES2_S2_S2_EEvbT_PT0_S5_jNS_24const_host_device_scalarIT4_EEPKS3_PKS4_PKT1_PKT2_S8_PT3_21rocsparse_index_base_b,comdat
.Lfunc_end56:
	.size	_ZN9rocsparseL28csrmvn_lrb_short_rows_kernelIll21rocsparse_complex_numIfES2_S2_S2_EEvbT_PT0_S5_jNS_24const_host_device_scalarIT4_EEPKS3_PKS4_PKT1_PKT2_S8_PT3_21rocsparse_index_base_b, .Lfunc_end56-_ZN9rocsparseL28csrmvn_lrb_short_rows_kernelIll21rocsparse_complex_numIfES2_S2_S2_EEvbT_PT0_S5_jNS_24const_host_device_scalarIT4_EEPKS3_PKS4_PKT1_PKT2_S8_PT3_21rocsparse_index_base_b
                                        ; -- End function
	.section	.AMDGPU.csdata,"",@progbits
; Kernel info:
; codeLenInByte = 1176
; NumSgprs: 27
; NumVgprs: 14
; ScratchSize: 0
; MemoryBound: 0
; FloatMode: 240
; IeeeMode: 1
; LDSByteSize: 0 bytes/workgroup (compile time only)
; SGPRBlocks: 3
; VGPRBlocks: 1
; NumSGPRsForWavesPerEU: 27
; NumVGPRsForWavesPerEU: 14
; Occupancy: 16
; WaveLimiterHint : 1
; COMPUTE_PGM_RSRC2:SCRATCH_EN: 0
; COMPUTE_PGM_RSRC2:USER_SGPR: 15
; COMPUTE_PGM_RSRC2:TRAP_HANDLER: 0
; COMPUTE_PGM_RSRC2:TGID_X_EN: 1
; COMPUTE_PGM_RSRC2:TGID_Y_EN: 0
; COMPUTE_PGM_RSRC2:TGID_Z_EN: 0
; COMPUTE_PGM_RSRC2:TIDIG_COMP_CNT: 0
	.section	.text._ZN9rocsparseL30csrmvn_lrb_short_rows_2_kernelIll21rocsparse_complex_numIfES2_S2_S2_EEvbT_PT0_S5_jNS_24const_host_device_scalarIT4_EEPKS3_PKS4_PKT1_PKT2_S8_PT3_21rocsparse_index_base_b,"axG",@progbits,_ZN9rocsparseL30csrmvn_lrb_short_rows_2_kernelIll21rocsparse_complex_numIfES2_S2_S2_EEvbT_PT0_S5_jNS_24const_host_device_scalarIT4_EEPKS3_PKS4_PKT1_PKT2_S8_PT3_21rocsparse_index_base_b,comdat
	.globl	_ZN9rocsparseL30csrmvn_lrb_short_rows_2_kernelIll21rocsparse_complex_numIfES2_S2_S2_EEvbT_PT0_S5_jNS_24const_host_device_scalarIT4_EEPKS3_PKS4_PKT1_PKT2_S8_PT3_21rocsparse_index_base_b ; -- Begin function _ZN9rocsparseL30csrmvn_lrb_short_rows_2_kernelIll21rocsparse_complex_numIfES2_S2_S2_EEvbT_PT0_S5_jNS_24const_host_device_scalarIT4_EEPKS3_PKS4_PKT1_PKT2_S8_PT3_21rocsparse_index_base_b
	.p2align	8
	.type	_ZN9rocsparseL30csrmvn_lrb_short_rows_2_kernelIll21rocsparse_complex_numIfES2_S2_S2_EEvbT_PT0_S5_jNS_24const_host_device_scalarIT4_EEPKS3_PKS4_PKT1_PKT2_S8_PT3_21rocsparse_index_base_b,@function
_ZN9rocsparseL30csrmvn_lrb_short_rows_2_kernelIll21rocsparse_complex_numIfES2_S2_S2_EEvbT_PT0_S5_jNS_24const_host_device_scalarIT4_EEPKS3_PKS4_PKT1_PKT2_S8_PT3_21rocsparse_index_base_b: ; @_ZN9rocsparseL30csrmvn_lrb_short_rows_2_kernelIll21rocsparse_complex_numIfES2_S2_S2_EEvbT_PT0_S5_jNS_24const_host_device_scalarIT4_EEPKS3_PKS4_PKT1_PKT2_S8_PT3_21rocsparse_index_base_b
; %bb.0:
	s_clause 0x2
	s_load_b64 s[20:21], s[0:1], 0x60
	s_load_b64 s[4:5], s[0:1], 0x28
	;; [unrolled: 1-line block ×3, first 2 shown]
	s_waitcnt lgkmcnt(0)
	s_bitcmp1_b32 s21, 0
	v_mov_b32_e32 v11, s4
	s_cselect_b32 s6, -1, 0
	s_delay_alu instid0(SALU_CYCLE_1)
	s_and_b32 vcc_lo, exec_lo, s6
	s_xor_b32 s6, s6, -1
	s_cbranch_vccz .LBB57_38
; %bb.1:
	v_cndmask_b32_e64 v1, 0, 1, s6
	v_mov_b32_e32 v12, s5
	s_and_not1_b32 vcc_lo, exec_lo, s6
	s_cbranch_vccz .LBB57_39
.LBB57_2:
	s_delay_alu instid0(VALU_DEP_2)
	v_cmp_ne_u32_e32 vcc_lo, 1, v1
	v_mov_b32_e32 v9, s2
	s_cbranch_vccz .LBB57_40
.LBB57_3:
	v_cmp_ne_u32_e32 vcc_lo, 1, v1
	v_mov_b32_e32 v10, s3
	s_cbranch_vccnz .LBB57_5
.LBB57_4:
	v_dual_mov_b32 v1, s2 :: v_dual_mov_b32 v2, s3
	flat_load_b32 v10, v[1:2] offset:4
.LBB57_5:
	s_waitcnt vmcnt(0) lgkmcnt(0)
	v_cmp_eq_f32_e32 vcc_lo, 0, v11
	v_cmp_eq_f32_e64 s2, 0, v12
	s_delay_alu instid0(VALU_DEP_1)
	s_and_b32 s4, vcc_lo, s2
	s_mov_b32 s2, -1
	s_and_saveexec_b32 s3, s4
; %bb.6:
	v_cmp_neq_f32_e32 vcc_lo, 1.0, v9
	v_cmp_neq_f32_e64 s2, 0, v10
	s_delay_alu instid0(VALU_DEP_1) | instskip(NEXT) | instid1(SALU_CYCLE_1)
	s_or_b32 s2, vcc_lo, s2
	s_or_not1_b32 s2, s2, exec_lo
; %bb.7:
	s_or_b32 exec_lo, exec_lo, s3
	s_and_saveexec_b32 s3, s2
	s_cbranch_execz .LBB57_37
; %bb.8:
	s_clause 0x2
	s_load_b32 s2, s[0:1], 0x20
	s_load_b32 s3, s[0:1], 0x0
	s_load_b128 s[16:19], s[0:1], 0x10
	v_mov_b32_e32 v6, 0
	s_waitcnt lgkmcnt(0)
	v_lshrrev_b32_e32 v1, s2, v0
	s_bitcmp1_b32 s3, 0
	s_mov_b32 s3, 0
	s_cselect_b32 s13, -1, 0
	s_lshl_b64 s[4:5], s[2:3], 3
	s_mov_b32 s7, s3
	s_add_u32 s4, s18, s4
	s_addc_u32 s5, s19, s5
	s_add_i32 s6, s2, 1
	v_bfe_u32 v5, v0, 0, s2
	s_lshl_b64 s[6:7], s[6:7], 3
	s_delay_alu instid0(SALU_CYCLE_1)
	s_add_u32 s6, s18, s6
	s_addc_u32 s7, s19, s7
	s_clause 0x1
	s_load_b64 s[18:19], s[4:5], 0x0
	s_load_b32 s14, s[6:7], 0x0
	s_load_b256 s[4:11], s[0:1], 0x30
	s_lshr_b32 s3, 0x400, s2
	s_delay_alu instid0(SALU_CYCLE_1) | instskip(NEXT) | instid1(SALU_CYCLE_1)
	s_mul_i32 s12, s3, s15
	s_add_i32 s21, s12, s3
	v_add_nc_u32_e32 v1, s12, v1
	s_waitcnt lgkmcnt(0)
	s_sub_i32 s22, s14, s18
	s_lshl_b64 s[14:15], s[18:19], 3
	s_min_u32 s18, s22, s21
	s_add_u32 s14, s16, s14
	s_addc_u32 s15, s17, s15
	s_mov_b32 s16, exec_lo
	v_cmpx_gt_u32_e64 s18, v1
	s_cbranch_execz .LBB57_13
; %bb.9:
	v_mov_b32_e32 v2, v6
	s_mov_b32 s17, exec_lo
	s_delay_alu instid0(VALU_DEP_1) | instskip(NEXT) | instid1(VALU_DEP_1)
	v_lshlrev_b64 v[1:2], 3, v[1:2]
	v_add_co_u32 v1, vcc_lo, s14, v1
	s_delay_alu instid0(VALU_DEP_2) | instskip(SKIP_3) | instid1(VALU_DEP_1)
	v_add_co_ci_u32_e32 v2, vcc_lo, s15, v2, vcc_lo
	global_load_b64 v[1:2], v[1:2], off
	s_waitcnt vmcnt(0)
	v_lshlrev_b64 v[1:2], 3, v[1:2]
	v_add_co_u32 v1, vcc_lo, s4, v1
	s_delay_alu instid0(VALU_DEP_2) | instskip(SKIP_4) | instid1(VALU_DEP_1)
	v_add_co_ci_u32_e32 v2, vcc_lo, s5, v2, vcc_lo
	global_load_b128 v[1:4], v[1:2], off
	s_waitcnt vmcnt(0)
	v_sub_co_u32 v3, vcc_lo, v3, v1
	v_sub_co_ci_u32_e32 v4, vcc_lo, v4, v2, vcc_lo
	v_cmpx_le_i64_e64 v[3:4], v[5:6]
	s_xor_b32 s17, exec_lo, s17
	s_cbranch_execz .LBB57_11
; %bb.10:
	v_mov_b32_e32 v1, 0
	s_delay_alu instid0(VALU_DEP_1)
	v_dual_mov_b32 v2, v1 :: v_dual_lshlrev_b32 v3, 3, v0
	ds_store_b64 v3, v[1:2]
                                        ; implicit-def: $vgpr1_vgpr2
.LBB57_11:
	s_and_not1_saveexec_b32 s17, s17
	s_cbranch_execz .LBB57_13
; %bb.12:
	v_sub_co_u32 v1, vcc_lo, v1, s20
	v_subrev_co_ci_u32_e32 v2, vcc_lo, 0, v2, vcc_lo
	s_delay_alu instid0(VALU_DEP_2) | instskip(NEXT) | instid1(VALU_DEP_2)
	v_add_co_u32 v1, vcc_lo, v1, v5
	v_add_co_ci_u32_e32 v2, vcc_lo, 0, v2, vcc_lo
	s_delay_alu instid0(VALU_DEP_1) | instskip(NEXT) | instid1(VALU_DEP_1)
	v_lshlrev_b64 v[1:2], 3, v[1:2]
	v_add_co_u32 v3, vcc_lo, s6, v1
	s_delay_alu instid0(VALU_DEP_2)
	v_add_co_ci_u32_e32 v4, vcc_lo, s7, v2, vcc_lo
	v_add_co_u32 v1, vcc_lo, s8, v1
	v_add_co_ci_u32_e32 v2, vcc_lo, s9, v2, vcc_lo
	global_load_b64 v[3:4], v[3:4], off
	global_load_b64 v[1:2], v[1:2], off
	s_waitcnt vmcnt(1)
	v_sub_co_u32 v3, vcc_lo, v3, s20
	v_subrev_co_ci_u32_e32 v4, vcc_lo, 0, v4, vcc_lo
	s_waitcnt vmcnt(0)
	v_cndmask_b32_e64 v2, v2, -v2, s13
	s_delay_alu instid0(VALU_DEP_2) | instskip(NEXT) | instid1(VALU_DEP_2)
	v_lshlrev_b64 v[3:4], 3, v[3:4]
	v_mul_f32_e64 v8, v2, -v12
	v_mul_f32_e32 v7, v2, v11
	s_delay_alu instid0(VALU_DEP_3) | instskip(NEXT) | instid1(VALU_DEP_3)
	v_add_co_u32 v3, vcc_lo, s10, v3
	v_fmac_f32_e32 v8, v11, v1
	v_add_co_ci_u32_e32 v4, vcc_lo, s11, v4, vcc_lo
	s_delay_alu instid0(VALU_DEP_4) | instskip(SKIP_4) | instid1(VALU_DEP_2)
	v_fmac_f32_e32 v7, v12, v1
	global_load_b64 v[3:4], v[3:4], off
	s_waitcnt vmcnt(0)
	v_mul_f32_e64 v1, v4, -v7
	v_mul_f32_e32 v2, v4, v8
	v_fmac_f32_e32 v1, v8, v3
	s_delay_alu instid0(VALU_DEP_2)
	v_dual_fmac_f32 v2, v7, v3 :: v_dual_lshlrev_b32 v3, 3, v0
	ds_store_b64 v3, v[1:2]
.LBB57_13:
	s_or_b32 exec_lo, exec_lo, s16
	v_or_b32_e32 v1, 0x100, v0
	s_mov_b32 s16, exec_lo
	s_delay_alu instid0(VALU_DEP_1) | instskip(NEXT) | instid1(VALU_DEP_1)
	v_lshrrev_b32_e32 v1, s2, v1
	v_add_nc_u32_e32 v7, s12, v1
	s_delay_alu instid0(VALU_DEP_1)
	v_cmpx_gt_u32_e64 s18, v7
	s_cbranch_execz .LBB57_18
; %bb.14:
	v_mov_b32_e32 v8, 0
	s_mov_b32 s17, exec_lo
	s_delay_alu instid0(VALU_DEP_1) | instskip(NEXT) | instid1(VALU_DEP_1)
	v_lshlrev_b64 v[1:2], 3, v[7:8]
	v_add_co_u32 v1, vcc_lo, s14, v1
	s_delay_alu instid0(VALU_DEP_2) | instskip(SKIP_3) | instid1(VALU_DEP_1)
	v_add_co_ci_u32_e32 v2, vcc_lo, s15, v2, vcc_lo
	global_load_b64 v[1:2], v[1:2], off
	s_waitcnt vmcnt(0)
	v_lshlrev_b64 v[1:2], 3, v[1:2]
	v_add_co_u32 v1, vcc_lo, s4, v1
	s_delay_alu instid0(VALU_DEP_2) | instskip(SKIP_4) | instid1(VALU_DEP_1)
	v_add_co_ci_u32_e32 v2, vcc_lo, s5, v2, vcc_lo
	global_load_b128 v[1:4], v[1:2], off
	s_waitcnt vmcnt(0)
	v_sub_co_u32 v3, vcc_lo, v3, v1
	v_sub_co_ci_u32_e32 v4, vcc_lo, v4, v2, vcc_lo
	v_cmpx_le_i64_e64 v[3:4], v[5:6]
	s_xor_b32 s17, exec_lo, s17
	s_cbranch_execz .LBB57_16
; %bb.15:
	v_lshlrev_b32_e32 v1, 3, v0
	v_mov_b32_e32 v7, v8
	ds_store_b64 v1, v[7:8] offset:2048
                                        ; implicit-def: $vgpr1_vgpr2
.LBB57_16:
	s_and_not1_saveexec_b32 s17, s17
	s_cbranch_execz .LBB57_18
; %bb.17:
	v_sub_co_u32 v1, vcc_lo, v1, s20
	v_subrev_co_ci_u32_e32 v2, vcc_lo, 0, v2, vcc_lo
	s_delay_alu instid0(VALU_DEP_2) | instskip(NEXT) | instid1(VALU_DEP_2)
	v_add_co_u32 v1, vcc_lo, v1, v5
	v_add_co_ci_u32_e32 v2, vcc_lo, 0, v2, vcc_lo
	s_delay_alu instid0(VALU_DEP_1) | instskip(NEXT) | instid1(VALU_DEP_1)
	v_lshlrev_b64 v[1:2], 3, v[1:2]
	v_add_co_u32 v3, vcc_lo, s6, v1
	s_delay_alu instid0(VALU_DEP_2)
	v_add_co_ci_u32_e32 v4, vcc_lo, s7, v2, vcc_lo
	v_add_co_u32 v1, vcc_lo, s8, v1
	v_add_co_ci_u32_e32 v2, vcc_lo, s9, v2, vcc_lo
	global_load_b64 v[3:4], v[3:4], off
	global_load_b64 v[1:2], v[1:2], off
	s_waitcnt vmcnt(1)
	v_sub_co_u32 v3, vcc_lo, v3, s20
	v_subrev_co_ci_u32_e32 v4, vcc_lo, 0, v4, vcc_lo
	s_waitcnt vmcnt(0)
	v_cndmask_b32_e64 v2, v2, -v2, s13
	s_delay_alu instid0(VALU_DEP_2) | instskip(NEXT) | instid1(VALU_DEP_2)
	v_lshlrev_b64 v[3:4], 3, v[3:4]
	v_mul_f32_e64 v8, v2, -v12
	v_mul_f32_e32 v7, v2, v11
	s_delay_alu instid0(VALU_DEP_3) | instskip(NEXT) | instid1(VALU_DEP_3)
	v_add_co_u32 v3, vcc_lo, s10, v3
	v_fmac_f32_e32 v8, v11, v1
	v_add_co_ci_u32_e32 v4, vcc_lo, s11, v4, vcc_lo
	s_delay_alu instid0(VALU_DEP_4) | instskip(SKIP_4) | instid1(VALU_DEP_2)
	v_fmac_f32_e32 v7, v12, v1
	global_load_b64 v[3:4], v[3:4], off
	s_waitcnt vmcnt(0)
	v_mul_f32_e64 v1, v4, -v7
	v_mul_f32_e32 v2, v4, v8
	v_fmac_f32_e32 v1, v8, v3
	s_delay_alu instid0(VALU_DEP_2)
	v_dual_fmac_f32 v2, v7, v3 :: v_dual_lshlrev_b32 v3, 3, v0
	ds_store_b64 v3, v[1:2] offset:2048
.LBB57_18:
	s_or_b32 exec_lo, exec_lo, s16
	v_or_b32_e32 v1, 0x200, v0
	s_mov_b32 s16, exec_lo
	s_delay_alu instid0(VALU_DEP_1) | instskip(NEXT) | instid1(VALU_DEP_1)
	v_lshrrev_b32_e32 v1, s2, v1
	v_add_nc_u32_e32 v7, s12, v1
	s_delay_alu instid0(VALU_DEP_1)
	v_cmpx_gt_u32_e64 s18, v7
	s_cbranch_execz .LBB57_23
; %bb.19:
	v_mov_b32_e32 v8, 0
	s_mov_b32 s17, exec_lo
	s_delay_alu instid0(VALU_DEP_1) | instskip(NEXT) | instid1(VALU_DEP_1)
	v_lshlrev_b64 v[1:2], 3, v[7:8]
	v_add_co_u32 v1, vcc_lo, s14, v1
	s_delay_alu instid0(VALU_DEP_2) | instskip(SKIP_3) | instid1(VALU_DEP_1)
	v_add_co_ci_u32_e32 v2, vcc_lo, s15, v2, vcc_lo
	global_load_b64 v[1:2], v[1:2], off
	s_waitcnt vmcnt(0)
	v_lshlrev_b64 v[1:2], 3, v[1:2]
	v_add_co_u32 v1, vcc_lo, s4, v1
	s_delay_alu instid0(VALU_DEP_2) | instskip(SKIP_4) | instid1(VALU_DEP_1)
	v_add_co_ci_u32_e32 v2, vcc_lo, s5, v2, vcc_lo
	global_load_b128 v[1:4], v[1:2], off
	s_waitcnt vmcnt(0)
	v_sub_co_u32 v3, vcc_lo, v3, v1
	v_sub_co_ci_u32_e32 v4, vcc_lo, v4, v2, vcc_lo
	v_cmpx_le_i64_e64 v[3:4], v[5:6]
	s_xor_b32 s17, exec_lo, s17
	s_cbranch_execz .LBB57_21
; %bb.20:
	v_lshlrev_b32_e32 v1, 3, v0
	v_mov_b32_e32 v7, v8
	ds_store_b64 v1, v[7:8] offset:4096
                                        ; implicit-def: $vgpr1_vgpr2
.LBB57_21:
	s_and_not1_saveexec_b32 s17, s17
	s_cbranch_execz .LBB57_23
; %bb.22:
	v_sub_co_u32 v1, vcc_lo, v1, s20
	v_subrev_co_ci_u32_e32 v2, vcc_lo, 0, v2, vcc_lo
	s_delay_alu instid0(VALU_DEP_2) | instskip(NEXT) | instid1(VALU_DEP_2)
	v_add_co_u32 v1, vcc_lo, v1, v5
	v_add_co_ci_u32_e32 v2, vcc_lo, 0, v2, vcc_lo
	s_delay_alu instid0(VALU_DEP_1) | instskip(NEXT) | instid1(VALU_DEP_1)
	v_lshlrev_b64 v[1:2], 3, v[1:2]
	v_add_co_u32 v3, vcc_lo, s6, v1
	s_delay_alu instid0(VALU_DEP_2)
	v_add_co_ci_u32_e32 v4, vcc_lo, s7, v2, vcc_lo
	v_add_co_u32 v1, vcc_lo, s8, v1
	v_add_co_ci_u32_e32 v2, vcc_lo, s9, v2, vcc_lo
	global_load_b64 v[3:4], v[3:4], off
	global_load_b64 v[1:2], v[1:2], off
	s_waitcnt vmcnt(1)
	v_sub_co_u32 v3, vcc_lo, v3, s20
	v_subrev_co_ci_u32_e32 v4, vcc_lo, 0, v4, vcc_lo
	s_waitcnt vmcnt(0)
	v_cndmask_b32_e64 v2, v2, -v2, s13
	s_delay_alu instid0(VALU_DEP_2) | instskip(NEXT) | instid1(VALU_DEP_2)
	v_lshlrev_b64 v[3:4], 3, v[3:4]
	v_mul_f32_e64 v8, v2, -v12
	v_mul_f32_e32 v7, v2, v11
	s_delay_alu instid0(VALU_DEP_3) | instskip(NEXT) | instid1(VALU_DEP_3)
	v_add_co_u32 v3, vcc_lo, s10, v3
	v_fmac_f32_e32 v8, v11, v1
	v_add_co_ci_u32_e32 v4, vcc_lo, s11, v4, vcc_lo
	s_delay_alu instid0(VALU_DEP_4) | instskip(SKIP_4) | instid1(VALU_DEP_2)
	v_fmac_f32_e32 v7, v12, v1
	global_load_b64 v[3:4], v[3:4], off
	s_waitcnt vmcnt(0)
	v_mul_f32_e64 v1, v4, -v7
	v_mul_f32_e32 v2, v4, v8
	v_fmac_f32_e32 v1, v8, v3
	s_delay_alu instid0(VALU_DEP_2)
	v_dual_fmac_f32 v2, v7, v3 :: v_dual_lshlrev_b32 v3, 3, v0
	ds_store_b64 v3, v[1:2] offset:4096
.LBB57_23:
	s_or_b32 exec_lo, exec_lo, s16
	v_or_b32_e32 v1, 0x300, v0
	s_mov_b32 s16, exec_lo
	s_delay_alu instid0(VALU_DEP_1) | instskip(NEXT) | instid1(VALU_DEP_1)
	v_lshrrev_b32_e32 v1, s2, v1
	v_add_nc_u32_e32 v7, s12, v1
	s_delay_alu instid0(VALU_DEP_1)
	v_cmpx_gt_u32_e64 s18, v7
	s_cbranch_execz .LBB57_28
; %bb.24:
	v_mov_b32_e32 v8, 0
	s_delay_alu instid0(VALU_DEP_1) | instskip(NEXT) | instid1(VALU_DEP_1)
	v_lshlrev_b64 v[1:2], 3, v[7:8]
	v_add_co_u32 v1, vcc_lo, s14, v1
	s_delay_alu instid0(VALU_DEP_2) | instskip(SKIP_3) | instid1(VALU_DEP_1)
	v_add_co_ci_u32_e32 v2, vcc_lo, s15, v2, vcc_lo
	global_load_b64 v[1:2], v[1:2], off
	s_waitcnt vmcnt(0)
	v_lshlrev_b64 v[1:2], 3, v[1:2]
	v_add_co_u32 v1, vcc_lo, s4, v1
	s_delay_alu instid0(VALU_DEP_2) | instskip(SKIP_4) | instid1(VALU_DEP_1)
	v_add_co_ci_u32_e32 v2, vcc_lo, s5, v2, vcc_lo
	global_load_b128 v[1:4], v[1:2], off
	s_waitcnt vmcnt(0)
	v_sub_co_u32 v3, vcc_lo, v3, v1
	v_sub_co_ci_u32_e32 v4, vcc_lo, v4, v2, vcc_lo
	v_cmp_le_i64_e32 vcc_lo, v[3:4], v[5:6]
	v_lshlrev_b32_e32 v3, 3, v0
	s_and_saveexec_b32 s4, vcc_lo
	s_delay_alu instid0(SALU_CYCLE_1)
	s_xor_b32 s4, exec_lo, s4
	s_cbranch_execz .LBB57_26
; %bb.25:
	v_mov_b32_e32 v7, v8
                                        ; implicit-def: $vgpr1_vgpr2
                                        ; implicit-def: $vgpr5_vgpr6
                                        ; implicit-def: $vgpr12
                                        ; implicit-def: $vgpr11
	ds_store_b64 v3, v[7:8] offset:6144
                                        ; implicit-def: $vgpr3
.LBB57_26:
	s_and_not1_saveexec_b32 s4, s4
	s_cbranch_execz .LBB57_28
; %bb.27:
	v_sub_co_u32 v1, vcc_lo, v1, s20
	v_subrev_co_ci_u32_e32 v2, vcc_lo, 0, v2, vcc_lo
	s_delay_alu instid0(VALU_DEP_2) | instskip(NEXT) | instid1(VALU_DEP_2)
	v_add_co_u32 v1, vcc_lo, v1, v5
	v_add_co_ci_u32_e32 v2, vcc_lo, 0, v2, vcc_lo
	s_delay_alu instid0(VALU_DEP_1) | instskip(NEXT) | instid1(VALU_DEP_1)
	v_lshlrev_b64 v[1:2], 3, v[1:2]
	v_add_co_u32 v4, vcc_lo, s6, v1
	s_delay_alu instid0(VALU_DEP_2)
	v_add_co_ci_u32_e32 v5, vcc_lo, s7, v2, vcc_lo
	v_add_co_u32 v1, vcc_lo, s8, v1
	v_add_co_ci_u32_e32 v2, vcc_lo, s9, v2, vcc_lo
	global_load_b64 v[4:5], v[4:5], off
	global_load_b64 v[1:2], v[1:2], off
	s_waitcnt vmcnt(1)
	v_sub_co_u32 v4, vcc_lo, v4, s20
	v_subrev_co_ci_u32_e32 v5, vcc_lo, 0, v5, vcc_lo
	s_waitcnt vmcnt(0)
	v_cndmask_b32_e64 v2, v2, -v2, s13
	s_delay_alu instid0(VALU_DEP_2) | instskip(NEXT) | instid1(VALU_DEP_2)
	v_lshlrev_b64 v[4:5], 3, v[4:5]
	v_mul_f32_e64 v7, v2, -v12
	v_mul_f32_e32 v6, v2, v11
	s_delay_alu instid0(VALU_DEP_3) | instskip(NEXT) | instid1(VALU_DEP_3)
	v_add_co_u32 v4, vcc_lo, s10, v4
	v_fmac_f32_e32 v7, v11, v1
	v_add_co_ci_u32_e32 v5, vcc_lo, s11, v5, vcc_lo
	global_load_b64 v[4:5], v[4:5], off
	v_fmac_f32_e32 v6, v12, v1
	s_waitcnt vmcnt(0)
	s_delay_alu instid0(VALU_DEP_1) | instskip(NEXT) | instid1(VALU_DEP_1)
	v_mul_f32_e64 v1, v5, -v6
	v_dual_mul_f32 v2, v5, v7 :: v_dual_fmac_f32 v1, v7, v4
	s_delay_alu instid0(VALU_DEP_1)
	v_fmac_f32_e32 v2, v6, v4
	ds_store_b64 v3, v[1:2] offset:6144
.LBB57_28:
	s_or_b32 exec_lo, exec_lo, s16
	s_cmp_lt_u32 s2, 11
	s_waitcnt lgkmcnt(0)
	s_barrier
	buffer_gl0_inv
	s_cbranch_scc0 .LBB57_37
; %bb.29:
	s_load_b64 s[4:5], s[0:1], 0x58
	s_mov_b32 s13, 0
	v_cmp_neq_f32_e32 vcc_lo, 0, v9
	v_cmp_neq_f32_e64 s0, 0, v10
	s_lshl_b64 s[6:7], s[12:13], 3
	v_mov_b32_e32 v2, 0
	s_sub_i32 s1, s18, s12
	s_add_u32 s6, s14, s6
	s_addc_u32 s7, s15, s7
	s_or_b32 s0, vcc_lo, s0
	s_branch .LBB57_32
.LBB57_30:                              ;   in Loop: Header=BB57_32 Depth=1
	s_or_b32 exec_lo, exec_lo, s9
	s_delay_alu instid0(VALU_DEP_1) | instskip(NEXT) | instid1(VALU_DEP_2)
	v_add_co_u32 v5, vcc_lo, s4, v5
	v_add_co_ci_u32_e32 v6, vcc_lo, s5, v6, vcc_lo
	global_store_b64 v[5:6], v[3:4], off
.LBB57_31:                              ;   in Loop: Header=BB57_32 Depth=1
	s_or_b32 exec_lo, exec_lo, s8
	s_addk_i32 s13, 0x100
	s_delay_alu instid0(SALU_CYCLE_1)
	s_cmp_lt_u32 s13, s3
	s_cbranch_scc0 .LBB57_37
.LBB57_32:                              ; =>This Loop Header: Depth=1
                                        ;     Child Loop BB57_34 Depth 2
	v_add_nc_u32_e32 v1, s13, v0
	s_mov_b32 s8, exec_lo
	s_delay_alu instid0(VALU_DEP_1)
	v_cmpx_gt_u32_e64 s1, v1
	s_cbranch_execz .LBB57_31
; %bb.33:                               ;   in Loop: Header=BB57_32 Depth=1
	v_lshlrev_b64 v[3:4], 3, v[1:2]
	v_lshlrev_b32_e32 v1, s2, v1
	s_mov_b32 s9, 1
	s_delay_alu instid0(VALU_DEP_2) | instskip(NEXT) | instid1(VALU_DEP_3)
	v_add_co_u32 v3, vcc_lo, s6, v3
	v_add_co_ci_u32_e32 v4, vcc_lo, s7, v4, vcc_lo
	global_load_b64 v[5:6], v[3:4], off
	v_dual_mov_b32 v4, 0 :: v_dual_lshlrev_b32 v1, 3, v1
	s_delay_alu instid0(VALU_DEP_1)
	v_mov_b32_e32 v3, v4
.LBB57_34:                              ;   Parent Loop BB57_32 Depth=1
                                        ; =>  This Inner Loop Header: Depth=2
	ds_load_b64 v[7:8], v1
	v_add_nc_u32_e32 v1, 8, v1
	s_lshr_b32 s10, s9, s2
	s_add_i32 s9, s9, 1
	s_cmp_lg_u32 s10, 0
	s_waitcnt lgkmcnt(0)
	v_dual_add_f32 v4, v4, v8 :: v_dual_add_f32 v3, v3, v7
	s_cbranch_scc0 .LBB57_34
; %bb.35:                               ;   in Loop: Header=BB57_32 Depth=1
	s_waitcnt vmcnt(0)
	v_lshlrev_b64 v[5:6], 3, v[5:6]
	s_and_saveexec_b32 s9, s0
	s_cbranch_execz .LBB57_30
; %bb.36:                               ;   in Loop: Header=BB57_32 Depth=1
	s_delay_alu instid0(VALU_DEP_1) | instskip(NEXT) | instid1(VALU_DEP_2)
	v_add_co_u32 v7, vcc_lo, s4, v5
	v_add_co_ci_u32_e32 v8, vcc_lo, s5, v6, vcc_lo
	global_load_b64 v[7:8], v[7:8], off
	s_waitcnt vmcnt(0)
	v_fmac_f32_e32 v3, v9, v7
	v_fmac_f32_e32 v4, v10, v7
	s_delay_alu instid0(VALU_DEP_2) | instskip(NEXT) | instid1(VALU_DEP_2)
	v_fma_f32 v3, -v10, v8, v3
	v_fmac_f32_e32 v4, v9, v8
	s_branch .LBB57_30
.LBB57_37:
	s_nop 0
	s_sendmsg sendmsg(MSG_DEALLOC_VGPRS)
	s_endpgm
.LBB57_38:
	v_dual_mov_b32 v1, s4 :: v_dual_mov_b32 v2, s5
	flat_load_b32 v11, v[1:2]
	v_cndmask_b32_e64 v1, 0, 1, s6
	v_mov_b32_e32 v12, s5
	s_and_not1_b32 vcc_lo, exec_lo, s6
	s_cbranch_vccnz .LBB57_2
.LBB57_39:
	v_dual_mov_b32 v2, s4 :: v_dual_mov_b32 v3, s5
	flat_load_b32 v12, v[2:3] offset:4
	v_cmp_ne_u32_e32 vcc_lo, 1, v1
	v_mov_b32_e32 v9, s2
	s_cbranch_vccnz .LBB57_3
.LBB57_40:
	v_dual_mov_b32 v2, s2 :: v_dual_mov_b32 v3, s3
	flat_load_b32 v9, v[2:3]
	v_cmp_ne_u32_e32 vcc_lo, 1, v1
	v_mov_b32_e32 v10, s3
	s_cbranch_vccz .LBB57_4
	s_branch .LBB57_5
	.section	.rodata,"a",@progbits
	.p2align	6, 0x0
	.amdhsa_kernel _ZN9rocsparseL30csrmvn_lrb_short_rows_2_kernelIll21rocsparse_complex_numIfES2_S2_S2_EEvbT_PT0_S5_jNS_24const_host_device_scalarIT4_EEPKS3_PKS4_PKT1_PKT2_S8_PT3_21rocsparse_index_base_b
		.amdhsa_group_segment_fixed_size 8192
		.amdhsa_private_segment_fixed_size 0
		.amdhsa_kernarg_size 104
		.amdhsa_user_sgpr_count 15
		.amdhsa_user_sgpr_dispatch_ptr 0
		.amdhsa_user_sgpr_queue_ptr 0
		.amdhsa_user_sgpr_kernarg_segment_ptr 1
		.amdhsa_user_sgpr_dispatch_id 0
		.amdhsa_user_sgpr_private_segment_size 0
		.amdhsa_wavefront_size32 1
		.amdhsa_uses_dynamic_stack 0
		.amdhsa_enable_private_segment 0
		.amdhsa_system_sgpr_workgroup_id_x 1
		.amdhsa_system_sgpr_workgroup_id_y 0
		.amdhsa_system_sgpr_workgroup_id_z 0
		.amdhsa_system_sgpr_workgroup_info 0
		.amdhsa_system_vgpr_workitem_id 0
		.amdhsa_next_free_vgpr 13
		.amdhsa_next_free_sgpr 23
		.amdhsa_reserve_vcc 1
		.amdhsa_float_round_mode_32 0
		.amdhsa_float_round_mode_16_64 0
		.amdhsa_float_denorm_mode_32 3
		.amdhsa_float_denorm_mode_16_64 3
		.amdhsa_dx10_clamp 1
		.amdhsa_ieee_mode 1
		.amdhsa_fp16_overflow 0
		.amdhsa_workgroup_processor_mode 1
		.amdhsa_memory_ordered 1
		.amdhsa_forward_progress 0
		.amdhsa_shared_vgpr_count 0
		.amdhsa_exception_fp_ieee_invalid_op 0
		.amdhsa_exception_fp_denorm_src 0
		.amdhsa_exception_fp_ieee_div_zero 0
		.amdhsa_exception_fp_ieee_overflow 0
		.amdhsa_exception_fp_ieee_underflow 0
		.amdhsa_exception_fp_ieee_inexact 0
		.amdhsa_exception_int_div_zero 0
	.end_amdhsa_kernel
	.section	.text._ZN9rocsparseL30csrmvn_lrb_short_rows_2_kernelIll21rocsparse_complex_numIfES2_S2_S2_EEvbT_PT0_S5_jNS_24const_host_device_scalarIT4_EEPKS3_PKS4_PKT1_PKT2_S8_PT3_21rocsparse_index_base_b,"axG",@progbits,_ZN9rocsparseL30csrmvn_lrb_short_rows_2_kernelIll21rocsparse_complex_numIfES2_S2_S2_EEvbT_PT0_S5_jNS_24const_host_device_scalarIT4_EEPKS3_PKS4_PKT1_PKT2_S8_PT3_21rocsparse_index_base_b,comdat
.Lfunc_end57:
	.size	_ZN9rocsparseL30csrmvn_lrb_short_rows_2_kernelIll21rocsparse_complex_numIfES2_S2_S2_EEvbT_PT0_S5_jNS_24const_host_device_scalarIT4_EEPKS3_PKS4_PKT1_PKT2_S8_PT3_21rocsparse_index_base_b, .Lfunc_end57-_ZN9rocsparseL30csrmvn_lrb_short_rows_2_kernelIll21rocsparse_complex_numIfES2_S2_S2_EEvbT_PT0_S5_jNS_24const_host_device_scalarIT4_EEPKS3_PKS4_PKT1_PKT2_S8_PT3_21rocsparse_index_base_b
                                        ; -- End function
	.section	.AMDGPU.csdata,"",@progbits
; Kernel info:
; codeLenInByte = 2340
; NumSgprs: 25
; NumVgprs: 13
; ScratchSize: 0
; MemoryBound: 0
; FloatMode: 240
; IeeeMode: 1
; LDSByteSize: 8192 bytes/workgroup (compile time only)
; SGPRBlocks: 3
; VGPRBlocks: 1
; NumSGPRsForWavesPerEU: 25
; NumVGPRsForWavesPerEU: 13
; Occupancy: 16
; WaveLimiterHint : 1
; COMPUTE_PGM_RSRC2:SCRATCH_EN: 0
; COMPUTE_PGM_RSRC2:USER_SGPR: 15
; COMPUTE_PGM_RSRC2:TRAP_HANDLER: 0
; COMPUTE_PGM_RSRC2:TGID_X_EN: 1
; COMPUTE_PGM_RSRC2:TGID_Y_EN: 0
; COMPUTE_PGM_RSRC2:TGID_Z_EN: 0
; COMPUTE_PGM_RSRC2:TIDIG_COMP_CNT: 0
	.section	.text._ZN9rocsparseL41csrmvn_lrb_medium_rows_warp_reduce_kernelILj256ELj32Ell21rocsparse_complex_numIfES2_S2_S2_EEvbT1_lPT2_S5_jNS_24const_host_device_scalarIT6_EEPKS3_PKS4_PKT3_PKT4_S8_PT5_21rocsparse_index_base_b,"axG",@progbits,_ZN9rocsparseL41csrmvn_lrb_medium_rows_warp_reduce_kernelILj256ELj32Ell21rocsparse_complex_numIfES2_S2_S2_EEvbT1_lPT2_S5_jNS_24const_host_device_scalarIT6_EEPKS3_PKS4_PKT3_PKT4_S8_PT5_21rocsparse_index_base_b,comdat
	.globl	_ZN9rocsparseL41csrmvn_lrb_medium_rows_warp_reduce_kernelILj256ELj32Ell21rocsparse_complex_numIfES2_S2_S2_EEvbT1_lPT2_S5_jNS_24const_host_device_scalarIT6_EEPKS3_PKS4_PKT3_PKT4_S8_PT5_21rocsparse_index_base_b ; -- Begin function _ZN9rocsparseL41csrmvn_lrb_medium_rows_warp_reduce_kernelILj256ELj32Ell21rocsparse_complex_numIfES2_S2_S2_EEvbT1_lPT2_S5_jNS_24const_host_device_scalarIT6_EEPKS3_PKS4_PKT3_PKT4_S8_PT5_21rocsparse_index_base_b
	.p2align	8
	.type	_ZN9rocsparseL41csrmvn_lrb_medium_rows_warp_reduce_kernelILj256ELj32Ell21rocsparse_complex_numIfES2_S2_S2_EEvbT1_lPT2_S5_jNS_24const_host_device_scalarIT6_EEPKS3_PKS4_PKT3_PKT4_S8_PT5_21rocsparse_index_base_b,@function
_ZN9rocsparseL41csrmvn_lrb_medium_rows_warp_reduce_kernelILj256ELj32Ell21rocsparse_complex_numIfES2_S2_S2_EEvbT1_lPT2_S5_jNS_24const_host_device_scalarIT6_EEPKS3_PKS4_PKT3_PKT4_S8_PT5_21rocsparse_index_base_b: ; @_ZN9rocsparseL41csrmvn_lrb_medium_rows_warp_reduce_kernelILj256ELj32Ell21rocsparse_complex_numIfES2_S2_S2_EEvbT1_lPT2_S5_jNS_24const_host_device_scalarIT6_EEPKS3_PKS4_PKT3_PKT4_S8_PT5_21rocsparse_index_base_b
; %bb.0:
	s_clause 0x2
	s_load_b64 s[4:5], s[0:1], 0x68
	s_load_b64 s[6:7], s[0:1], 0x30
	;; [unrolled: 1-line block ×3, first 2 shown]
	s_waitcnt lgkmcnt(0)
	s_bitcmp1_b32 s5, 0
	v_mov_b32_e32 v13, s6
	s_cselect_b32 s5, -1, 0
	s_delay_alu instid0(SALU_CYCLE_1)
	s_and_b32 vcc_lo, exec_lo, s5
	s_xor_b32 s5, s5, -1
	s_cbranch_vccz .LBB58_18
; %bb.1:
	v_cndmask_b32_e64 v1, 0, 1, s5
	v_mov_b32_e32 v14, s7
	s_and_not1_b32 vcc_lo, exec_lo, s5
	s_cbranch_vccz .LBB58_19
.LBB58_2:
	s_delay_alu instid0(VALU_DEP_2)
	v_cmp_ne_u32_e32 vcc_lo, 1, v1
	v_mov_b32_e32 v11, s2
	s_cbranch_vccz .LBB58_20
.LBB58_3:
	v_cmp_ne_u32_e32 vcc_lo, 1, v1
	v_mov_b32_e32 v12, s3
	s_cbranch_vccnz .LBB58_5
.LBB58_4:
	v_dual_mov_b32 v1, s2 :: v_dual_mov_b32 v2, s3
	flat_load_b32 v12, v[1:2] offset:4
.LBB58_5:
	s_waitcnt vmcnt(0) lgkmcnt(0)
	v_cmp_eq_f32_e32 vcc_lo, 0, v13
	v_cmp_eq_f32_e64 s2, 0, v14
	s_delay_alu instid0(VALU_DEP_1)
	s_and_b32 s5, vcc_lo, s2
	s_mov_b32 s2, -1
	s_and_saveexec_b32 s3, s5
; %bb.6:
	v_cmp_neq_f32_e32 vcc_lo, 1.0, v11
	v_cmp_neq_f32_e64 s2, 0, v12
	s_delay_alu instid0(VALU_DEP_1) | instskip(NEXT) | instid1(SALU_CYCLE_1)
	s_or_b32 s2, vcc_lo, s2
	s_or_not1_b32 s2, s2, exec_lo
; %bb.7:
	s_or_b32 exec_lo, exec_lo, s3
	s_and_saveexec_b32 s3, s2
	s_cbranch_execz .LBB58_17
; %bb.8:
	s_load_b64 s[2:3], s[0:1], 0x10
	v_lshrrev_b32_e32 v1, 5, v0
	s_delay_alu instid0(VALU_DEP_1) | instskip(NEXT) | instid1(VALU_DEP_1)
	v_lshl_or_b32 v1, s15, 3, v1
	v_ashrrev_i32_e32 v2, 31, v1
	s_waitcnt lgkmcnt(0)
	s_delay_alu instid0(VALU_DEP_1)
	v_cmp_gt_i64_e32 vcc_lo, s[2:3], v[1:2]
	s_and_b32 exec_lo, exec_lo, vcc_lo
	s_cbranch_execz .LBB58_17
; %bb.9:
	s_clause 0x1
	s_load_b32 s6, s[0:1], 0x28
	s_load_b128 s[8:11], s[0:1], 0x18
	s_mov_b32 s7, 0
	v_lshlrev_b64 v[1:2], 3, v[1:2]
	v_dual_mov_b32 v15, 0 :: v_dual_and_b32 v0, 31, v0
	v_mov_b32_e32 v16, 0
	s_delay_alu instid0(VALU_DEP_2) | instskip(NEXT) | instid1(VALU_DEP_1)
	v_sub_co_u32 v9, s5, v0, s4
	v_sub_co_ci_u32_e64 v10, null, 0, 0, s5
	s_mov_b32 s5, exec_lo
	s_waitcnt lgkmcnt(0)
	s_lshl_b64 s[2:3], s[6:7], 3
	s_delay_alu instid0(SALU_CYCLE_1) | instskip(SKIP_4) | instid1(SALU_CYCLE_1)
	s_add_u32 s2, s10, s2
	s_addc_u32 s3, s11, s3
	s_load_b64 s[2:3], s[2:3], 0x0
	s_waitcnt lgkmcnt(0)
	s_lshl_b64 s[2:3], s[2:3], 3
	s_add_u32 s2, s8, s2
	s_addc_u32 s3, s9, s3
	v_add_co_u32 v1, vcc_lo, s2, v1
	v_add_co_ci_u32_e32 v2, vcc_lo, s3, v2, vcc_lo
	s_load_b64 s[2:3], s[0:1], 0x38
	global_load_b64 v[1:2], v[1:2], off
	s_waitcnt vmcnt(0)
	v_lshlrev_b64 v[1:2], 3, v[1:2]
	s_waitcnt lgkmcnt(0)
	s_delay_alu instid0(VALU_DEP_1) | instskip(NEXT) | instid1(VALU_DEP_2)
	v_add_co_u32 v3, vcc_lo, s2, v1
	v_add_co_ci_u32_e32 v4, vcc_lo, s3, v2, vcc_lo
	s_load_b64 s[2:3], s[0:1], 0x60
	global_load_b128 v[5:8], v[3:4], off
	s_waitcnt vmcnt(0)
	v_sub_co_u32 v3, vcc_lo, v7, s4
	v_subrev_co_ci_u32_e32 v4, vcc_lo, 0, v8, vcc_lo
	v_add_co_u32 v5, vcc_lo, v5, v9
	v_add_co_ci_u32_e32 v6, vcc_lo, v6, v10, vcc_lo
	s_delay_alu instid0(VALU_DEP_1)
	v_cmpx_lt_i64_e64 v[5:6], v[3:4]
	s_cbranch_execz .LBB58_13
; %bb.10:
	s_clause 0x2
	s_load_b128 s[12:15], s[0:1], 0x40
	s_load_b32 s6, s[0:1], 0x0
	s_load_b64 s[8:9], s[0:1], 0x50
	v_lshlrev_b64 v[7:8], 3, v[5:6]
	v_dual_mov_b32 v15, 0 :: v_dual_mov_b32 v16, 0
	s_waitcnt lgkmcnt(0)
	s_delay_alu instid0(VALU_DEP_2) | instskip(NEXT) | instid1(VALU_DEP_3)
	v_add_co_u32 v9, vcc_lo, v7, s14
	v_add_co_ci_u32_e32 v10, vcc_lo, s15, v8, vcc_lo
	v_add_co_u32 v7, vcc_lo, s12, v7
	v_add_co_ci_u32_e32 v8, vcc_lo, s13, v8, vcc_lo
	s_delay_alu instid0(VALU_DEP_4) | instskip(NEXT) | instid1(VALU_DEP_4)
	v_add_co_u32 v9, vcc_lo, v9, 4
	v_add_co_ci_u32_e32 v10, vcc_lo, 0, v10, vcc_lo
	s_bitcmp1_b32 s6, 0
	s_cselect_b32 s1, -1, 0
	s_set_inst_prefetch_distance 0x1
	.p2align	6
.LBB58_11:                              ; =>This Inner Loop Header: Depth=1
	global_load_b64 v[17:18], v[7:8], off
	global_load_b64 v[19:20], v[9:10], off offset:-4
	s_waitcnt vmcnt(1)
	v_sub_co_u32 v17, vcc_lo, v17, s4
	v_subrev_co_ci_u32_e32 v18, vcc_lo, 0, v18, vcc_lo
	s_waitcnt vmcnt(0)
	v_cndmask_b32_e64 v20, v20, -v20, s1
	s_delay_alu instid0(VALU_DEP_2) | instskip(NEXT) | instid1(VALU_DEP_2)
	v_lshlrev_b64 v[17:18], 3, v[17:18]
	v_mul_f32_e64 v21, v20, -v14
	v_mul_f32_e32 v20, v20, v13
	s_delay_alu instid0(VALU_DEP_3) | instskip(NEXT) | instid1(VALU_DEP_3)
	v_add_co_u32 v17, vcc_lo, s8, v17
	v_fmac_f32_e32 v21, v13, v19
	v_add_co_ci_u32_e32 v18, vcc_lo, s9, v18, vcc_lo
	v_add_co_u32 v5, vcc_lo, v5, 32
	v_add_co_ci_u32_e32 v6, vcc_lo, 0, v6, vcc_lo
	global_load_b64 v[17:18], v[17:18], off
	v_fmac_f32_e32 v20, v14, v19
	v_add_co_u32 v9, vcc_lo, 0x100, v9
	v_add_co_ci_u32_e32 v10, vcc_lo, 0, v10, vcc_lo
	v_cmp_ge_i64_e64 s0, v[5:6], v[3:4]
	v_add_co_u32 v7, vcc_lo, 0x100, v7
	v_add_co_ci_u32_e32 v8, vcc_lo, 0, v8, vcc_lo
	s_delay_alu instid0(VALU_DEP_3) | instskip(SKIP_3) | instid1(VALU_DEP_1)
	s_or_b32 s7, s0, s7
	s_waitcnt vmcnt(0)
	v_fmac_f32_e32 v16, v21, v17
	v_fmac_f32_e32 v15, v20, v17
	;; [unrolled: 1-line block ×3, first 2 shown]
	s_delay_alu instid0(VALU_DEP_3)
	v_fma_f32 v16, -v20, v18, v16
	s_and_not1_b32 exec_lo, exec_lo, s7
	s_cbranch_execnz .LBB58_11
; %bb.12:
	s_set_inst_prefetch_distance 0x2
	s_or_b32 exec_lo, exec_lo, s7
.LBB58_13:
	s_delay_alu instid0(SALU_CYCLE_1) | instskip(SKIP_1) | instid1(VALU_DEP_1)
	s_or_b32 exec_lo, exec_lo, s5
	v_mbcnt_lo_u32_b32 v3, -1, 0
	v_xor_b32_e32 v4, 16, v3
	v_xor_b32_e32 v6, 8, v3
	;; [unrolled: 1-line block ×3, first 2 shown]
	s_delay_alu instid0(VALU_DEP_3) | instskip(SKIP_1) | instid1(VALU_DEP_4)
	v_cmp_gt_i32_e32 vcc_lo, 32, v4
	v_cndmask_b32_e32 v4, v3, v4, vcc_lo
	v_cmp_gt_i32_e32 vcc_lo, 32, v6
	s_delay_alu instid0(VALU_DEP_2)
	v_lshlrev_b32_e32 v4, 2, v4
	v_cndmask_b32_e32 v6, v3, v6, vcc_lo
	v_cmp_gt_i32_e32 vcc_lo, 32, v8
	ds_bpermute_b32 v5, v4, v16
	v_lshlrev_b32_e32 v6, 2, v6
	v_cndmask_b32_e32 v8, v3, v8, vcc_lo
	s_waitcnt lgkmcnt(0)
	s_delay_alu instid0(VALU_DEP_1)
	v_dual_add_f32 v5, v16, v5 :: v_dual_lshlrev_b32 v8, 2, v8
	ds_bpermute_b32 v7, v6, v5
	s_waitcnt lgkmcnt(0)
	v_add_f32_e32 v5, v5, v7
	ds_bpermute_b32 v4, v4, v15
	s_waitcnt lgkmcnt(0)
	v_add_f32_e32 v4, v15, v4
	;; [unrolled: 3-line block ×3, first 2 shown]
	ds_bpermute_b32 v6, v8, v5
	ds_bpermute_b32 v7, v8, v4
	v_xor_b32_e32 v8, 2, v3
	s_delay_alu instid0(VALU_DEP_1) | instskip(SKIP_2) | instid1(VALU_DEP_1)
	v_cmp_gt_i32_e32 vcc_lo, 32, v8
	s_waitcnt lgkmcnt(1)
	v_dual_cndmask_b32 v8, v3, v8 :: v_dual_add_f32 v5, v5, v6
	v_lshlrev_b32_e32 v8, 2, v8
	s_waitcnt lgkmcnt(0)
	v_add_f32_e32 v4, v4, v7
	ds_bpermute_b32 v6, v8, v5
	ds_bpermute_b32 v7, v8, v4
	v_xor_b32_e32 v8, 1, v3
	s_delay_alu instid0(VALU_DEP_1) | instskip(SKIP_3) | instid1(VALU_DEP_2)
	v_cmp_gt_i32_e32 vcc_lo, 32, v8
	v_cndmask_b32_e32 v3, v3, v8, vcc_lo
	v_cmp_eq_u32_e32 vcc_lo, 31, v0
	s_waitcnt lgkmcnt(1)
	v_dual_add_f32 v3, v5, v6 :: v_dual_lshlrev_b32 v8, 2, v3
	s_waitcnt lgkmcnt(0)
	v_add_f32_e32 v4, v4, v7
	ds_bpermute_b32 v5, v8, v3
	ds_bpermute_b32 v6, v8, v4
	s_and_b32 exec_lo, exec_lo, vcc_lo
	s_cbranch_execz .LBB58_17
; %bb.14:
	v_cmp_neq_f32_e32 vcc_lo, 0, v11
	v_cmp_neq_f32_e64 s0, 0, v12
	s_waitcnt lgkmcnt(0)
	v_dual_add_f32 v3, v3, v5 :: v_dual_add_f32 v4, v4, v6
	s_delay_alu instid0(VALU_DEP_2) | instskip(NEXT) | instid1(SALU_CYCLE_1)
	s_or_b32 s1, vcc_lo, s0
	s_and_saveexec_b32 s0, s1
	s_cbranch_execz .LBB58_16
; %bb.15:
	v_add_co_u32 v5, vcc_lo, s2, v1
	v_add_co_ci_u32_e32 v6, vcc_lo, s3, v2, vcc_lo
	global_load_b64 v[5:6], v[5:6], off
	s_waitcnt vmcnt(0)
	v_fmac_f32_e32 v3, v11, v5
	v_fmac_f32_e32 v4, v12, v5
	s_delay_alu instid0(VALU_DEP_2) | instskip(NEXT) | instid1(VALU_DEP_2)
	v_fma_f32 v3, -v12, v6, v3
	v_fmac_f32_e32 v4, v11, v6
.LBB58_16:
	s_or_b32 exec_lo, exec_lo, s0
	v_add_co_u32 v0, vcc_lo, s2, v1
	v_add_co_ci_u32_e32 v1, vcc_lo, s3, v2, vcc_lo
	global_store_b64 v[0:1], v[3:4], off
.LBB58_17:
	s_nop 0
	s_sendmsg sendmsg(MSG_DEALLOC_VGPRS)
	s_endpgm
.LBB58_18:
	v_dual_mov_b32 v1, s6 :: v_dual_mov_b32 v2, s7
	flat_load_b32 v13, v[1:2]
	v_cndmask_b32_e64 v1, 0, 1, s5
	v_mov_b32_e32 v14, s7
	s_and_not1_b32 vcc_lo, exec_lo, s5
	s_cbranch_vccnz .LBB58_2
.LBB58_19:
	v_dual_mov_b32 v2, s6 :: v_dual_mov_b32 v3, s7
	flat_load_b32 v14, v[2:3] offset:4
	v_cmp_ne_u32_e32 vcc_lo, 1, v1
	v_mov_b32_e32 v11, s2
	s_cbranch_vccnz .LBB58_3
.LBB58_20:
	v_dual_mov_b32 v2, s2 :: v_dual_mov_b32 v3, s3
	flat_load_b32 v11, v[2:3]
	v_cmp_ne_u32_e32 vcc_lo, 1, v1
	v_mov_b32_e32 v12, s3
	s_cbranch_vccz .LBB58_4
	s_branch .LBB58_5
	.section	.rodata,"a",@progbits
	.p2align	6, 0x0
	.amdhsa_kernel _ZN9rocsparseL41csrmvn_lrb_medium_rows_warp_reduce_kernelILj256ELj32Ell21rocsparse_complex_numIfES2_S2_S2_EEvbT1_lPT2_S5_jNS_24const_host_device_scalarIT6_EEPKS3_PKS4_PKT3_PKT4_S8_PT5_21rocsparse_index_base_b
		.amdhsa_group_segment_fixed_size 0
		.amdhsa_private_segment_fixed_size 0
		.amdhsa_kernarg_size 112
		.amdhsa_user_sgpr_count 15
		.amdhsa_user_sgpr_dispatch_ptr 0
		.amdhsa_user_sgpr_queue_ptr 0
		.amdhsa_user_sgpr_kernarg_segment_ptr 1
		.amdhsa_user_sgpr_dispatch_id 0
		.amdhsa_user_sgpr_private_segment_size 0
		.amdhsa_wavefront_size32 1
		.amdhsa_uses_dynamic_stack 0
		.amdhsa_enable_private_segment 0
		.amdhsa_system_sgpr_workgroup_id_x 1
		.amdhsa_system_sgpr_workgroup_id_y 0
		.amdhsa_system_sgpr_workgroup_id_z 0
		.amdhsa_system_sgpr_workgroup_info 0
		.amdhsa_system_vgpr_workitem_id 0
		.amdhsa_next_free_vgpr 22
		.amdhsa_next_free_sgpr 16
		.amdhsa_reserve_vcc 1
		.amdhsa_float_round_mode_32 0
		.amdhsa_float_round_mode_16_64 0
		.amdhsa_float_denorm_mode_32 3
		.amdhsa_float_denorm_mode_16_64 3
		.amdhsa_dx10_clamp 1
		.amdhsa_ieee_mode 1
		.amdhsa_fp16_overflow 0
		.amdhsa_workgroup_processor_mode 1
		.amdhsa_memory_ordered 1
		.amdhsa_forward_progress 0
		.amdhsa_shared_vgpr_count 0
		.amdhsa_exception_fp_ieee_invalid_op 0
		.amdhsa_exception_fp_denorm_src 0
		.amdhsa_exception_fp_ieee_div_zero 0
		.amdhsa_exception_fp_ieee_overflow 0
		.amdhsa_exception_fp_ieee_underflow 0
		.amdhsa_exception_fp_ieee_inexact 0
		.amdhsa_exception_int_div_zero 0
	.end_amdhsa_kernel
	.section	.text._ZN9rocsparseL41csrmvn_lrb_medium_rows_warp_reduce_kernelILj256ELj32Ell21rocsparse_complex_numIfES2_S2_S2_EEvbT1_lPT2_S5_jNS_24const_host_device_scalarIT6_EEPKS3_PKS4_PKT3_PKT4_S8_PT5_21rocsparse_index_base_b,"axG",@progbits,_ZN9rocsparseL41csrmvn_lrb_medium_rows_warp_reduce_kernelILj256ELj32Ell21rocsparse_complex_numIfES2_S2_S2_EEvbT1_lPT2_S5_jNS_24const_host_device_scalarIT6_EEPKS3_PKS4_PKT3_PKT4_S8_PT5_21rocsparse_index_base_b,comdat
.Lfunc_end58:
	.size	_ZN9rocsparseL41csrmvn_lrb_medium_rows_warp_reduce_kernelILj256ELj32Ell21rocsparse_complex_numIfES2_S2_S2_EEvbT1_lPT2_S5_jNS_24const_host_device_scalarIT6_EEPKS3_PKS4_PKT3_PKT4_S8_PT5_21rocsparse_index_base_b, .Lfunc_end58-_ZN9rocsparseL41csrmvn_lrb_medium_rows_warp_reduce_kernelILj256ELj32Ell21rocsparse_complex_numIfES2_S2_S2_EEvbT1_lPT2_S5_jNS_24const_host_device_scalarIT6_EEPKS3_PKS4_PKT3_PKT4_S8_PT5_21rocsparse_index_base_b
                                        ; -- End function
	.section	.AMDGPU.csdata,"",@progbits
; Kernel info:
; codeLenInByte = 1272
; NumSgprs: 18
; NumVgprs: 22
; ScratchSize: 0
; MemoryBound: 0
; FloatMode: 240
; IeeeMode: 1
; LDSByteSize: 0 bytes/workgroup (compile time only)
; SGPRBlocks: 2
; VGPRBlocks: 2
; NumSGPRsForWavesPerEU: 18
; NumVGPRsForWavesPerEU: 22
; Occupancy: 16
; WaveLimiterHint : 1
; COMPUTE_PGM_RSRC2:SCRATCH_EN: 0
; COMPUTE_PGM_RSRC2:USER_SGPR: 15
; COMPUTE_PGM_RSRC2:TRAP_HANDLER: 0
; COMPUTE_PGM_RSRC2:TGID_X_EN: 1
; COMPUTE_PGM_RSRC2:TGID_Y_EN: 0
; COMPUTE_PGM_RSRC2:TGID_Z_EN: 0
; COMPUTE_PGM_RSRC2:TIDIG_COMP_CNT: 0
	.section	.text._ZN9rocsparseL41csrmvn_lrb_medium_rows_warp_reduce_kernelILj256ELj64Ell21rocsparse_complex_numIfES2_S2_S2_EEvbT1_lPT2_S5_jNS_24const_host_device_scalarIT6_EEPKS3_PKS4_PKT3_PKT4_S8_PT5_21rocsparse_index_base_b,"axG",@progbits,_ZN9rocsparseL41csrmvn_lrb_medium_rows_warp_reduce_kernelILj256ELj64Ell21rocsparse_complex_numIfES2_S2_S2_EEvbT1_lPT2_S5_jNS_24const_host_device_scalarIT6_EEPKS3_PKS4_PKT3_PKT4_S8_PT5_21rocsparse_index_base_b,comdat
	.globl	_ZN9rocsparseL41csrmvn_lrb_medium_rows_warp_reduce_kernelILj256ELj64Ell21rocsparse_complex_numIfES2_S2_S2_EEvbT1_lPT2_S5_jNS_24const_host_device_scalarIT6_EEPKS3_PKS4_PKT3_PKT4_S8_PT5_21rocsparse_index_base_b ; -- Begin function _ZN9rocsparseL41csrmvn_lrb_medium_rows_warp_reduce_kernelILj256ELj64Ell21rocsparse_complex_numIfES2_S2_S2_EEvbT1_lPT2_S5_jNS_24const_host_device_scalarIT6_EEPKS3_PKS4_PKT3_PKT4_S8_PT5_21rocsparse_index_base_b
	.p2align	8
	.type	_ZN9rocsparseL41csrmvn_lrb_medium_rows_warp_reduce_kernelILj256ELj64Ell21rocsparse_complex_numIfES2_S2_S2_EEvbT1_lPT2_S5_jNS_24const_host_device_scalarIT6_EEPKS3_PKS4_PKT3_PKT4_S8_PT5_21rocsparse_index_base_b,@function
_ZN9rocsparseL41csrmvn_lrb_medium_rows_warp_reduce_kernelILj256ELj64Ell21rocsparse_complex_numIfES2_S2_S2_EEvbT1_lPT2_S5_jNS_24const_host_device_scalarIT6_EEPKS3_PKS4_PKT3_PKT4_S8_PT5_21rocsparse_index_base_b: ; @_ZN9rocsparseL41csrmvn_lrb_medium_rows_warp_reduce_kernelILj256ELj64Ell21rocsparse_complex_numIfES2_S2_S2_EEvbT1_lPT2_S5_jNS_24const_host_device_scalarIT6_EEPKS3_PKS4_PKT3_PKT4_S8_PT5_21rocsparse_index_base_b
; %bb.0:
	s_clause 0x2
	s_load_b64 s[4:5], s[0:1], 0x68
	s_load_b64 s[6:7], s[0:1], 0x30
	;; [unrolled: 1-line block ×3, first 2 shown]
	s_waitcnt lgkmcnt(0)
	s_bitcmp1_b32 s5, 0
	v_mov_b32_e32 v13, s6
	s_cselect_b32 s5, -1, 0
	s_delay_alu instid0(SALU_CYCLE_1)
	s_and_b32 vcc_lo, exec_lo, s5
	s_xor_b32 s5, s5, -1
	s_cbranch_vccz .LBB59_18
; %bb.1:
	v_cndmask_b32_e64 v1, 0, 1, s5
	v_mov_b32_e32 v14, s7
	s_and_not1_b32 vcc_lo, exec_lo, s5
	s_cbranch_vccz .LBB59_19
.LBB59_2:
	s_delay_alu instid0(VALU_DEP_2)
	v_cmp_ne_u32_e32 vcc_lo, 1, v1
	v_mov_b32_e32 v11, s2
	s_cbranch_vccz .LBB59_20
.LBB59_3:
	v_cmp_ne_u32_e32 vcc_lo, 1, v1
	v_mov_b32_e32 v12, s3
	s_cbranch_vccnz .LBB59_5
.LBB59_4:
	v_dual_mov_b32 v1, s2 :: v_dual_mov_b32 v2, s3
	flat_load_b32 v12, v[1:2] offset:4
.LBB59_5:
	s_waitcnt vmcnt(0) lgkmcnt(0)
	v_cmp_eq_f32_e32 vcc_lo, 0, v13
	v_cmp_eq_f32_e64 s2, 0, v14
	s_delay_alu instid0(VALU_DEP_1)
	s_and_b32 s5, vcc_lo, s2
	s_mov_b32 s2, -1
	s_and_saveexec_b32 s3, s5
; %bb.6:
	v_cmp_neq_f32_e32 vcc_lo, 1.0, v11
	v_cmp_neq_f32_e64 s2, 0, v12
	s_delay_alu instid0(VALU_DEP_1) | instskip(NEXT) | instid1(SALU_CYCLE_1)
	s_or_b32 s2, vcc_lo, s2
	s_or_not1_b32 s2, s2, exec_lo
; %bb.7:
	s_or_b32 exec_lo, exec_lo, s3
	s_and_saveexec_b32 s3, s2
	s_cbranch_execz .LBB59_17
; %bb.8:
	s_load_b64 s[2:3], s[0:1], 0x10
	v_lshrrev_b32_e32 v1, 6, v0
	s_delay_alu instid0(VALU_DEP_1) | instskip(NEXT) | instid1(VALU_DEP_1)
	v_lshl_or_b32 v1, s15, 2, v1
	v_ashrrev_i32_e32 v2, 31, v1
	s_waitcnt lgkmcnt(0)
	s_delay_alu instid0(VALU_DEP_1)
	v_cmp_gt_i64_e32 vcc_lo, s[2:3], v[1:2]
	s_and_b32 exec_lo, exec_lo, vcc_lo
	s_cbranch_execz .LBB59_17
; %bb.9:
	s_clause 0x1
	s_load_b32 s6, s[0:1], 0x28
	s_load_b128 s[8:11], s[0:1], 0x18
	s_mov_b32 s7, 0
	v_lshlrev_b64 v[1:2], 3, v[1:2]
	v_dual_mov_b32 v15, 0 :: v_dual_and_b32 v0, 63, v0
	v_mov_b32_e32 v16, 0
	s_delay_alu instid0(VALU_DEP_2) | instskip(NEXT) | instid1(VALU_DEP_1)
	v_sub_co_u32 v9, s5, v0, s4
	v_sub_co_ci_u32_e64 v10, null, 0, 0, s5
	s_mov_b32 s5, exec_lo
	s_waitcnt lgkmcnt(0)
	s_lshl_b64 s[2:3], s[6:7], 3
	s_delay_alu instid0(SALU_CYCLE_1) | instskip(SKIP_4) | instid1(SALU_CYCLE_1)
	s_add_u32 s2, s10, s2
	s_addc_u32 s3, s11, s3
	s_load_b64 s[2:3], s[2:3], 0x0
	s_waitcnt lgkmcnt(0)
	s_lshl_b64 s[2:3], s[2:3], 3
	s_add_u32 s2, s8, s2
	s_addc_u32 s3, s9, s3
	v_add_co_u32 v1, vcc_lo, s2, v1
	v_add_co_ci_u32_e32 v2, vcc_lo, s3, v2, vcc_lo
	s_load_b64 s[2:3], s[0:1], 0x38
	global_load_b64 v[1:2], v[1:2], off
	s_waitcnt vmcnt(0)
	v_lshlrev_b64 v[1:2], 3, v[1:2]
	s_waitcnt lgkmcnt(0)
	s_delay_alu instid0(VALU_DEP_1) | instskip(NEXT) | instid1(VALU_DEP_2)
	v_add_co_u32 v3, vcc_lo, s2, v1
	v_add_co_ci_u32_e32 v4, vcc_lo, s3, v2, vcc_lo
	s_load_b64 s[2:3], s[0:1], 0x60
	global_load_b128 v[5:8], v[3:4], off
	s_waitcnt vmcnt(0)
	v_sub_co_u32 v3, vcc_lo, v7, s4
	v_subrev_co_ci_u32_e32 v4, vcc_lo, 0, v8, vcc_lo
	v_add_co_u32 v5, vcc_lo, v5, v9
	v_add_co_ci_u32_e32 v6, vcc_lo, v6, v10, vcc_lo
	s_delay_alu instid0(VALU_DEP_1)
	v_cmpx_lt_i64_e64 v[5:6], v[3:4]
	s_cbranch_execz .LBB59_13
; %bb.10:
	s_clause 0x2
	s_load_b128 s[12:15], s[0:1], 0x40
	s_load_b32 s6, s[0:1], 0x0
	s_load_b64 s[8:9], s[0:1], 0x50
	v_lshlrev_b64 v[7:8], 3, v[5:6]
	v_dual_mov_b32 v15, 0 :: v_dual_mov_b32 v16, 0
	s_waitcnt lgkmcnt(0)
	s_delay_alu instid0(VALU_DEP_2) | instskip(NEXT) | instid1(VALU_DEP_3)
	v_add_co_u32 v9, vcc_lo, v7, s14
	v_add_co_ci_u32_e32 v10, vcc_lo, s15, v8, vcc_lo
	v_add_co_u32 v7, vcc_lo, s12, v7
	v_add_co_ci_u32_e32 v8, vcc_lo, s13, v8, vcc_lo
	s_delay_alu instid0(VALU_DEP_4) | instskip(NEXT) | instid1(VALU_DEP_4)
	v_add_co_u32 v9, vcc_lo, v9, 4
	v_add_co_ci_u32_e32 v10, vcc_lo, 0, v10, vcc_lo
	s_bitcmp1_b32 s6, 0
	s_cselect_b32 s1, -1, 0
	s_set_inst_prefetch_distance 0x1
	.p2align	6
.LBB59_11:                              ; =>This Inner Loop Header: Depth=1
	global_load_b64 v[17:18], v[7:8], off
	global_load_b64 v[19:20], v[9:10], off offset:-4
	s_waitcnt vmcnt(1)
	v_sub_co_u32 v17, vcc_lo, v17, s4
	v_subrev_co_ci_u32_e32 v18, vcc_lo, 0, v18, vcc_lo
	s_waitcnt vmcnt(0)
	v_cndmask_b32_e64 v20, v20, -v20, s1
	s_delay_alu instid0(VALU_DEP_2) | instskip(NEXT) | instid1(VALU_DEP_2)
	v_lshlrev_b64 v[17:18], 3, v[17:18]
	v_mul_f32_e64 v21, v20, -v14
	v_mul_f32_e32 v20, v20, v13
	s_delay_alu instid0(VALU_DEP_3) | instskip(NEXT) | instid1(VALU_DEP_3)
	v_add_co_u32 v17, vcc_lo, s8, v17
	v_fmac_f32_e32 v21, v13, v19
	v_add_co_ci_u32_e32 v18, vcc_lo, s9, v18, vcc_lo
	v_add_co_u32 v5, vcc_lo, v5, 64
	v_add_co_ci_u32_e32 v6, vcc_lo, 0, v6, vcc_lo
	global_load_b64 v[17:18], v[17:18], off
	v_fmac_f32_e32 v20, v14, v19
	v_add_co_u32 v9, vcc_lo, 0x200, v9
	v_add_co_ci_u32_e32 v10, vcc_lo, 0, v10, vcc_lo
	v_cmp_ge_i64_e64 s0, v[5:6], v[3:4]
	v_add_co_u32 v7, vcc_lo, 0x200, v7
	v_add_co_ci_u32_e32 v8, vcc_lo, 0, v8, vcc_lo
	s_delay_alu instid0(VALU_DEP_3) | instskip(SKIP_3) | instid1(VALU_DEP_1)
	s_or_b32 s7, s0, s7
	s_waitcnt vmcnt(0)
	v_fmac_f32_e32 v16, v21, v17
	v_fmac_f32_e32 v15, v20, v17
	;; [unrolled: 1-line block ×3, first 2 shown]
	s_delay_alu instid0(VALU_DEP_3)
	v_fma_f32 v16, -v20, v18, v16
	s_and_not1_b32 exec_lo, exec_lo, s7
	s_cbranch_execnz .LBB59_11
; %bb.12:
	s_set_inst_prefetch_distance 0x2
	s_or_b32 exec_lo, exec_lo, s7
.LBB59_13:
	s_delay_alu instid0(SALU_CYCLE_1) | instskip(SKIP_1) | instid1(VALU_DEP_1)
	s_or_b32 exec_lo, exec_lo, s5
	v_mbcnt_lo_u32_b32 v3, -1, 0
	v_or_b32_e32 v4, 32, v3
	v_xor_b32_e32 v6, 16, v3
	v_xor_b32_e32 v8, 8, v3
	s_delay_alu instid0(VALU_DEP_3) | instskip(SKIP_1) | instid1(VALU_DEP_4)
	v_cmp_gt_i32_e32 vcc_lo, 32, v4
	v_cndmask_b32_e32 v4, v3, v4, vcc_lo
	v_cmp_gt_i32_e32 vcc_lo, 32, v6
	s_delay_alu instid0(VALU_DEP_2)
	v_lshlrev_b32_e32 v4, 2, v4
	v_cndmask_b32_e32 v6, v3, v6, vcc_lo
	v_cmp_gt_i32_e32 vcc_lo, 32, v8
	ds_bpermute_b32 v5, v4, v16
	v_lshlrev_b32_e32 v6, 2, v6
	v_cndmask_b32_e32 v8, v3, v8, vcc_lo
	s_waitcnt lgkmcnt(0)
	s_delay_alu instid0(VALU_DEP_1)
	v_dual_add_f32 v5, v16, v5 :: v_dual_lshlrev_b32 v8, 2, v8
	ds_bpermute_b32 v7, v6, v5
	s_waitcnt lgkmcnt(0)
	v_add_f32_e32 v5, v5, v7
	ds_bpermute_b32 v4, v4, v15
	s_waitcnt lgkmcnt(0)
	v_add_f32_e32 v4, v15, v4
	;; [unrolled: 3-line block ×3, first 2 shown]
	ds_bpermute_b32 v6, v8, v5
	ds_bpermute_b32 v7, v8, v4
	v_xor_b32_e32 v8, 4, v3
	s_delay_alu instid0(VALU_DEP_1) | instskip(SKIP_2) | instid1(VALU_DEP_1)
	v_cmp_gt_i32_e32 vcc_lo, 32, v8
	s_waitcnt lgkmcnt(1)
	v_dual_cndmask_b32 v8, v3, v8 :: v_dual_add_f32 v5, v5, v6
	v_lshlrev_b32_e32 v8, 2, v8
	s_waitcnt lgkmcnt(0)
	v_add_f32_e32 v4, v4, v7
	ds_bpermute_b32 v6, v8, v5
	ds_bpermute_b32 v7, v8, v4
	v_xor_b32_e32 v8, 2, v3
	s_delay_alu instid0(VALU_DEP_1) | instskip(SKIP_2) | instid1(VALU_DEP_1)
	v_cmp_gt_i32_e32 vcc_lo, 32, v8
	v_cndmask_b32_e32 v8, v3, v8, vcc_lo
	s_waitcnt lgkmcnt(1)
	v_dual_add_f32 v5, v5, v6 :: v_dual_lshlrev_b32 v8, 2, v8
	s_waitcnt lgkmcnt(0)
	v_add_f32_e32 v4, v4, v7
	ds_bpermute_b32 v6, v8, v5
	ds_bpermute_b32 v7, v8, v4
	v_xor_b32_e32 v8, 1, v3
	s_delay_alu instid0(VALU_DEP_1) | instskip(SKIP_3) | instid1(VALU_DEP_2)
	v_cmp_gt_i32_e32 vcc_lo, 32, v8
	v_cndmask_b32_e32 v3, v3, v8, vcc_lo
	v_cmp_eq_u32_e32 vcc_lo, 63, v0
	s_waitcnt lgkmcnt(1)
	v_dual_add_f32 v3, v5, v6 :: v_dual_lshlrev_b32 v8, 2, v3
	s_waitcnt lgkmcnt(0)
	v_add_f32_e32 v4, v4, v7
	ds_bpermute_b32 v5, v8, v3
	ds_bpermute_b32 v6, v8, v4
	s_and_b32 exec_lo, exec_lo, vcc_lo
	s_cbranch_execz .LBB59_17
; %bb.14:
	v_cmp_neq_f32_e32 vcc_lo, 0, v11
	v_cmp_neq_f32_e64 s0, 0, v12
	s_waitcnt lgkmcnt(0)
	v_dual_add_f32 v3, v3, v5 :: v_dual_add_f32 v4, v4, v6
	s_delay_alu instid0(VALU_DEP_2) | instskip(NEXT) | instid1(SALU_CYCLE_1)
	s_or_b32 s1, vcc_lo, s0
	s_and_saveexec_b32 s0, s1
	s_cbranch_execz .LBB59_16
; %bb.15:
	v_add_co_u32 v5, vcc_lo, s2, v1
	v_add_co_ci_u32_e32 v6, vcc_lo, s3, v2, vcc_lo
	global_load_b64 v[5:6], v[5:6], off
	s_waitcnt vmcnt(0)
	v_fmac_f32_e32 v3, v11, v5
	v_fmac_f32_e32 v4, v12, v5
	s_delay_alu instid0(VALU_DEP_2) | instskip(NEXT) | instid1(VALU_DEP_2)
	v_fma_f32 v3, -v12, v6, v3
	v_fmac_f32_e32 v4, v11, v6
.LBB59_16:
	s_or_b32 exec_lo, exec_lo, s0
	v_add_co_u32 v0, vcc_lo, s2, v1
	v_add_co_ci_u32_e32 v1, vcc_lo, s3, v2, vcc_lo
	global_store_b64 v[0:1], v[3:4], off
.LBB59_17:
	s_nop 0
	s_sendmsg sendmsg(MSG_DEALLOC_VGPRS)
	s_endpgm
.LBB59_18:
	v_dual_mov_b32 v1, s6 :: v_dual_mov_b32 v2, s7
	flat_load_b32 v13, v[1:2]
	v_cndmask_b32_e64 v1, 0, 1, s5
	v_mov_b32_e32 v14, s7
	s_and_not1_b32 vcc_lo, exec_lo, s5
	s_cbranch_vccnz .LBB59_2
.LBB59_19:
	v_dual_mov_b32 v2, s6 :: v_dual_mov_b32 v3, s7
	flat_load_b32 v14, v[2:3] offset:4
	v_cmp_ne_u32_e32 vcc_lo, 1, v1
	v_mov_b32_e32 v11, s2
	s_cbranch_vccnz .LBB59_3
.LBB59_20:
	v_dual_mov_b32 v2, s2 :: v_dual_mov_b32 v3, s3
	flat_load_b32 v11, v[2:3]
	v_cmp_ne_u32_e32 vcc_lo, 1, v1
	v_mov_b32_e32 v12, s3
	s_cbranch_vccz .LBB59_4
	s_branch .LBB59_5
	.section	.rodata,"a",@progbits
	.p2align	6, 0x0
	.amdhsa_kernel _ZN9rocsparseL41csrmvn_lrb_medium_rows_warp_reduce_kernelILj256ELj64Ell21rocsparse_complex_numIfES2_S2_S2_EEvbT1_lPT2_S5_jNS_24const_host_device_scalarIT6_EEPKS3_PKS4_PKT3_PKT4_S8_PT5_21rocsparse_index_base_b
		.amdhsa_group_segment_fixed_size 0
		.amdhsa_private_segment_fixed_size 0
		.amdhsa_kernarg_size 112
		.amdhsa_user_sgpr_count 15
		.amdhsa_user_sgpr_dispatch_ptr 0
		.amdhsa_user_sgpr_queue_ptr 0
		.amdhsa_user_sgpr_kernarg_segment_ptr 1
		.amdhsa_user_sgpr_dispatch_id 0
		.amdhsa_user_sgpr_private_segment_size 0
		.amdhsa_wavefront_size32 1
		.amdhsa_uses_dynamic_stack 0
		.amdhsa_enable_private_segment 0
		.amdhsa_system_sgpr_workgroup_id_x 1
		.amdhsa_system_sgpr_workgroup_id_y 0
		.amdhsa_system_sgpr_workgroup_id_z 0
		.amdhsa_system_sgpr_workgroup_info 0
		.amdhsa_system_vgpr_workitem_id 0
		.amdhsa_next_free_vgpr 22
		.amdhsa_next_free_sgpr 16
		.amdhsa_reserve_vcc 1
		.amdhsa_float_round_mode_32 0
		.amdhsa_float_round_mode_16_64 0
		.amdhsa_float_denorm_mode_32 3
		.amdhsa_float_denorm_mode_16_64 3
		.amdhsa_dx10_clamp 1
		.amdhsa_ieee_mode 1
		.amdhsa_fp16_overflow 0
		.amdhsa_workgroup_processor_mode 1
		.amdhsa_memory_ordered 1
		.amdhsa_forward_progress 0
		.amdhsa_shared_vgpr_count 0
		.amdhsa_exception_fp_ieee_invalid_op 0
		.amdhsa_exception_fp_denorm_src 0
		.amdhsa_exception_fp_ieee_div_zero 0
		.amdhsa_exception_fp_ieee_overflow 0
		.amdhsa_exception_fp_ieee_underflow 0
		.amdhsa_exception_fp_ieee_inexact 0
		.amdhsa_exception_int_div_zero 0
	.end_amdhsa_kernel
	.section	.text._ZN9rocsparseL41csrmvn_lrb_medium_rows_warp_reduce_kernelILj256ELj64Ell21rocsparse_complex_numIfES2_S2_S2_EEvbT1_lPT2_S5_jNS_24const_host_device_scalarIT6_EEPKS3_PKS4_PKT3_PKT4_S8_PT5_21rocsparse_index_base_b,"axG",@progbits,_ZN9rocsparseL41csrmvn_lrb_medium_rows_warp_reduce_kernelILj256ELj64Ell21rocsparse_complex_numIfES2_S2_S2_EEvbT1_lPT2_S5_jNS_24const_host_device_scalarIT6_EEPKS3_PKS4_PKT3_PKT4_S8_PT5_21rocsparse_index_base_b,comdat
.Lfunc_end59:
	.size	_ZN9rocsparseL41csrmvn_lrb_medium_rows_warp_reduce_kernelILj256ELj64Ell21rocsparse_complex_numIfES2_S2_S2_EEvbT1_lPT2_S5_jNS_24const_host_device_scalarIT6_EEPKS3_PKS4_PKT3_PKT4_S8_PT5_21rocsparse_index_base_b, .Lfunc_end59-_ZN9rocsparseL41csrmvn_lrb_medium_rows_warp_reduce_kernelILj256ELj64Ell21rocsparse_complex_numIfES2_S2_S2_EEvbT1_lPT2_S5_jNS_24const_host_device_scalarIT6_EEPKS3_PKS4_PKT3_PKT4_S8_PT5_21rocsparse_index_base_b
                                        ; -- End function
	.section	.AMDGPU.csdata,"",@progbits
; Kernel info:
; codeLenInByte = 1324
; NumSgprs: 18
; NumVgprs: 22
; ScratchSize: 0
; MemoryBound: 0
; FloatMode: 240
; IeeeMode: 1
; LDSByteSize: 0 bytes/workgroup (compile time only)
; SGPRBlocks: 2
; VGPRBlocks: 2
; NumSGPRsForWavesPerEU: 18
; NumVGPRsForWavesPerEU: 22
; Occupancy: 16
; WaveLimiterHint : 1
; COMPUTE_PGM_RSRC2:SCRATCH_EN: 0
; COMPUTE_PGM_RSRC2:USER_SGPR: 15
; COMPUTE_PGM_RSRC2:TRAP_HANDLER: 0
; COMPUTE_PGM_RSRC2:TGID_X_EN: 1
; COMPUTE_PGM_RSRC2:TGID_Y_EN: 0
; COMPUTE_PGM_RSRC2:TGID_Z_EN: 0
; COMPUTE_PGM_RSRC2:TIDIG_COMP_CNT: 0
	.section	.text._ZN9rocsparseL29csrmvn_lrb_medium_rows_kernelILj256Ell21rocsparse_complex_numIfES2_S2_S2_EEvbT0_PT1_S5_jNS_24const_host_device_scalarIT5_EEPKS3_PKS4_PKT2_PKT3_S8_PT4_21rocsparse_index_base_b,"axG",@progbits,_ZN9rocsparseL29csrmvn_lrb_medium_rows_kernelILj256Ell21rocsparse_complex_numIfES2_S2_S2_EEvbT0_PT1_S5_jNS_24const_host_device_scalarIT5_EEPKS3_PKS4_PKT2_PKT3_S8_PT4_21rocsparse_index_base_b,comdat
	.globl	_ZN9rocsparseL29csrmvn_lrb_medium_rows_kernelILj256Ell21rocsparse_complex_numIfES2_S2_S2_EEvbT0_PT1_S5_jNS_24const_host_device_scalarIT5_EEPKS3_PKS4_PKT2_PKT3_S8_PT4_21rocsparse_index_base_b ; -- Begin function _ZN9rocsparseL29csrmvn_lrb_medium_rows_kernelILj256Ell21rocsparse_complex_numIfES2_S2_S2_EEvbT0_PT1_S5_jNS_24const_host_device_scalarIT5_EEPKS3_PKS4_PKT2_PKT3_S8_PT4_21rocsparse_index_base_b
	.p2align	8
	.type	_ZN9rocsparseL29csrmvn_lrb_medium_rows_kernelILj256Ell21rocsparse_complex_numIfES2_S2_S2_EEvbT0_PT1_S5_jNS_24const_host_device_scalarIT5_EEPKS3_PKS4_PKT2_PKT3_S8_PT4_21rocsparse_index_base_b,@function
_ZN9rocsparseL29csrmvn_lrb_medium_rows_kernelILj256Ell21rocsparse_complex_numIfES2_S2_S2_EEvbT0_PT1_S5_jNS_24const_host_device_scalarIT5_EEPKS3_PKS4_PKT2_PKT3_S8_PT4_21rocsparse_index_base_b: ; @_ZN9rocsparseL29csrmvn_lrb_medium_rows_kernelILj256Ell21rocsparse_complex_numIfES2_S2_S2_EEvbT0_PT1_S5_jNS_24const_host_device_scalarIT5_EEPKS3_PKS4_PKT2_PKT3_S8_PT4_21rocsparse_index_base_b
; %bb.0:
	s_clause 0x2
	s_load_b64 s[6:7], s[0:1], 0x60
	s_load_b64 s[8:9], s[0:1], 0x28
	;; [unrolled: 1-line block ×3, first 2 shown]
	s_mov_b32 s4, s15
	s_waitcnt lgkmcnt(0)
	s_bitcmp1_b32 s7, 0
	v_mov_b32_e32 v11, s8
	s_cselect_b32 s5, -1, 0
	s_delay_alu instid0(SALU_CYCLE_1)
	s_and_b32 vcc_lo, exec_lo, s5
	s_xor_b32 s5, s5, -1
	s_cbranch_vccz .LBB60_33
; %bb.1:
	v_cndmask_b32_e64 v1, 0, 1, s5
	v_mov_b32_e32 v12, s9
	s_and_not1_b32 vcc_lo, exec_lo, s5
	s_cbranch_vccz .LBB60_34
.LBB60_2:
	s_delay_alu instid0(VALU_DEP_2)
	v_cmp_ne_u32_e32 vcc_lo, 1, v1
	v_mov_b32_e32 v9, s2
	s_cbranch_vccz .LBB60_35
.LBB60_3:
	v_cmp_ne_u32_e32 vcc_lo, 1, v1
	v_mov_b32_e32 v10, s3
	s_cbranch_vccnz .LBB60_5
.LBB60_4:
	v_dual_mov_b32 v1, s2 :: v_dual_mov_b32 v2, s3
	flat_load_b32 v10, v[1:2] offset:4
.LBB60_5:
	s_waitcnt vmcnt(0) lgkmcnt(0)
	v_cmp_eq_f32_e32 vcc_lo, 0, v11
	v_cmp_eq_f32_e64 s2, 0, v12
	s_delay_alu instid0(VALU_DEP_1)
	s_and_b32 s5, vcc_lo, s2
	s_mov_b32 s2, -1
	s_and_saveexec_b32 s3, s5
; %bb.6:
	v_cmp_neq_f32_e32 vcc_lo, 1.0, v9
	v_cmp_neq_f32_e64 s2, 0, v10
	s_delay_alu instid0(VALU_DEP_1) | instskip(NEXT) | instid1(SALU_CYCLE_1)
	s_or_b32 s2, vcc_lo, s2
	s_or_not1_b32 s2, s2, exec_lo
; %bb.7:
	s_or_b32 exec_lo, exec_lo, s3
	s_and_saveexec_b32 s3, s2
	s_cbranch_execz .LBB60_32
; %bb.8:
	s_clause 0x1
	s_load_b32 s8, s[0:1], 0x20
	s_load_b128 s[12:15], s[0:1], 0x10
	s_mov_b32 s9, 0
	v_dual_mov_b32 v4, 0 :: v_dual_mov_b32 v3, 0
	s_waitcnt lgkmcnt(0)
	s_lshl_b64 s[2:3], s[8:9], 3
	s_delay_alu instid0(SALU_CYCLE_1)
	s_add_u32 s2, s14, s2
	s_addc_u32 s3, s15, s3
	s_ashr_i32 s5, s4, 31
	s_load_b64 s[2:3], s[2:3], 0x0
	s_waitcnt lgkmcnt(0)
	s_lshl_b64 s[2:3], s[2:3], 3
	s_delay_alu instid0(SALU_CYCLE_1) | instskip(SKIP_2) | instid1(SALU_CYCLE_1)
	s_add_u32 s7, s12, s2
	s_addc_u32 s8, s13, s3
	s_lshl_b64 s[2:3], s[4:5], 3
	s_add_u32 s2, s7, s2
	s_addc_u32 s3, s8, s3
	s_load_b64 s[2:3], s[2:3], 0x0
	s_load_b64 s[4:5], s[0:1], 0x30
	v_sub_co_u32 v1, s7, v0, s6
	s_delay_alu instid0(VALU_DEP_1) | instskip(SKIP_3) | instid1(SALU_CYCLE_1)
	v_sub_co_ci_u32_e64 v2, null, 0, 0, s7
	s_mov_b32 s7, exec_lo
	s_waitcnt lgkmcnt(0)
	s_lshl_b64 s[2:3], s[2:3], 3
	s_add_u32 s4, s4, s2
	s_addc_u32 s5, s5, s3
	s_load_b128 s[12:15], s[4:5], 0x0
	s_load_b64 s[4:5], s[0:1], 0x58
	s_waitcnt lgkmcnt(0)
	v_add_co_u32 v1, vcc_lo, s12, v1
	v_add_co_ci_u32_e32 v2, vcc_lo, s13, v2, vcc_lo
	s_sub_u32 s10, s14, s6
	s_subb_u32 s11, s15, 0
	s_delay_alu instid0(VALU_DEP_1) | instid1(SALU_CYCLE_1)
	v_cmpx_gt_i64_e64 s[10:11], v[1:2]
	s_cbranch_execz .LBB60_12
; %bb.9:
	s_clause 0x2
	s_load_b128 s[16:19], s[0:1], 0x38
	s_load_b32 s8, s[0:1], 0x0
	s_load_b64 s[12:13], s[0:1], 0x48
	v_lshlrev_b64 v[5:6], 3, v[1:2]
	v_mov_b32_e32 v4, 0
	s_waitcnt lgkmcnt(0)
	s_delay_alu instid0(VALU_DEP_2) | instskip(NEXT) | instid1(VALU_DEP_3)
	v_add_co_u32 v3, vcc_lo, v5, s18
	v_add_co_ci_u32_e32 v8, vcc_lo, s19, v6, vcc_lo
	v_add_co_u32 v5, vcc_lo, s16, v5
	v_add_co_ci_u32_e32 v6, vcc_lo, s17, v6, vcc_lo
	s_delay_alu instid0(VALU_DEP_4) | instskip(NEXT) | instid1(VALU_DEP_4)
	v_add_co_u32 v7, vcc_lo, v3, 4
	v_add_co_ci_u32_e32 v8, vcc_lo, 0, v8, vcc_lo
	v_mov_b32_e32 v3, v4
	s_bitcmp1_b32 s8, 0
	s_cselect_b32 s1, -1, 0
	s_set_inst_prefetch_distance 0x1
	.p2align	6
.LBB60_10:                              ; =>This Inner Loop Header: Depth=1
	global_load_b64 v[13:14], v[5:6], off
	global_load_b64 v[15:16], v[7:8], off offset:-4
	s_waitcnt vmcnt(1)
	v_sub_co_u32 v13, vcc_lo, v13, s6
	v_subrev_co_ci_u32_e32 v14, vcc_lo, 0, v14, vcc_lo
	s_waitcnt vmcnt(0)
	v_cndmask_b32_e64 v16, v16, -v16, s1
	s_delay_alu instid0(VALU_DEP_2) | instskip(NEXT) | instid1(VALU_DEP_2)
	v_lshlrev_b64 v[13:14], 3, v[13:14]
	v_mul_f32_e64 v17, v16, -v12
	s_delay_alu instid0(VALU_DEP_2) | instskip(NEXT) | instid1(VALU_DEP_3)
	v_add_co_u32 v13, vcc_lo, s12, v13
	v_add_co_ci_u32_e32 v14, vcc_lo, s13, v14, vcc_lo
	v_add_co_u32 v1, vcc_lo, 0x100, v1
	v_add_co_ci_u32_e32 v2, vcc_lo, 0, v2, vcc_lo
	global_load_b64 v[13:14], v[13:14], off
	v_fmac_f32_e32 v17, v11, v15
	v_mul_f32_e32 v16, v16, v11
	v_add_co_u32 v7, vcc_lo, 0x800, v7
	v_add_co_ci_u32_e32 v8, vcc_lo, 0, v8, vcc_lo
	v_cmp_le_i64_e64 s0, s[10:11], v[1:2]
	v_add_co_u32 v5, vcc_lo, 0x800, v5
	v_add_co_ci_u32_e32 v6, vcc_lo, 0, v6, vcc_lo
	s_delay_alu instid0(VALU_DEP_3) | instskip(SKIP_2) | instid1(VALU_DEP_1)
	s_or_b32 s9, s0, s9
	s_waitcnt vmcnt(0)
	v_dual_fmac_f32 v3, v17, v13 :: v_dual_fmac_f32 v16, v12, v15
	v_fmac_f32_e32 v4, v16, v13
	s_delay_alu instid0(VALU_DEP_2) | instskip(NEXT) | instid1(VALU_DEP_2)
	v_fma_f32 v3, -v16, v14, v3
	v_fmac_f32_e32 v4, v17, v14
	s_and_not1_b32 exec_lo, exec_lo, s9
	s_cbranch_execnz .LBB60_10
; %bb.11:
	s_set_inst_prefetch_distance 0x2
	s_or_b32 exec_lo, exec_lo, s9
.LBB60_12:
	s_delay_alu instid0(SALU_CYCLE_1)
	s_or_b32 exec_lo, exec_lo, s7
	v_lshlrev_b32_e32 v1, 3, v0
	s_mov_b32 s0, exec_lo
	ds_store_b64 v1, v[3:4]
	s_waitcnt lgkmcnt(0)
	s_barrier
	buffer_gl0_inv
	v_cmpx_gt_u32_e32 0x80, v0
	s_cbranch_execz .LBB60_14
; %bb.13:
	ds_load_2addr_stride64_b64 v[2:5], v1 offset1:2
	s_waitcnt lgkmcnt(0)
	v_dual_add_f32 v2, v4, v2 :: v_dual_add_f32 v3, v5, v3
	ds_store_b64 v1, v[2:3]
.LBB60_14:
	s_or_b32 exec_lo, exec_lo, s0
	s_delay_alu instid0(SALU_CYCLE_1)
	s_mov_b32 s0, exec_lo
	s_waitcnt lgkmcnt(0)
	s_barrier
	buffer_gl0_inv
	v_cmpx_gt_u32_e32 64, v0
	s_cbranch_execz .LBB60_16
; %bb.15:
	ds_load_2addr_stride64_b64 v[2:5], v1 offset1:1
	s_waitcnt lgkmcnt(0)
	v_dual_add_f32 v2, v4, v2 :: v_dual_add_f32 v3, v5, v3
	ds_store_b64 v1, v[2:3]
.LBB60_16:
	s_or_b32 exec_lo, exec_lo, s0
	s_delay_alu instid0(SALU_CYCLE_1)
	s_mov_b32 s0, exec_lo
	s_waitcnt lgkmcnt(0)
	s_barrier
	buffer_gl0_inv
	v_cmpx_gt_u32_e32 32, v0
	s_cbranch_execz .LBB60_18
; %bb.17:
	ds_load_2addr_b64 v[2:5], v1 offset1:32
	s_waitcnt lgkmcnt(0)
	v_dual_add_f32 v2, v4, v2 :: v_dual_add_f32 v3, v5, v3
	ds_store_b64 v1, v[2:3]
.LBB60_18:
	s_or_b32 exec_lo, exec_lo, s0
	s_delay_alu instid0(SALU_CYCLE_1)
	s_mov_b32 s0, exec_lo
	s_waitcnt lgkmcnt(0)
	s_barrier
	buffer_gl0_inv
	v_cmpx_gt_u32_e32 16, v0
	s_cbranch_execz .LBB60_20
; %bb.19:
	ds_load_2addr_b64 v[2:5], v1 offset1:16
	s_waitcnt lgkmcnt(0)
	v_dual_add_f32 v2, v4, v2 :: v_dual_add_f32 v3, v5, v3
	ds_store_b64 v1, v[2:3]
.LBB60_20:
	;; [unrolled: 14-line block ×5, first 2 shown]
	s_or_b32 exec_lo, exec_lo, s0
	v_cmp_eq_u32_e32 vcc_lo, 0, v0
	s_waitcnt lgkmcnt(0)
	s_barrier
	buffer_gl0_inv
	s_and_saveexec_b32 s0, vcc_lo
	s_cbranch_execz .LBB60_28
; %bb.27:
	v_mov_b32_e32 v4, 0
	ds_load_2addr_b64 v[0:3], v4 offset1:1
	s_waitcnt lgkmcnt(0)
	v_dual_add_f32 v1, v3, v1 :: v_dual_add_f32 v0, v2, v0
	ds_store_b64 v4, v[0:1]
.LBB60_28:
	s_or_b32 exec_lo, exec_lo, s0
	s_waitcnt lgkmcnt(0)
	s_barrier
	buffer_gl0_inv
	s_and_b32 exec_lo, exec_lo, vcc_lo
	s_cbranch_execz .LBB60_32
; %bb.29:
	v_mov_b32_e32 v2, 0
	v_cmp_neq_f32_e32 vcc_lo, 0, v9
	v_cmp_neq_f32_e64 s0, 0, v10
	ds_load_b64 v[0:1], v2
	s_or_b32 s1, vcc_lo, s0
	s_delay_alu instid0(SALU_CYCLE_1)
	s_and_saveexec_b32 s0, s1
	s_cbranch_execz .LBB60_31
; %bb.30:
	s_add_u32 s6, s4, s2
	s_addc_u32 s7, s5, s3
	s_load_b64 s[6:7], s[6:7], 0x0
	s_waitcnt lgkmcnt(0)
	v_fma_f32 v0, s6, v9, v0
	v_fmac_f32_e32 v1, s6, v10
	s_delay_alu instid0(VALU_DEP_2) | instskip(NEXT) | instid1(VALU_DEP_2)
	v_fma_f32 v0, -v10, s7, v0
	v_fmac_f32_e32 v1, s7, v9
.LBB60_31:
	s_or_b32 exec_lo, exec_lo, s0
	s_add_u32 s0, s4, s2
	s_addc_u32 s1, s5, s3
	s_waitcnt lgkmcnt(0)
	global_store_b64 v2, v[0:1], s[0:1]
.LBB60_32:
	s_nop 0
	s_sendmsg sendmsg(MSG_DEALLOC_VGPRS)
	s_endpgm
.LBB60_33:
	v_dual_mov_b32 v1, s8 :: v_dual_mov_b32 v2, s9
	flat_load_b32 v11, v[1:2]
	v_cndmask_b32_e64 v1, 0, 1, s5
	v_mov_b32_e32 v12, s9
	s_and_not1_b32 vcc_lo, exec_lo, s5
	s_cbranch_vccnz .LBB60_2
.LBB60_34:
	v_dual_mov_b32 v2, s8 :: v_dual_mov_b32 v3, s9
	flat_load_b32 v12, v[2:3] offset:4
	v_cmp_ne_u32_e32 vcc_lo, 1, v1
	v_mov_b32_e32 v9, s2
	s_cbranch_vccnz .LBB60_3
.LBB60_35:
	v_dual_mov_b32 v2, s2 :: v_dual_mov_b32 v3, s3
	flat_load_b32 v9, v[2:3]
	v_cmp_ne_u32_e32 vcc_lo, 1, v1
	v_mov_b32_e32 v10, s3
	s_cbranch_vccz .LBB60_4
	s_branch .LBB60_5
	.section	.rodata,"a",@progbits
	.p2align	6, 0x0
	.amdhsa_kernel _ZN9rocsparseL29csrmvn_lrb_medium_rows_kernelILj256Ell21rocsparse_complex_numIfES2_S2_S2_EEvbT0_PT1_S5_jNS_24const_host_device_scalarIT5_EEPKS3_PKS4_PKT2_PKT3_S8_PT4_21rocsparse_index_base_b
		.amdhsa_group_segment_fixed_size 2048
		.amdhsa_private_segment_fixed_size 0
		.amdhsa_kernarg_size 104
		.amdhsa_user_sgpr_count 15
		.amdhsa_user_sgpr_dispatch_ptr 0
		.amdhsa_user_sgpr_queue_ptr 0
		.amdhsa_user_sgpr_kernarg_segment_ptr 1
		.amdhsa_user_sgpr_dispatch_id 0
		.amdhsa_user_sgpr_private_segment_size 0
		.amdhsa_wavefront_size32 1
		.amdhsa_uses_dynamic_stack 0
		.amdhsa_enable_private_segment 0
		.amdhsa_system_sgpr_workgroup_id_x 1
		.amdhsa_system_sgpr_workgroup_id_y 0
		.amdhsa_system_sgpr_workgroup_id_z 0
		.amdhsa_system_sgpr_workgroup_info 0
		.amdhsa_system_vgpr_workitem_id 0
		.amdhsa_next_free_vgpr 18
		.amdhsa_next_free_sgpr 20
		.amdhsa_reserve_vcc 1
		.amdhsa_float_round_mode_32 0
		.amdhsa_float_round_mode_16_64 0
		.amdhsa_float_denorm_mode_32 3
		.amdhsa_float_denorm_mode_16_64 3
		.amdhsa_dx10_clamp 1
		.amdhsa_ieee_mode 1
		.amdhsa_fp16_overflow 0
		.amdhsa_workgroup_processor_mode 1
		.amdhsa_memory_ordered 1
		.amdhsa_forward_progress 0
		.amdhsa_shared_vgpr_count 0
		.amdhsa_exception_fp_ieee_invalid_op 0
		.amdhsa_exception_fp_denorm_src 0
		.amdhsa_exception_fp_ieee_div_zero 0
		.amdhsa_exception_fp_ieee_overflow 0
		.amdhsa_exception_fp_ieee_underflow 0
		.amdhsa_exception_fp_ieee_inexact 0
		.amdhsa_exception_int_div_zero 0
	.end_amdhsa_kernel
	.section	.text._ZN9rocsparseL29csrmvn_lrb_medium_rows_kernelILj256Ell21rocsparse_complex_numIfES2_S2_S2_EEvbT0_PT1_S5_jNS_24const_host_device_scalarIT5_EEPKS3_PKS4_PKT2_PKT3_S8_PT4_21rocsparse_index_base_b,"axG",@progbits,_ZN9rocsparseL29csrmvn_lrb_medium_rows_kernelILj256Ell21rocsparse_complex_numIfES2_S2_S2_EEvbT0_PT1_S5_jNS_24const_host_device_scalarIT5_EEPKS3_PKS4_PKT2_PKT3_S8_PT4_21rocsparse_index_base_b,comdat
.Lfunc_end60:
	.size	_ZN9rocsparseL29csrmvn_lrb_medium_rows_kernelILj256Ell21rocsparse_complex_numIfES2_S2_S2_EEvbT0_PT1_S5_jNS_24const_host_device_scalarIT5_EEPKS3_PKS4_PKT2_PKT3_S8_PT4_21rocsparse_index_base_b, .Lfunc_end60-_ZN9rocsparseL29csrmvn_lrb_medium_rows_kernelILj256Ell21rocsparse_complex_numIfES2_S2_S2_EEvbT0_PT1_S5_jNS_24const_host_device_scalarIT5_EEPKS3_PKS4_PKT2_PKT3_S8_PT4_21rocsparse_index_base_b
                                        ; -- End function
	.section	.AMDGPU.csdata,"",@progbits
; Kernel info:
; codeLenInByte = 1492
; NumSgprs: 22
; NumVgprs: 18
; ScratchSize: 0
; MemoryBound: 0
; FloatMode: 240
; IeeeMode: 1
; LDSByteSize: 2048 bytes/workgroup (compile time only)
; SGPRBlocks: 2
; VGPRBlocks: 2
; NumSGPRsForWavesPerEU: 22
; NumVGPRsForWavesPerEU: 18
; Occupancy: 16
; WaveLimiterHint : 1
; COMPUTE_PGM_RSRC2:SCRATCH_EN: 0
; COMPUTE_PGM_RSRC2:USER_SGPR: 15
; COMPUTE_PGM_RSRC2:TRAP_HANDLER: 0
; COMPUTE_PGM_RSRC2:TGID_X_EN: 1
; COMPUTE_PGM_RSRC2:TGID_Y_EN: 0
; COMPUTE_PGM_RSRC2:TGID_Z_EN: 0
; COMPUTE_PGM_RSRC2:TIDIG_COMP_CNT: 0
	.section	.text._ZN9rocsparseL27csrmvn_lrb_long_rows_kernelIll21rocsparse_complex_numIfES2_S2_S2_EEvbT_PjPT0_S6_jNS_24const_host_device_scalarIT4_EEPKS3_PKS5_PKT1_PKT2_S9_PT3_21rocsparse_index_base_b,"axG",@progbits,_ZN9rocsparseL27csrmvn_lrb_long_rows_kernelIll21rocsparse_complex_numIfES2_S2_S2_EEvbT_PjPT0_S6_jNS_24const_host_device_scalarIT4_EEPKS3_PKS5_PKT1_PKT2_S9_PT3_21rocsparse_index_base_b,comdat
	.globl	_ZN9rocsparseL27csrmvn_lrb_long_rows_kernelIll21rocsparse_complex_numIfES2_S2_S2_EEvbT_PjPT0_S6_jNS_24const_host_device_scalarIT4_EEPKS3_PKS5_PKT1_PKT2_S9_PT3_21rocsparse_index_base_b ; -- Begin function _ZN9rocsparseL27csrmvn_lrb_long_rows_kernelIll21rocsparse_complex_numIfES2_S2_S2_EEvbT_PjPT0_S6_jNS_24const_host_device_scalarIT4_EEPKS3_PKS5_PKT1_PKT2_S9_PT3_21rocsparse_index_base_b
	.p2align	8
	.type	_ZN9rocsparseL27csrmvn_lrb_long_rows_kernelIll21rocsparse_complex_numIfES2_S2_S2_EEvbT_PjPT0_S6_jNS_24const_host_device_scalarIT4_EEPKS3_PKS5_PKT1_PKT2_S9_PT3_21rocsparse_index_base_b,@function
_ZN9rocsparseL27csrmvn_lrb_long_rows_kernelIll21rocsparse_complex_numIfES2_S2_S2_EEvbT_PjPT0_S6_jNS_24const_host_device_scalarIT4_EEPKS3_PKS5_PKT1_PKT2_S9_PT3_21rocsparse_index_base_b: ; @_ZN9rocsparseL27csrmvn_lrb_long_rows_kernelIll21rocsparse_complex_numIfES2_S2_S2_EEvbT_PjPT0_S6_jNS_24const_host_device_scalarIT4_EEPKS3_PKS5_PKT1_PKT2_S9_PT3_21rocsparse_index_base_b
; %bb.0:
	s_clause 0x2
	s_load_b64 s[16:17], s[0:1], 0x68
	s_load_b64 s[4:5], s[0:1], 0x30
	;; [unrolled: 1-line block ×3, first 2 shown]
	s_mov_b32 s8, s15
	s_waitcnt lgkmcnt(0)
	s_bitcmp1_b32 s17, 0
	v_mov_b32_e32 v9, s4
	s_cselect_b32 s6, -1, 0
	s_delay_alu instid0(SALU_CYCLE_1)
	s_and_b32 vcc_lo, exec_lo, s6
	s_xor_b32 s6, s6, -1
	s_cbranch_vccz .LBB61_38
; %bb.1:
	v_cndmask_b32_e64 v1, 0, 1, s6
	v_mov_b32_e32 v10, s5
	s_and_not1_b32 vcc_lo, exec_lo, s6
	s_cbranch_vccz .LBB61_39
.LBB61_2:
	s_delay_alu instid0(VALU_DEP_2)
	v_cmp_ne_u32_e32 vcc_lo, 1, v1
	v_mov_b32_e32 v4, s2
	s_cbranch_vccz .LBB61_40
.LBB61_3:
	v_cmp_ne_u32_e32 vcc_lo, 1, v1
	v_mov_b32_e32 v3, s3
	s_cbranch_vccnz .LBB61_5
.LBB61_4:
	v_dual_mov_b32 v1, s2 :: v_dual_mov_b32 v2, s3
	flat_load_b32 v3, v[1:2] offset:4
.LBB61_5:
	s_waitcnt vmcnt(0) lgkmcnt(0)
	v_cmp_eq_f32_e32 vcc_lo, 0, v9
	v_cmp_eq_f32_e64 s2, 0, v10
	s_delay_alu instid0(VALU_DEP_1)
	s_and_b32 s4, vcc_lo, s2
	s_mov_b32 s2, -1
	s_and_saveexec_b32 s3, s4
; %bb.6:
	v_cmp_neq_f32_e32 vcc_lo, 1.0, v4
	v_cmp_neq_f32_e64 s2, 0, v3
	s_delay_alu instid0(VALU_DEP_1) | instskip(NEXT) | instid1(SALU_CYCLE_1)
	s_or_b32 s2, vcc_lo, s2
	s_or_not1_b32 s2, s2, exec_lo
; %bb.7:
	s_or_b32 exec_lo, exec_lo, s3
	s_and_saveexec_b32 s3, s2
	s_cbranch_execz .LBB61_48
; %bb.8:
	s_clause 0x1
	s_load_b32 s2, s[0:1], 0x28
	s_load_b64 s[4:5], s[0:1], 0x20
	s_mov_b32 s3, 0
	v_mov_b32_e32 v2, 0
	s_waitcnt lgkmcnt(0)
	s_lshl_b64 s[6:7], s[2:3], 3
	s_delay_alu instid0(SALU_CYCLE_1) | instskip(SKIP_4) | instid1(SALU_CYCLE_1)
	s_add_u32 s4, s4, s6
	s_addc_u32 s5, s5, s7
	s_lshl_b32 s2, -1, s2
	s_load_b64 s[10:11], s[4:5], 0x0
	s_not_b32 s2, s2
	s_mul_hi_u32 s2, s2, 0x2aaaaaab
	s_delay_alu instid0(SALU_CYCLE_1) | instskip(NEXT) | instid1(SALU_CYCLE_1)
	s_lshr_b32 s2, s2, 7
	s_add_i32 s9, s2, 1
	s_not_b32 s2, s2
	v_cvt_f32_u32_e32 v1, s9
	s_delay_alu instid0(VALU_DEP_1) | instskip(SKIP_2) | instid1(VALU_DEP_1)
	v_rcp_iflag_f32_e32 v1, v1
	s_waitcnt_depctr 0xfff
	v_mul_f32_e32 v1, 0x4f7ffffe, v1
	v_cvt_u32_f32_e32 v1, v1
	s_delay_alu instid0(VALU_DEP_1) | instskip(NEXT) | instid1(VALU_DEP_1)
	v_readfirstlane_b32 s6, v1
	s_mul_i32 s2, s2, s6
	s_delay_alu instid0(SALU_CYCLE_1) | instskip(NEXT) | instid1(SALU_CYCLE_1)
	s_mul_hi_u32 s2, s6, s2
	s_add_i32 s2, s6, s2
	s_load_b128 s[4:7], s[0:1], 0x10
	s_mul_hi_u32 s2, s8, s2
	s_delay_alu instid0(SALU_CYCLE_1) | instskip(SKIP_2) | instid1(SALU_CYCLE_1)
	s_mul_i32 s12, s2, s9
	s_add_i32 s13, s2, 1
	s_sub_i32 s12, s8, s12
	s_sub_i32 s14, s12, s9
	s_cmp_ge_u32 s12, s9
	s_cselect_b32 s2, s13, s2
	s_cselect_b32 s12, s14, s12
	s_add_i32 s13, s2, 1
	s_cmp_ge_u32 s12, s9
	s_cselect_b32 s2, s13, s2
	s_waitcnt lgkmcnt(0)
	s_lshl_b64 s[10:11], s[10:11], 3
	s_mul_i32 s9, s2, s9
	s_delay_alu instid0(SALU_CYCLE_1)
	s_sub_i32 s20, s8, s9
	s_add_u32 s6, s6, s10
	s_addc_u32 s7, s7, s11
	s_lshl_b64 s[2:3], s[2:3], 3
	v_or_b32_e32 v1, s20, v0
	s_add_u32 s2, s6, s2
	s_addc_u32 s3, s7, s3
	s_load_b64 s[2:3], s[2:3], 0x0
	s_load_b64 s[6:7], s[0:1], 0x38
	v_cmp_eq_u32_e32 vcc_lo, 0, v1
	v_mov_b32_e32 v1, 0
	s_waitcnt lgkmcnt(0)
	s_lshl_b64 s[2:3], s[2:3], 3
	s_delay_alu instid0(SALU_CYCLE_1)
	s_add_u32 s10, s6, s2
	s_addc_u32 s11, s7, s3
	s_ashr_i32 s9, s8, 31
	s_sub_u32 s14, s8, s20
	s_subb_u32 s15, s9, 0
	s_lshl_b64 s[8:9], s[8:9], 2
	s_load_b64 s[6:7], s[0:1], 0x60
	s_add_u32 s12, s4, s8
	s_addc_u32 s13, s5, s9
	s_load_b128 s[8:11], s[10:11], 0x0
	s_load_b32 s17, s[12:13], 0x0
	s_and_saveexec_b32 s21, vcc_lo
	s_cbranch_execz .LBB61_12
; %bb.9:
	s_waitcnt lgkmcnt(0)
	s_add_u32 s18, s6, s2
	s_addc_u32 s19, s7, s3
	v_add_f32_e32 v4, -1.0, v4
	s_load_b64 s[18:19], s[18:19], 0x0
	s_mov_b32 s22, exec_lo
	s_waitcnt lgkmcnt(0)
	v_mbcnt_lo_u32_b32 v5, s22, 0
	s_waitcnt vmcnt(0) expcnt(0) lgkmcnt(0)
	v_mul_f32_e64 v1, s19, -v3
	v_mul_f32_e32 v2, s19, v4
	s_mov_b32 s19, exec_lo
	v_cmpx_eq_u32_e32 0, v5
	s_cbranch_execz .LBB61_11
; %bb.10:
	s_lshl_b64 s[24:25], s[14:15], 2
	s_delay_alu instid0(SALU_CYCLE_1) | instskip(SKIP_2) | instid1(SALU_CYCLE_1)
	s_add_u32 s24, s4, s24
	s_addc_u32 s25, s5, s25
	s_bcnt1_i32_b32 s22, s22
	s_and_b32 s22, s22, 1
	s_delay_alu instid0(SALU_CYCLE_1)
	v_dual_mov_b32 v5, 0 :: v_dual_mov_b32 v6, s22
	global_atomic_xor_b32 v5, v6, s[24:25]
.LBB61_11:
	s_or_b32 exec_lo, exec_lo, s19
	v_dual_fmac_f32 v1, s18, v4 :: v_dual_fmac_f32 v2, s18, v3
.LBB61_12:
	s_or_b32 exec_lo, exec_lo, s21
	s_mul_i32 s19, s20, 0x300
	s_waitcnt lgkmcnt(0)
	s_sub_u32 s8, s8, s16
	s_mul_hi_u32 s18, s20, 0x300
	s_subb_u32 s9, s9, 0
	s_add_u32 s19, s8, s19
	s_addc_u32 s18, s9, s18
	s_sub_u32 s8, s10, s16
	s_subb_u32 s9, s11, 0
	s_add_u32 s10, s19, 0x300
	s_addc_u32 s11, s18, 0
	v_add_co_u32 v3, s19, s19, v0
	v_cmp_lt_i64_e64 s21, s[10:11], s[8:9]
	v_add_co_ci_u32_e64 v4, null, s18, 0, s19
	s_delay_alu instid0(VALU_DEP_2)
	s_and_b32 s18, s21, exec_lo
	s_cselect_b32 s9, s11, s9
	s_cselect_b32 s8, s10, s8
	s_mov_b32 s18, exec_lo
	v_cmpx_gt_i64_e64 s[8:9], v[3:4]
	s_cbranch_execz .LBB61_16
; %bb.13:
	s_clause 0x1
	s_load_b128 s[24:27], s[0:1], 0x40
	s_load_b32 s19, s[0:1], 0x0
	v_lshlrev_b64 v[7:8], 3, v[3:4]
	s_load_b64 s[10:11], s[0:1], 0x50
	s_waitcnt lgkmcnt(0)
	s_delay_alu instid0(VALU_DEP_1) | instskip(NEXT) | instid1(VALU_DEP_2)
	v_add_co_u32 v5, vcc_lo, v7, s26
	v_add_co_ci_u32_e32 v6, vcc_lo, s27, v8, vcc_lo
	s_bitcmp1_b32 s19, 0
	s_delay_alu instid0(VALU_DEP_2) | instskip(NEXT) | instid1(VALU_DEP_2)
	v_add_co_u32 v5, vcc_lo, v5, 4
	v_add_co_ci_u32_e32 v6, vcc_lo, 0, v6, vcc_lo
	v_add_co_u32 v7, vcc_lo, s24, v7
	v_add_co_ci_u32_e32 v8, vcc_lo, s25, v8, vcc_lo
	s_cselect_b32 s1, -1, 0
	s_mov_b32 s19, 0
	s_set_inst_prefetch_distance 0x1
	.p2align	6
.LBB61_14:                              ; =>This Inner Loop Header: Depth=1
	global_load_b64 v[11:12], v[7:8], off
	global_load_b64 v[13:14], v[5:6], off offset:-4
	s_waitcnt vmcnt(1)
	v_sub_co_u32 v11, vcc_lo, v11, s16
	v_subrev_co_ci_u32_e32 v12, vcc_lo, 0, v12, vcc_lo
	s_waitcnt vmcnt(0)
	v_cndmask_b32_e64 v14, v14, -v14, s1
	s_delay_alu instid0(VALU_DEP_2) | instskip(NEXT) | instid1(VALU_DEP_2)
	v_lshlrev_b64 v[11:12], 3, v[11:12]
	v_mul_f32_e64 v15, v14, -v10
	s_delay_alu instid0(VALU_DEP_2) | instskip(NEXT) | instid1(VALU_DEP_3)
	v_add_co_u32 v11, vcc_lo, s10, v11
	v_add_co_ci_u32_e32 v12, vcc_lo, s11, v12, vcc_lo
	v_add_co_u32 v3, vcc_lo, 0x100, v3
	v_add_co_ci_u32_e32 v4, vcc_lo, 0, v4, vcc_lo
	global_load_b64 v[11:12], v[11:12], off
	v_fmac_f32_e32 v15, v9, v13
	v_mul_f32_e32 v14, v14, v9
	v_add_co_u32 v5, vcc_lo, 0x800, v5
	v_add_co_ci_u32_e32 v6, vcc_lo, 0, v6, vcc_lo
	v_cmp_le_i64_e64 s0, s[8:9], v[3:4]
	v_add_co_u32 v7, vcc_lo, 0x800, v7
	v_add_co_ci_u32_e32 v8, vcc_lo, 0, v8, vcc_lo
	s_delay_alu instid0(VALU_DEP_3) | instskip(SKIP_2) | instid1(VALU_DEP_1)
	s_or_b32 s19, s0, s19
	s_waitcnt vmcnt(0)
	v_dual_fmac_f32 v1, v15, v11 :: v_dual_fmac_f32 v14, v10, v13
	v_fmac_f32_e32 v2, v14, v11
	s_delay_alu instid0(VALU_DEP_2) | instskip(NEXT) | instid1(VALU_DEP_2)
	v_fma_f32 v1, -v14, v12, v1
	v_fmac_f32_e32 v2, v15, v12
	s_and_not1_b32 exec_lo, exec_lo, s19
	s_cbranch_execnz .LBB61_14
; %bb.15:
	s_set_inst_prefetch_distance 0x2
	s_or_b32 exec_lo, exec_lo, s19
.LBB61_16:
	s_delay_alu instid0(SALU_CYCLE_1)
	s_or_b32 exec_lo, exec_lo, s18
	v_lshlrev_b32_e32 v3, 3, v0
	s_mov_b32 s0, exec_lo
	ds_store_b64 v3, v[1:2]
	s_waitcnt lgkmcnt(0)
	s_waitcnt_vscnt null, 0x0
	s_barrier
	buffer_gl0_inv
	v_cmpx_gt_u32_e32 0x80, v0
	s_cbranch_execz .LBB61_18
; %bb.17:
	ds_load_2addr_stride64_b64 v[4:7], v3 offset1:2
	s_waitcnt lgkmcnt(0)
	v_dual_add_f32 v1, v6, v4 :: v_dual_add_f32 v2, v7, v5
	ds_store_b64 v3, v[1:2]
.LBB61_18:
	s_or_b32 exec_lo, exec_lo, s0
	s_delay_alu instid0(SALU_CYCLE_1)
	s_mov_b32 s0, exec_lo
	s_waitcnt lgkmcnt(0)
	s_barrier
	buffer_gl0_inv
	v_cmpx_gt_u32_e32 64, v0
	s_cbranch_execz .LBB61_20
; %bb.19:
	ds_load_2addr_stride64_b64 v[4:7], v3 offset1:1
	s_waitcnt lgkmcnt(0)
	v_dual_add_f32 v1, v6, v4 :: v_dual_add_f32 v2, v7, v5
	ds_store_b64 v3, v[1:2]
.LBB61_20:
	s_or_b32 exec_lo, exec_lo, s0
	s_delay_alu instid0(SALU_CYCLE_1)
	s_mov_b32 s0, exec_lo
	s_waitcnt lgkmcnt(0)
	s_barrier
	buffer_gl0_inv
	v_cmpx_gt_u32_e32 32, v0
	s_cbranch_execz .LBB61_22
; %bb.21:
	ds_load_2addr_b64 v[4:7], v3 offset1:32
	s_waitcnt lgkmcnt(0)
	v_dual_add_f32 v1, v6, v4 :: v_dual_add_f32 v2, v7, v5
	ds_store_b64 v3, v[1:2]
.LBB61_22:
	s_or_b32 exec_lo, exec_lo, s0
	s_delay_alu instid0(SALU_CYCLE_1)
	s_mov_b32 s0, exec_lo
	s_waitcnt lgkmcnt(0)
	s_barrier
	buffer_gl0_inv
	v_cmpx_gt_u32_e32 16, v0
	s_cbranch_execz .LBB61_24
; %bb.23:
	ds_load_2addr_b64 v[4:7], v3 offset1:16
	s_waitcnt lgkmcnt(0)
	v_dual_add_f32 v1, v6, v4 :: v_dual_add_f32 v2, v7, v5
	ds_store_b64 v3, v[1:2]
.LBB61_24:
	;; [unrolled: 14-line block ×5, first 2 shown]
	s_or_b32 exec_lo, exec_lo, s0
	v_cmp_eq_u32_e32 vcc_lo, 0, v0
	s_waitcnt lgkmcnt(0)
	s_barrier
	buffer_gl0_inv
	s_and_saveexec_b32 s0, vcc_lo
	s_cbranch_execz .LBB61_32
; %bb.31:
	v_mov_b32_e32 v4, 0
	ds_load_2addr_b64 v[0:3], v4 offset1:1
	s_waitcnt lgkmcnt(0)
	v_dual_add_f32 v1, v3, v1 :: v_dual_add_f32 v0, v2, v0
	ds_store_b64 v4, v[0:1]
.LBB61_32:
	s_or_b32 exec_lo, exec_lo, s0
	s_waitcnt lgkmcnt(0)
	s_barrier
	buffer_gl0_inv
	s_and_b32 exec_lo, exec_lo, vcc_lo
	s_cbranch_execz .LBB61_48
; %bb.33:
	s_cmp_eq_u32 s20, 0
	s_cbranch_scc1 .LBB61_42
; %bb.34:
	s_lshl_b64 s[0:1], s[14:15], 2
	v_mov_b32_e32 v0, 0
	s_add_u32 s0, s4, s0
	s_addc_u32 s1, s5, s1
	s_branch .LBB61_36
.LBB61_35:                              ;   in Loop: Header=BB61_36 Depth=1
	s_or_b32 exec_lo, exec_lo, s4
	s_waitcnt vmcnt(0)
	v_readfirstlane_b32 s4, v1
	s_delay_alu instid0(VALU_DEP_1)
	s_cmp_eq_u32 s4, s17
	s_cbranch_scc0 .LBB61_41
.LBB61_36:                              ; =>This Inner Loop Header: Depth=1
	v_mbcnt_lo_u32_b32 v1, exec_lo, 0
	s_delay_alu instid0(VALU_DEP_1)
	v_cmp_eq_u32_e32 vcc_lo, 0, v1
                                        ; implicit-def: $vgpr1
	s_and_saveexec_b32 s4, vcc_lo
	s_cbranch_execz .LBB61_35
; %bb.37:                               ;   in Loop: Header=BB61_36 Depth=1
	global_load_b32 v1, v0, s[0:1] glc
	s_branch .LBB61_35
.LBB61_38:
	v_dual_mov_b32 v1, s4 :: v_dual_mov_b32 v2, s5
	flat_load_b32 v9, v[1:2]
	v_cndmask_b32_e64 v1, 0, 1, s6
	v_mov_b32_e32 v10, s5
	s_and_not1_b32 vcc_lo, exec_lo, s6
	s_cbranch_vccnz .LBB61_2
.LBB61_39:
	v_dual_mov_b32 v2, s4 :: v_dual_mov_b32 v3, s5
	flat_load_b32 v10, v[2:3] offset:4
	v_cmp_ne_u32_e32 vcc_lo, 1, v1
	v_mov_b32_e32 v4, s2
	s_cbranch_vccnz .LBB61_3
.LBB61_40:
	v_dual_mov_b32 v2, s2 :: v_dual_mov_b32 v3, s3
	flat_load_b32 v4, v[2:3]
	v_cmp_ne_u32_e32 vcc_lo, 1, v1
	v_mov_b32_e32 v3, s3
	s_cbranch_vccz .LBB61_4
	s_branch .LBB61_5
.LBB61_41:
	v_mov_b32_e32 v0, 0
	global_load_b32 v1, v0, s[12:13]
	s_waitcnt vmcnt(0)
	v_xor_b32_e32 v1, 1, v1
	global_store_b32 v0, v1, s[12:13]
.LBB61_42:
	v_mov_b32_e32 v4, 0
	s_mov_b32 s4, exec_lo
	s_add_u32 s0, s6, s2
	v_mbcnt_lo_u32_b32 v2, s4, 0
	s_addc_u32 s1, s7, s3
	ds_load_b64 v[0:1], v4
	s_mov_b32 s2, exec_lo
	v_cmpx_eq_u32_e32 0, v2
	s_cbranch_execz .LBB61_45
; %bb.43:
	global_load_b32 v3, v4, s[0:1]
	s_bcnt1_i32_b32 s3, s4
	s_delay_alu instid0(SALU_CYCLE_1) | instskip(SKIP_2) | instid1(VALU_DEP_1)
	v_cvt_f32_ubyte0_e32 v2, s3
	s_mov_b32 s3, 0
	s_waitcnt lgkmcnt(0)
	v_mul_f32_e32 v0, v0, v2
.LBB61_44:                              ; =>This Inner Loop Header: Depth=1
	s_waitcnt vmcnt(0)
	s_delay_alu instid0(VALU_DEP_1)
	v_add_f32_e32 v2, v3, v0
	global_atomic_cmpswap_b32 v2, v4, v[2:3], s[0:1] glc
	s_waitcnt vmcnt(0)
	v_cmp_eq_u32_e32 vcc_lo, v2, v3
	v_mov_b32_e32 v3, v2
	s_or_b32 s3, vcc_lo, s3
	s_delay_alu instid0(SALU_CYCLE_1)
	s_and_not1_b32 exec_lo, exec_lo, s3
	s_cbranch_execnz .LBB61_44
.LBB61_45:
	s_or_b32 exec_lo, exec_lo, s2
	s_delay_alu instid0(SALU_CYCLE_1) | instskip(SKIP_3) | instid1(VALU_DEP_1)
	s_mov_b32 s3, exec_lo
	s_mov_b32 s2, 0
	s_waitcnt lgkmcnt(0)
	v_mbcnt_lo_u32_b32 v0, s3, 0
	v_cmp_eq_u32_e32 vcc_lo, 0, v0
	s_and_b32 s4, exec_lo, vcc_lo
	s_delay_alu instid0(SALU_CYCLE_1)
	s_mov_b32 exec_lo, s4
	s_cbranch_execz .LBB61_48
; %bb.46:
	s_bcnt1_i32_b32 s3, s3
	s_delay_alu instid0(SALU_CYCLE_1) | instskip(NEXT) | instid1(VALU_DEP_1)
	v_cvt_f32_ubyte0_e32 v3, s3
	v_dual_mov_b32 v0, 0 :: v_dual_mul_f32 v3, v1, v3
	global_load_b32 v2, v0, s[0:1] offset:4
.LBB61_47:                              ; =>This Inner Loop Header: Depth=1
	s_waitcnt vmcnt(0)
	v_add_f32_e32 v1, v2, v3
	global_atomic_cmpswap_b32 v1, v0, v[1:2], s[0:1] offset:4 glc
	s_waitcnt vmcnt(0)
	v_cmp_eq_u32_e32 vcc_lo, v1, v2
	v_mov_b32_e32 v2, v1
	s_or_b32 s2, vcc_lo, s2
	s_delay_alu instid0(SALU_CYCLE_1)
	s_and_not1_b32 exec_lo, exec_lo, s2
	s_cbranch_execnz .LBB61_47
.LBB61_48:
	s_nop 0
	s_sendmsg sendmsg(MSG_DEALLOC_VGPRS)
	s_endpgm
	.section	.rodata,"a",@progbits
	.p2align	6, 0x0
	.amdhsa_kernel _ZN9rocsparseL27csrmvn_lrb_long_rows_kernelIll21rocsparse_complex_numIfES2_S2_S2_EEvbT_PjPT0_S6_jNS_24const_host_device_scalarIT4_EEPKS3_PKS5_PKT1_PKT2_S9_PT3_21rocsparse_index_base_b
		.amdhsa_group_segment_fixed_size 2048
		.amdhsa_private_segment_fixed_size 0
		.amdhsa_kernarg_size 112
		.amdhsa_user_sgpr_count 15
		.amdhsa_user_sgpr_dispatch_ptr 0
		.amdhsa_user_sgpr_queue_ptr 0
		.amdhsa_user_sgpr_kernarg_segment_ptr 1
		.amdhsa_user_sgpr_dispatch_id 0
		.amdhsa_user_sgpr_private_segment_size 0
		.amdhsa_wavefront_size32 1
		.amdhsa_uses_dynamic_stack 0
		.amdhsa_enable_private_segment 0
		.amdhsa_system_sgpr_workgroup_id_x 1
		.amdhsa_system_sgpr_workgroup_id_y 0
		.amdhsa_system_sgpr_workgroup_id_z 0
		.amdhsa_system_sgpr_workgroup_info 0
		.amdhsa_system_vgpr_workitem_id 0
		.amdhsa_next_free_vgpr 16
		.amdhsa_next_free_sgpr 28
		.amdhsa_reserve_vcc 1
		.amdhsa_float_round_mode_32 0
		.amdhsa_float_round_mode_16_64 0
		.amdhsa_float_denorm_mode_32 3
		.amdhsa_float_denorm_mode_16_64 3
		.amdhsa_dx10_clamp 1
		.amdhsa_ieee_mode 1
		.amdhsa_fp16_overflow 0
		.amdhsa_workgroup_processor_mode 1
		.amdhsa_memory_ordered 1
		.amdhsa_forward_progress 0
		.amdhsa_shared_vgpr_count 0
		.amdhsa_exception_fp_ieee_invalid_op 0
		.amdhsa_exception_fp_denorm_src 0
		.amdhsa_exception_fp_ieee_div_zero 0
		.amdhsa_exception_fp_ieee_overflow 0
		.amdhsa_exception_fp_ieee_underflow 0
		.amdhsa_exception_fp_ieee_inexact 0
		.amdhsa_exception_int_div_zero 0
	.end_amdhsa_kernel
	.section	.text._ZN9rocsparseL27csrmvn_lrb_long_rows_kernelIll21rocsparse_complex_numIfES2_S2_S2_EEvbT_PjPT0_S6_jNS_24const_host_device_scalarIT4_EEPKS3_PKS5_PKT1_PKT2_S9_PT3_21rocsparse_index_base_b,"axG",@progbits,_ZN9rocsparseL27csrmvn_lrb_long_rows_kernelIll21rocsparse_complex_numIfES2_S2_S2_EEvbT_PjPT0_S6_jNS_24const_host_device_scalarIT4_EEPKS3_PKS5_PKT1_PKT2_S9_PT3_21rocsparse_index_base_b,comdat
.Lfunc_end61:
	.size	_ZN9rocsparseL27csrmvn_lrb_long_rows_kernelIll21rocsparse_complex_numIfES2_S2_S2_EEvbT_PjPT0_S6_jNS_24const_host_device_scalarIT4_EEPKS3_PKS5_PKT1_PKT2_S9_PT3_21rocsparse_index_base_b, .Lfunc_end61-_ZN9rocsparseL27csrmvn_lrb_long_rows_kernelIll21rocsparse_complex_numIfES2_S2_S2_EEvbT_PjPT0_S6_jNS_24const_host_device_scalarIT4_EEPKS3_PKS5_PKT1_PKT2_S9_PT3_21rocsparse_index_base_b
                                        ; -- End function
	.section	.AMDGPU.csdata,"",@progbits
; Kernel info:
; codeLenInByte = 2112
; NumSgprs: 30
; NumVgprs: 16
; ScratchSize: 0
; MemoryBound: 0
; FloatMode: 240
; IeeeMode: 1
; LDSByteSize: 2048 bytes/workgroup (compile time only)
; SGPRBlocks: 3
; VGPRBlocks: 1
; NumSGPRsForWavesPerEU: 30
; NumVGPRsForWavesPerEU: 16
; Occupancy: 16
; WaveLimiterHint : 1
; COMPUTE_PGM_RSRC2:SCRATCH_EN: 0
; COMPUTE_PGM_RSRC2:USER_SGPR: 15
; COMPUTE_PGM_RSRC2:TRAP_HANDLER: 0
; COMPUTE_PGM_RSRC2:TGID_X_EN: 1
; COMPUTE_PGM_RSRC2:TGID_Y_EN: 0
; COMPUTE_PGM_RSRC2:TGID_Z_EN: 0
; COMPUTE_PGM_RSRC2:TIDIG_COMP_CNT: 0
	.section	.text._ZN9rocsparseL28csrmvn_lrb_short_rows_kernelIii21rocsparse_complex_numIdES2_S2_S2_EEvbT_PT0_S5_jNS_24const_host_device_scalarIT4_EEPKS3_PKS4_PKT1_PKT2_S8_PT3_21rocsparse_index_base_b,"axG",@progbits,_ZN9rocsparseL28csrmvn_lrb_short_rows_kernelIii21rocsparse_complex_numIdES2_S2_S2_EEvbT_PT0_S5_jNS_24const_host_device_scalarIT4_EEPKS3_PKS4_PKT1_PKT2_S8_PT3_21rocsparse_index_base_b,comdat
	.globl	_ZN9rocsparseL28csrmvn_lrb_short_rows_kernelIii21rocsparse_complex_numIdES2_S2_S2_EEvbT_PT0_S5_jNS_24const_host_device_scalarIT4_EEPKS3_PKS4_PKT1_PKT2_S8_PT3_21rocsparse_index_base_b ; -- Begin function _ZN9rocsparseL28csrmvn_lrb_short_rows_kernelIii21rocsparse_complex_numIdES2_S2_S2_EEvbT_PT0_S5_jNS_24const_host_device_scalarIT4_EEPKS3_PKS4_PKT1_PKT2_S8_PT3_21rocsparse_index_base_b
	.p2align	8
	.type	_ZN9rocsparseL28csrmvn_lrb_short_rows_kernelIii21rocsparse_complex_numIdES2_S2_S2_EEvbT_PT0_S5_jNS_24const_host_device_scalarIT4_EEPKS3_PKS4_PKT1_PKT2_S8_PT3_21rocsparse_index_base_b,@function
_ZN9rocsparseL28csrmvn_lrb_short_rows_kernelIii21rocsparse_complex_numIdES2_S2_S2_EEvbT_PT0_S5_jNS_24const_host_device_scalarIT4_EEPKS3_PKS4_PKT1_PKT2_S8_PT3_21rocsparse_index_base_b: ; @_ZN9rocsparseL28csrmvn_lrb_short_rows_kernelIii21rocsparse_complex_numIdES2_S2_S2_EEvbT_PT0_S5_jNS_24const_host_device_scalarIT4_EEPKS3_PKS4_PKT1_PKT2_S8_PT3_21rocsparse_index_base_b
; %bb.0:
	s_clause 0x2
	s_load_b64 s[12:13], s[0:1], 0x68
	s_load_b128 s[8:11], s[0:1], 0x20
	s_load_b128 s[4:7], s[0:1], 0x50
	s_mov_b64 s[2:3], src_private_base
	v_mov_b32_e32 v1, 0
	s_waitcnt lgkmcnt(0)
	s_bitcmp1_b32 s13, 0
	v_dual_mov_b32 v3, s8 :: v_dual_mov_b32 v6, s5
	s_cselect_b32 s2, -1, 0
	v_mov_b32_e32 v4, s9
	s_and_b32 vcc_lo, s2, exec_lo
	s_cselect_b32 s13, s3, s9
	v_cndmask_b32_e64 v1, s8, v1, s2
	v_dual_mov_b32 v5, s4 :: v_dual_mov_b32 v2, s13
	s_clause 0x1
	scratch_store_b64 off, v[3:4], off
	scratch_store_b64 off, v[5:6], off offset:8
	v_dual_mov_b32 v8, s10 :: v_dual_mov_b32 v9, s11
	flat_load_b64 v[1:2], v[1:2]
	s_xor_b32 s10, s2, -1
	s_cbranch_vccnz .LBB62_2
; %bb.1:
	v_dual_mov_b32 v3, s8 :: v_dual_mov_b32 v4, s9
	flat_load_b64 v[8:9], v[3:4] offset:8
.LBB62_2:
	s_and_b32 s8, s2, exec_lo
	s_cselect_b32 s3, s3, s5
	s_delay_alu instid0(SALU_CYCLE_1) | instskip(SKIP_2) | instid1(VALU_DEP_2)
	v_dual_mov_b32 v3, 8 :: v_dual_mov_b32 v4, s3
	v_dual_mov_b32 v6, s6 :: v_dual_mov_b32 v7, s7
	s_and_not1_b32 vcc_lo, exec_lo, s10
	v_cndmask_b32_e64 v3, s4, v3, s2
	flat_load_b64 v[4:5], v[3:4]
	s_cbranch_vccnz .LBB62_4
; %bb.3:
	v_dual_mov_b32 v7, s5 :: v_dual_mov_b32 v6, s4
	flat_load_b64 v[6:7], v[6:7] offset:8
.LBB62_4:
	s_waitcnt vmcnt(1) lgkmcnt(1)
	v_cmp_eq_f64_e32 vcc_lo, 0, v[1:2]
	v_cmp_eq_f64_e64 s2, 0, v[8:9]
	s_delay_alu instid0(VALU_DEP_1)
	s_and_b32 s4, vcc_lo, s2
	s_mov_b32 s2, -1
	s_and_saveexec_b32 s3, s4
	s_cbranch_execz .LBB62_6
; %bb.5:
	s_waitcnt vmcnt(0) lgkmcnt(0)
	v_cmp_neq_f64_e32 vcc_lo, 1.0, v[4:5]
	v_cmp_neq_f64_e64 s2, 0, v[6:7]
	s_delay_alu instid0(VALU_DEP_1) | instskip(NEXT) | instid1(SALU_CYCLE_1)
	s_or_b32 s2, vcc_lo, s2
	s_or_not1_b32 s2, s2, exec_lo
.LBB62_6:
	s_or_b32 exec_lo, exec_lo, s3
	s_and_saveexec_b32 s3, s2
	s_cbranch_execz .LBB62_20
; %bb.7:
	s_clause 0x1
	s_load_b32 s20, s[0:1], 0x18
	s_load_b128 s[16:19], s[0:1], 0x8
	s_mov_b32 s21, 0
	s_delay_alu instid0(SALU_CYCLE_1) | instskip(SKIP_2) | instid1(SALU_CYCLE_1)
	s_mov_b32 s5, s21
	s_waitcnt lgkmcnt(0)
	s_lshl_b64 s[2:3], s[20:21], 2
	s_add_u32 s2, s18, s2
	s_addc_u32 s3, s19, s3
	s_add_i32 s4, s20, 1
	s_delay_alu instid0(SALU_CYCLE_1) | instskip(NEXT) | instid1(SALU_CYCLE_1)
	s_lshl_b64 s[4:5], s[4:5], 2
	s_add_u32 s4, s18, s4
	s_addc_u32 s5, s19, s5
	s_clause 0x1
	s_load_b32 s3, s[2:3], 0x0
	s_load_b32 s2, s[4:5], 0x0
	s_lshl_b32 s13, s15, 8
	s_delay_alu instid0(SALU_CYCLE_1) | instskip(SKIP_2) | instid1(SALU_CYCLE_1)
	s_add_i32 s4, s13, 0x100
	s_waitcnt lgkmcnt(0)
	s_sub_i32 s2, s2, s3
	s_min_u32 s14, s2, s4
	s_cmp_gt_u32 s20, 23
	s_cbranch_scc1 .LBB62_14
; %bb.8:
	s_clause 0x1
	s_load_b32 s2, s[0:1], 0x0
	s_load_b256 s[4:11], s[0:1], 0x30
	v_bfe_u32 v3, v0, 0, s20
	s_lshl_b32 s15, 0x100, s20
	v_lshl_add_u32 v19, v0, 4, 0
	v_mov_b32_e32 v11, 0
	s_delay_alu instid0(VALU_DEP_3)
	v_subrev_nc_u32_e32 v18, s12, v3
	s_waitcnt lgkmcnt(0)
	s_bitcmp1_b32 s2, 0
	s_cselect_b32 vcc_lo, -1, 0
	s_branch .LBB62_11
.LBB62_9:                               ;   in Loop: Header=BB62_11 Depth=1
	s_or_b32 exec_lo, exec_lo, s19
	ds_store_2addr_b64 v19, v[12:13], v[14:15] offset1:1
.LBB62_10:                              ;   in Loop: Header=BB62_11 Depth=1
	s_or_b32 exec_lo, exec_lo, s18
	v_add_nc_u32_e32 v19, 0x1000, v19
	s_addk_i32 s21, 0x100
	s_delay_alu instid0(SALU_CYCLE_1)
	s_cmp_ge_u32 s21, s15
	s_cbranch_scc1 .LBB62_14
.LBB62_11:                              ; =>This Inner Loop Header: Depth=1
	v_add_nc_u32_e32 v10, s21, v0
	s_mov_b32 s18, exec_lo
	s_delay_alu instid0(VALU_DEP_1) | instskip(NEXT) | instid1(VALU_DEP_1)
	v_lshrrev_b32_e32 v10, s20, v10
	v_add_nc_u32_e32 v10, s13, v10
	s_delay_alu instid0(VALU_DEP_1)
	v_cmpx_gt_u32_e64 s14, v10
	s_cbranch_execz .LBB62_10
; %bb.12:                               ;   in Loop: Header=BB62_11 Depth=1
	v_add_nc_u32_e32 v10, s3, v10
	s_mov_b32 s19, exec_lo
	s_delay_alu instid0(VALU_DEP_1) | instskip(NEXT) | instid1(VALU_DEP_1)
	v_lshlrev_b64 v[12:13], 2, v[10:11]
	v_add_co_u32 v12, s2, s16, v12
	s_delay_alu instid0(VALU_DEP_1) | instskip(SKIP_3) | instid1(VALU_DEP_1)
	v_add_co_ci_u32_e64 v13, s2, s17, v13, s2
	global_load_b32 v12, v[12:13], off
	s_waitcnt vmcnt(0)
	v_ashrrev_i32_e32 v13, 31, v12
	v_lshlrev_b64 v[12:13], 2, v[12:13]
	s_delay_alu instid0(VALU_DEP_1) | instskip(NEXT) | instid1(VALU_DEP_1)
	v_add_co_u32 v12, s2, s4, v12
	v_add_co_ci_u32_e64 v13, s2, s5, v13, s2
	global_load_b64 v[16:17], v[12:13], off
	v_mov_b32_e32 v12, 0
	v_mov_b32_e32 v13, 0
	s_delay_alu instid0(VALU_DEP_1) | instskip(SKIP_2) | instid1(VALU_DEP_1)
	v_dual_mov_b32 v15, v13 :: v_dual_mov_b32 v14, v12
	s_waitcnt vmcnt(0)
	v_sub_nc_u32_e32 v10, v17, v16
	v_cmpx_lt_u32_e64 v3, v10
	s_cbranch_execz .LBB62_9
; %bb.13:                               ;   in Loop: Header=BB62_11 Depth=1
	v_add_nc_u32_e32 v10, v18, v16
	s_delay_alu instid0(VALU_DEP_1) | instskip(NEXT) | instid1(VALU_DEP_1)
	v_lshlrev_b64 v[12:13], 2, v[10:11]
	v_add_co_u32 v12, s2, s6, v12
	s_delay_alu instid0(VALU_DEP_1) | instskip(SKIP_2) | instid1(VALU_DEP_1)
	v_add_co_ci_u32_e64 v13, s2, s7, v13, s2
	global_load_b32 v16, v[12:13], off
	v_lshlrev_b64 v[12:13], 4, v[10:11]
	v_add_co_u32 v12, s2, s8, v12
	s_delay_alu instid0(VALU_DEP_1) | instskip(SKIP_3) | instid1(VALU_DEP_1)
	v_add_co_ci_u32_e64 v13, s2, s9, v13, s2
	global_load_b128 v[12:15], v[12:13], off
	s_waitcnt vmcnt(1)
	v_subrev_nc_u32_e32 v16, s12, v16
	v_ashrrev_i32_e32 v17, 31, v16
	s_delay_alu instid0(VALU_DEP_1) | instskip(SKIP_2) | instid1(VALU_DEP_2)
	v_lshlrev_b64 v[16:17], 4, v[16:17]
	s_waitcnt vmcnt(0)
	v_xor_b32_e32 v10, 0x80000000, v15
	v_add_co_u32 v16, s2, s10, v16
	s_delay_alu instid0(VALU_DEP_1) | instskip(NEXT) | instid1(VALU_DEP_3)
	v_add_co_ci_u32_e64 v17, s2, s11, v17, s2
	v_cndmask_b32_e32 v15, v15, v10, vcc_lo
	global_load_b128 v[20:23], v[16:17], off
	v_mul_f64 v[16:17], v[1:2], v[14:15]
	v_mul_f64 v[14:15], v[14:15], -v[8:9]
	s_delay_alu instid0(VALU_DEP_2) | instskip(NEXT) | instid1(VALU_DEP_2)
	v_fma_f64 v[16:17], v[8:9], v[12:13], v[16:17]
	v_fma_f64 v[12:13], v[1:2], v[12:13], v[14:15]
	s_waitcnt vmcnt(0)
	s_delay_alu instid0(VALU_DEP_2) | instskip(NEXT) | instid1(VALU_DEP_2)
	v_mul_f64 v[14:15], v[22:23], -v[16:17]
	v_mul_f64 v[22:23], v[12:13], v[22:23]
	s_delay_alu instid0(VALU_DEP_2) | instskip(NEXT) | instid1(VALU_DEP_2)
	v_fma_f64 v[12:13], v[12:13], v[20:21], v[14:15]
	v_fma_f64 v[14:15], v[16:17], v[20:21], v[22:23]
	s_branch .LBB62_9
.LBB62_14:
	s_sub_i32 s2, s14, s13
	s_waitcnt vmcnt(0) lgkmcnt(0)
	s_waitcnt_vscnt null, 0x0
	v_cmp_gt_u32_e32 vcc_lo, s2, v0
	s_barrier
	buffer_gl0_inv
	s_and_b32 exec_lo, exec_lo, vcc_lo
	s_cbranch_execz .LBB62_20
; %bb.15:
	v_add3_u32 v1, s3, s13, v0
	v_mov_b32_e32 v2, 0
	s_load_b64 s[2:3], s[0:1], 0x60
	v_lshlrev_b32_e32 v0, s20, v0
	s_mov_b32 s0, 1
	s_delay_alu instid0(VALU_DEP_2) | instskip(NEXT) | instid1(VALU_DEP_1)
	v_lshlrev_b64 v[1:2], 2, v[1:2]
	v_add_co_u32 v1, vcc_lo, s16, v1
	s_delay_alu instid0(VALU_DEP_2) | instskip(SKIP_4) | instid1(VALU_DEP_2)
	v_add_co_ci_u32_e32 v2, vcc_lo, s17, v2, vcc_lo
	global_load_b32 v8, v[1:2], off
	v_mov_b32_e32 v2, 0
	v_mov_b32_e32 v3, 0
	v_lshl_add_u32 v9, v0, 4, 0
	v_dual_mov_b32 v0, v2 :: v_dual_mov_b32 v1, v3
.LBB62_16:                              ; =>This Inner Loop Header: Depth=1
	ds_load_2addr_b64 v[10:13], v9 offset1:1
	v_add_nc_u32_e32 v9, 16, v9
	s_lshr_b32 s1, s0, s20
	s_add_i32 s0, s0, 1
	s_cmp_lg_u32 s1, 0
	s_waitcnt lgkmcnt(0)
	v_add_f64 v[0:1], v[0:1], v[10:11]
	v_add_f64 v[2:3], v[2:3], v[12:13]
	s_cbranch_scc0 .LBB62_16
; %bb.17:
	v_cmp_neq_f64_e32 vcc_lo, 0, v[4:5]
	v_cmp_neq_f64_e64 s0, 0, v[6:7]
	s_waitcnt vmcnt(0)
	v_ashrrev_i32_e32 v9, 31, v8
	s_delay_alu instid0(VALU_DEP_1) | instskip(NEXT) | instid1(VALU_DEP_3)
	v_lshlrev_b64 v[8:9], 4, v[8:9]
	s_or_b32 s1, vcc_lo, s0
	s_delay_alu instid0(SALU_CYCLE_1)
	s_and_saveexec_b32 s0, s1
	s_cbranch_execz .LBB62_19
; %bb.18:
	s_delay_alu instid0(VALU_DEP_1) | instskip(NEXT) | instid1(VALU_DEP_2)
	v_add_co_u32 v10, vcc_lo, s2, v8
	v_add_co_ci_u32_e32 v11, vcc_lo, s3, v9, vcc_lo
	global_load_b128 v[10:13], v[10:11], off
	s_waitcnt vmcnt(0)
	v_fma_f64 v[0:1], v[4:5], v[10:11], v[0:1]
	v_fma_f64 v[2:3], v[6:7], v[10:11], v[2:3]
	s_delay_alu instid0(VALU_DEP_2) | instskip(NEXT) | instid1(VALU_DEP_2)
	v_fma_f64 v[0:1], -v[6:7], v[12:13], v[0:1]
	v_fma_f64 v[2:3], v[4:5], v[12:13], v[2:3]
.LBB62_19:
	s_or_b32 exec_lo, exec_lo, s0
	s_delay_alu instid0(VALU_DEP_1)
	v_add_co_u32 v4, vcc_lo, s2, v8
	v_add_co_ci_u32_e32 v5, vcc_lo, s3, v9, vcc_lo
	global_store_b128 v[4:5], v[0:3], off
.LBB62_20:
	s_endpgm
	.section	.rodata,"a",@progbits
	.p2align	6, 0x0
	.amdhsa_kernel _ZN9rocsparseL28csrmvn_lrb_short_rows_kernelIii21rocsparse_complex_numIdES2_S2_S2_EEvbT_PT0_S5_jNS_24const_host_device_scalarIT4_EEPKS3_PKS4_PKT1_PKT2_S8_PT3_21rocsparse_index_base_b
		.amdhsa_group_segment_fixed_size 0
		.amdhsa_private_segment_fixed_size 24
		.amdhsa_kernarg_size 112
		.amdhsa_user_sgpr_count 15
		.amdhsa_user_sgpr_dispatch_ptr 0
		.amdhsa_user_sgpr_queue_ptr 0
		.amdhsa_user_sgpr_kernarg_segment_ptr 1
		.amdhsa_user_sgpr_dispatch_id 0
		.amdhsa_user_sgpr_private_segment_size 0
		.amdhsa_wavefront_size32 1
		.amdhsa_uses_dynamic_stack 0
		.amdhsa_enable_private_segment 1
		.amdhsa_system_sgpr_workgroup_id_x 1
		.amdhsa_system_sgpr_workgroup_id_y 0
		.amdhsa_system_sgpr_workgroup_id_z 0
		.amdhsa_system_sgpr_workgroup_info 0
		.amdhsa_system_vgpr_workitem_id 0
		.amdhsa_next_free_vgpr 24
		.amdhsa_next_free_sgpr 22
		.amdhsa_reserve_vcc 1
		.amdhsa_float_round_mode_32 0
		.amdhsa_float_round_mode_16_64 0
		.amdhsa_float_denorm_mode_32 3
		.amdhsa_float_denorm_mode_16_64 3
		.amdhsa_dx10_clamp 1
		.amdhsa_ieee_mode 1
		.amdhsa_fp16_overflow 0
		.amdhsa_workgroup_processor_mode 1
		.amdhsa_memory_ordered 1
		.amdhsa_forward_progress 0
		.amdhsa_shared_vgpr_count 0
		.amdhsa_exception_fp_ieee_invalid_op 0
		.amdhsa_exception_fp_denorm_src 0
		.amdhsa_exception_fp_ieee_div_zero 0
		.amdhsa_exception_fp_ieee_overflow 0
		.amdhsa_exception_fp_ieee_underflow 0
		.amdhsa_exception_fp_ieee_inexact 0
		.amdhsa_exception_int_div_zero 0
	.end_amdhsa_kernel
	.section	.text._ZN9rocsparseL28csrmvn_lrb_short_rows_kernelIii21rocsparse_complex_numIdES2_S2_S2_EEvbT_PT0_S5_jNS_24const_host_device_scalarIT4_EEPKS3_PKS4_PKT1_PKT2_S8_PT3_21rocsparse_index_base_b,"axG",@progbits,_ZN9rocsparseL28csrmvn_lrb_short_rows_kernelIii21rocsparse_complex_numIdES2_S2_S2_EEvbT_PT0_S5_jNS_24const_host_device_scalarIT4_EEPKS3_PKS4_PKT1_PKT2_S8_PT3_21rocsparse_index_base_b,comdat
.Lfunc_end62:
	.size	_ZN9rocsparseL28csrmvn_lrb_short_rows_kernelIii21rocsparse_complex_numIdES2_S2_S2_EEvbT_PT0_S5_jNS_24const_host_device_scalarIT4_EEPKS3_PKS4_PKT1_PKT2_S8_PT3_21rocsparse_index_base_b, .Lfunc_end62-_ZN9rocsparseL28csrmvn_lrb_short_rows_kernelIii21rocsparse_complex_numIdES2_S2_S2_EEvbT_PT0_S5_jNS_24const_host_device_scalarIT4_EEPKS3_PKS4_PKT1_PKT2_S8_PT3_21rocsparse_index_base_b
                                        ; -- End function
	.section	.AMDGPU.csdata,"",@progbits
; Kernel info:
; codeLenInByte = 1240
; NumSgprs: 24
; NumVgprs: 24
; ScratchSize: 24
; MemoryBound: 0
; FloatMode: 240
; IeeeMode: 1
; LDSByteSize: 0 bytes/workgroup (compile time only)
; SGPRBlocks: 2
; VGPRBlocks: 2
; NumSGPRsForWavesPerEU: 24
; NumVGPRsForWavesPerEU: 24
; Occupancy: 16
; WaveLimiterHint : 1
; COMPUTE_PGM_RSRC2:SCRATCH_EN: 1
; COMPUTE_PGM_RSRC2:USER_SGPR: 15
; COMPUTE_PGM_RSRC2:TRAP_HANDLER: 0
; COMPUTE_PGM_RSRC2:TGID_X_EN: 1
; COMPUTE_PGM_RSRC2:TGID_Y_EN: 0
; COMPUTE_PGM_RSRC2:TGID_Z_EN: 0
; COMPUTE_PGM_RSRC2:TIDIG_COMP_CNT: 0
	.section	.text._ZN9rocsparseL30csrmvn_lrb_short_rows_2_kernelIii21rocsparse_complex_numIdES2_S2_S2_EEvbT_PT0_S5_jNS_24const_host_device_scalarIT4_EEPKS3_PKS4_PKT1_PKT2_S8_PT3_21rocsparse_index_base_b,"axG",@progbits,_ZN9rocsparseL30csrmvn_lrb_short_rows_2_kernelIii21rocsparse_complex_numIdES2_S2_S2_EEvbT_PT0_S5_jNS_24const_host_device_scalarIT4_EEPKS3_PKS4_PKT1_PKT2_S8_PT3_21rocsparse_index_base_b,comdat
	.globl	_ZN9rocsparseL30csrmvn_lrb_short_rows_2_kernelIii21rocsparse_complex_numIdES2_S2_S2_EEvbT_PT0_S5_jNS_24const_host_device_scalarIT4_EEPKS3_PKS4_PKT1_PKT2_S8_PT3_21rocsparse_index_base_b ; -- Begin function _ZN9rocsparseL30csrmvn_lrb_short_rows_2_kernelIii21rocsparse_complex_numIdES2_S2_S2_EEvbT_PT0_S5_jNS_24const_host_device_scalarIT4_EEPKS3_PKS4_PKT1_PKT2_S8_PT3_21rocsparse_index_base_b
	.p2align	8
	.type	_ZN9rocsparseL30csrmvn_lrb_short_rows_2_kernelIii21rocsparse_complex_numIdES2_S2_S2_EEvbT_PT0_S5_jNS_24const_host_device_scalarIT4_EEPKS3_PKS4_PKT1_PKT2_S8_PT3_21rocsparse_index_base_b,@function
_ZN9rocsparseL30csrmvn_lrb_short_rows_2_kernelIii21rocsparse_complex_numIdES2_S2_S2_EEvbT_PT0_S5_jNS_24const_host_device_scalarIT4_EEPKS3_PKS4_PKT1_PKT2_S8_PT3_21rocsparse_index_base_b: ; @_ZN9rocsparseL30csrmvn_lrb_short_rows_2_kernelIii21rocsparse_complex_numIdES2_S2_S2_EEvbT_PT0_S5_jNS_24const_host_device_scalarIT4_EEPKS3_PKS4_PKT1_PKT2_S8_PT3_21rocsparse_index_base_b
; %bb.0:
	s_clause 0x2
	s_load_b64 s[20:21], s[0:1], 0x68
	s_load_b128 s[8:11], s[0:1], 0x20
	s_load_b128 s[4:7], s[0:1], 0x50
	s_mov_b64 s[2:3], src_private_base
	v_mov_b32_e32 v1, 0
	s_waitcnt lgkmcnt(0)
	s_bitcmp1_b32 s21, 0
	v_dual_mov_b32 v3, s8 :: v_dual_mov_b32 v6, s5
	s_cselect_b32 s2, -1, 0
	v_mov_b32_e32 v4, s9
	s_and_b32 vcc_lo, s2, exec_lo
	s_cselect_b32 s12, s3, s9
	v_cndmask_b32_e64 v1, s8, v1, s2
	v_dual_mov_b32 v5, s4 :: v_dual_mov_b32 v2, s12
	s_clause 0x1
	scratch_store_b64 off, v[3:4], off
	scratch_store_b64 off, v[5:6], off offset:8
	v_dual_mov_b32 v12, s11 :: v_dual_mov_b32 v11, s10
	flat_load_b64 v[9:10], v[1:2]
	s_xor_b32 s10, s2, -1
	s_cbranch_vccnz .LBB63_2
; %bb.1:
	v_dual_mov_b32 v1, s8 :: v_dual_mov_b32 v2, s9
	flat_load_b64 v[11:12], v[1:2] offset:8
.LBB63_2:
	s_and_b32 s8, s2, exec_lo
	s_cselect_b32 s3, s3, s5
	s_delay_alu instid0(SALU_CYCLE_1) | instskip(SKIP_2) | instid1(VALU_DEP_2)
	v_dual_mov_b32 v1, 8 :: v_dual_mov_b32 v2, s3
	v_dual_mov_b32 v8, s7 :: v_dual_mov_b32 v7, s6
	s_and_not1_b32 vcc_lo, exec_lo, s10
	v_cndmask_b32_e64 v1, s4, v1, s2
	flat_load_b64 v[5:6], v[1:2]
	s_cbranch_vccnz .LBB63_4
; %bb.3:
	v_dual_mov_b32 v1, s4 :: v_dual_mov_b32 v2, s5
	flat_load_b64 v[7:8], v[1:2] offset:8
.LBB63_4:
	s_waitcnt vmcnt(1) lgkmcnt(1)
	v_cmp_eq_f64_e32 vcc_lo, 0, v[9:10]
	v_cmp_eq_f64_e64 s2, 0, v[11:12]
	s_delay_alu instid0(VALU_DEP_1)
	s_and_b32 s4, vcc_lo, s2
	s_mov_b32 s2, -1
	s_and_saveexec_b32 s3, s4
	s_cbranch_execz .LBB63_6
; %bb.5:
	s_waitcnt vmcnt(0) lgkmcnt(0)
	v_cmp_neq_f64_e32 vcc_lo, 1.0, v[5:6]
	v_cmp_neq_f64_e64 s2, 0, v[7:8]
	s_delay_alu instid0(VALU_DEP_1) | instskip(NEXT) | instid1(SALU_CYCLE_1)
	s_or_b32 s2, vcc_lo, s2
	s_or_not1_b32 s2, s2, exec_lo
.LBB63_6:
	s_or_b32 exec_lo, exec_lo, s3
	s_and_saveexec_b32 s3, s2
	s_cbranch_execz .LBB63_32
; %bb.7:
	s_clause 0x2
	s_load_b32 s2, s[0:1], 0x18
	s_load_b32 s3, s[0:1], 0x0
	s_load_b128 s[16:19], s[0:1], 0x8
	s_waitcnt lgkmcnt(0)
	v_lshrrev_b32_e32 v1, s2, v0
	s_bitcmp1_b32 s3, 0
	s_mov_b32 s3, 0
	s_cselect_b32 vcc_lo, -1, 0
	s_lshl_b64 s[4:5], s[2:3], 2
	s_mov_b32 s7, s3
	s_add_u32 s4, s18, s4
	s_addc_u32 s5, s19, s5
	s_add_i32 s6, s2, 1
	v_bfe_u32 v18, v0, 0, s2
	s_lshl_b64 s[6:7], s[6:7], 2
	s_delay_alu instid0(SALU_CYCLE_1)
	s_add_u32 s6, s18, s6
	s_addc_u32 s7, s19, s7
	s_clause 0x1
	s_load_b32 s3, s[4:5], 0x0
	s_load_b32 s18, s[6:7], 0x0
	s_clause 0x1
	s_load_b64 s[12:13], s[0:1], 0x60
	s_load_b256 s[4:11], s[0:1], 0x30
	s_lshr_b32 s1, 0x400, s2
	v_subrev_nc_u32_e32 v17, s20, v18
	s_mul_i32 s14, s1, s15
	s_delay_alu instid0(SALU_CYCLE_1)
	v_add_nc_u32_e32 v1, s14, v1
	s_add_i32 s15, s14, s1
	s_waitcnt lgkmcnt(0)
	s_sub_i32 s0, s18, s3
	s_mov_b32 s18, exec_lo
	s_min_u32 s15, s0, s15
	s_delay_alu instid0(SALU_CYCLE_1)
	v_cmpx_gt_u32_e64 s15, v1
	s_cbranch_execz .LBB63_11
; %bb.8:
	v_dual_mov_b32 v14, 0 :: v_dual_add_nc_u32 v13, s3, v1
	s_delay_alu instid0(VALU_DEP_1) | instskip(NEXT) | instid1(VALU_DEP_1)
	v_lshlrev_b64 v[1:2], 2, v[13:14]
	v_add_co_u32 v1, s0, s16, v1
	s_delay_alu instid0(VALU_DEP_1) | instskip(SKIP_3) | instid1(VALU_DEP_1)
	v_add_co_ci_u32_e64 v2, s0, s17, v2, s0
	global_load_b32 v1, v[1:2], off
	s_waitcnt vmcnt(0)
	v_ashrrev_i32_e32 v2, 31, v1
	v_lshlrev_b64 v[1:2], 2, v[1:2]
	s_delay_alu instid0(VALU_DEP_1) | instskip(NEXT) | instid1(VALU_DEP_1)
	v_add_co_u32 v1, s0, s4, v1
	v_add_co_ci_u32_e64 v2, s0, s5, v2, s0
	global_load_b64 v[15:16], v[1:2], off
	v_mov_b32_e32 v1, 0
	v_mov_b32_e32 v2, 0
	s_waitcnt vmcnt(0)
	v_sub_nc_u32_e32 v3, v16, v15
	s_delay_alu instid0(VALU_DEP_1) | instskip(NEXT) | instid1(VALU_DEP_3)
	v_cmp_lt_u32_e64 s0, v18, v3
	v_dual_mov_b32 v4, v2 :: v_dual_mov_b32 v3, v1
	s_delay_alu instid0(VALU_DEP_2)
	s_and_saveexec_b32 s19, s0
	s_cbranch_execz .LBB63_10
; %bb.9:
	v_add_nc_u32_e32 v13, v15, v17
	s_delay_alu instid0(VALU_DEP_1) | instskip(NEXT) | instid1(VALU_DEP_1)
	v_lshlrev_b64 v[1:2], 2, v[13:14]
	v_add_co_u32 v1, s0, s6, v1
	s_delay_alu instid0(VALU_DEP_1) | instskip(SKIP_2) | instid1(VALU_DEP_1)
	v_add_co_ci_u32_e64 v2, s0, s7, v2, s0
	global_load_b32 v15, v[1:2], off
	v_lshlrev_b64 v[1:2], 4, v[13:14]
	v_add_co_u32 v1, s0, s8, v1
	s_delay_alu instid0(VALU_DEP_1) | instskip(SKIP_3) | instid1(VALU_DEP_1)
	v_add_co_ci_u32_e64 v2, s0, s9, v2, s0
	global_load_b128 v[1:4], v[1:2], off
	s_waitcnt vmcnt(1)
	v_subrev_nc_u32_e32 v13, s20, v15
	v_ashrrev_i32_e32 v14, 31, v13
	s_delay_alu instid0(VALU_DEP_1) | instskip(SKIP_2) | instid1(VALU_DEP_2)
	v_lshlrev_b64 v[13:14], 4, v[13:14]
	s_waitcnt vmcnt(0)
	v_xor_b32_e32 v19, 0x80000000, v4
	v_add_co_u32 v13, s0, s10, v13
	s_delay_alu instid0(VALU_DEP_1) | instskip(NEXT) | instid1(VALU_DEP_3)
	v_add_co_ci_u32_e64 v14, s0, s11, v14, s0
	v_cndmask_b32_e32 v4, v4, v19, vcc_lo
	global_load_b128 v[13:16], v[13:14], off
	v_mul_f64 v[19:20], v[9:10], v[3:4]
	v_mul_f64 v[3:4], v[3:4], -v[11:12]
	s_delay_alu instid0(VALU_DEP_2) | instskip(NEXT) | instid1(VALU_DEP_2)
	v_fma_f64 v[19:20], v[11:12], v[1:2], v[19:20]
	v_fma_f64 v[1:2], v[9:10], v[1:2], v[3:4]
	s_waitcnt vmcnt(0)
	s_delay_alu instid0(VALU_DEP_2) | instskip(NEXT) | instid1(VALU_DEP_2)
	v_mul_f64 v[3:4], v[15:16], -v[19:20]
	v_mul_f64 v[15:16], v[1:2], v[15:16]
	s_delay_alu instid0(VALU_DEP_2) | instskip(NEXT) | instid1(VALU_DEP_2)
	v_fma_f64 v[1:2], v[1:2], v[13:14], v[3:4]
	v_fma_f64 v[3:4], v[19:20], v[13:14], v[15:16]
.LBB63_10:
	s_or_b32 exec_lo, exec_lo, s19
	v_lshlrev_b32_e32 v13, 4, v0
	ds_store_b128 v13, v[1:4]
.LBB63_11:
	s_or_b32 exec_lo, exec_lo, s18
	v_or_b32_e32 v1, 0x100, v0
	s_mov_b32 s18, exec_lo
	s_delay_alu instid0(VALU_DEP_1) | instskip(NEXT) | instid1(VALU_DEP_1)
	v_lshrrev_b32_e32 v1, s2, v1
	v_add_nc_u32_e32 v1, s14, v1
	s_delay_alu instid0(VALU_DEP_1)
	v_cmpx_gt_u32_e64 s15, v1
	s_cbranch_execz .LBB63_15
; %bb.12:
	v_dual_mov_b32 v14, 0 :: v_dual_add_nc_u32 v13, s3, v1
	s_delay_alu instid0(VALU_DEP_1) | instskip(NEXT) | instid1(VALU_DEP_1)
	v_lshlrev_b64 v[1:2], 2, v[13:14]
	v_add_co_u32 v1, s0, s16, v1
	s_delay_alu instid0(VALU_DEP_1) | instskip(SKIP_3) | instid1(VALU_DEP_1)
	v_add_co_ci_u32_e64 v2, s0, s17, v2, s0
	global_load_b32 v1, v[1:2], off
	s_waitcnt vmcnt(0)
	v_ashrrev_i32_e32 v2, 31, v1
	v_lshlrev_b64 v[1:2], 2, v[1:2]
	s_delay_alu instid0(VALU_DEP_1) | instskip(NEXT) | instid1(VALU_DEP_1)
	v_add_co_u32 v1, s0, s4, v1
	v_add_co_ci_u32_e64 v2, s0, s5, v2, s0
	global_load_b64 v[15:16], v[1:2], off
	v_mov_b32_e32 v1, 0
	v_mov_b32_e32 v2, 0
	s_waitcnt vmcnt(0)
	v_sub_nc_u32_e32 v3, v16, v15
	s_delay_alu instid0(VALU_DEP_1) | instskip(NEXT) | instid1(VALU_DEP_3)
	v_cmp_lt_u32_e64 s0, v18, v3
	v_dual_mov_b32 v4, v2 :: v_dual_mov_b32 v3, v1
	s_delay_alu instid0(VALU_DEP_2)
	s_and_saveexec_b32 s19, s0
	s_cbranch_execz .LBB63_14
; %bb.13:
	v_add_nc_u32_e32 v13, v15, v17
	s_delay_alu instid0(VALU_DEP_1) | instskip(NEXT) | instid1(VALU_DEP_1)
	v_lshlrev_b64 v[1:2], 2, v[13:14]
	v_add_co_u32 v1, s0, s6, v1
	s_delay_alu instid0(VALU_DEP_1) | instskip(SKIP_2) | instid1(VALU_DEP_1)
	v_add_co_ci_u32_e64 v2, s0, s7, v2, s0
	global_load_b32 v15, v[1:2], off
	v_lshlrev_b64 v[1:2], 4, v[13:14]
	v_add_co_u32 v1, s0, s8, v1
	s_delay_alu instid0(VALU_DEP_1) | instskip(SKIP_3) | instid1(VALU_DEP_1)
	v_add_co_ci_u32_e64 v2, s0, s9, v2, s0
	global_load_b128 v[1:4], v[1:2], off
	s_waitcnt vmcnt(1)
	v_subrev_nc_u32_e32 v13, s20, v15
	v_ashrrev_i32_e32 v14, 31, v13
	s_delay_alu instid0(VALU_DEP_1) | instskip(SKIP_2) | instid1(VALU_DEP_2)
	v_lshlrev_b64 v[13:14], 4, v[13:14]
	s_waitcnt vmcnt(0)
	v_xor_b32_e32 v19, 0x80000000, v4
	v_add_co_u32 v13, s0, s10, v13
	s_delay_alu instid0(VALU_DEP_1) | instskip(NEXT) | instid1(VALU_DEP_3)
	v_add_co_ci_u32_e64 v14, s0, s11, v14, s0
	v_cndmask_b32_e32 v4, v4, v19, vcc_lo
	global_load_b128 v[13:16], v[13:14], off
	v_mul_f64 v[19:20], v[9:10], v[3:4]
	v_mul_f64 v[3:4], v[3:4], -v[11:12]
	s_delay_alu instid0(VALU_DEP_2) | instskip(NEXT) | instid1(VALU_DEP_2)
	v_fma_f64 v[19:20], v[11:12], v[1:2], v[19:20]
	v_fma_f64 v[1:2], v[9:10], v[1:2], v[3:4]
	s_waitcnt vmcnt(0)
	s_delay_alu instid0(VALU_DEP_2) | instskip(NEXT) | instid1(VALU_DEP_2)
	v_mul_f64 v[3:4], v[15:16], -v[19:20]
	v_mul_f64 v[15:16], v[1:2], v[15:16]
	s_delay_alu instid0(VALU_DEP_2) | instskip(NEXT) | instid1(VALU_DEP_2)
	v_fma_f64 v[1:2], v[1:2], v[13:14], v[3:4]
	v_fma_f64 v[3:4], v[19:20], v[13:14], v[15:16]
.LBB63_14:
	s_or_b32 exec_lo, exec_lo, s19
	v_lshlrev_b32_e32 v13, 4, v0
	ds_store_b128 v13, v[1:4] offset:4096
.LBB63_15:
	s_or_b32 exec_lo, exec_lo, s18
	v_or_b32_e32 v1, 0x200, v0
	s_mov_b32 s18, exec_lo
	s_delay_alu instid0(VALU_DEP_1) | instskip(NEXT) | instid1(VALU_DEP_1)
	v_lshrrev_b32_e32 v1, s2, v1
	v_add_nc_u32_e32 v1, s14, v1
	s_delay_alu instid0(VALU_DEP_1)
	v_cmpx_gt_u32_e64 s15, v1
	s_cbranch_execz .LBB63_19
; %bb.16:
	v_dual_mov_b32 v14, 0 :: v_dual_add_nc_u32 v13, s3, v1
	s_delay_alu instid0(VALU_DEP_1) | instskip(NEXT) | instid1(VALU_DEP_1)
	v_lshlrev_b64 v[1:2], 2, v[13:14]
	v_add_co_u32 v1, s0, s16, v1
	s_delay_alu instid0(VALU_DEP_1) | instskip(SKIP_3) | instid1(VALU_DEP_1)
	v_add_co_ci_u32_e64 v2, s0, s17, v2, s0
	global_load_b32 v1, v[1:2], off
	s_waitcnt vmcnt(0)
	v_ashrrev_i32_e32 v2, 31, v1
	v_lshlrev_b64 v[1:2], 2, v[1:2]
	s_delay_alu instid0(VALU_DEP_1) | instskip(NEXT) | instid1(VALU_DEP_1)
	v_add_co_u32 v1, s0, s4, v1
	v_add_co_ci_u32_e64 v2, s0, s5, v2, s0
	global_load_b64 v[15:16], v[1:2], off
	v_mov_b32_e32 v1, 0
	v_mov_b32_e32 v2, 0
	s_waitcnt vmcnt(0)
	v_sub_nc_u32_e32 v3, v16, v15
	s_delay_alu instid0(VALU_DEP_1) | instskip(NEXT) | instid1(VALU_DEP_3)
	v_cmp_lt_u32_e64 s0, v18, v3
	v_dual_mov_b32 v4, v2 :: v_dual_mov_b32 v3, v1
	s_delay_alu instid0(VALU_DEP_2)
	s_and_saveexec_b32 s19, s0
	s_cbranch_execz .LBB63_18
; %bb.17:
	v_add_nc_u32_e32 v13, v15, v17
	s_delay_alu instid0(VALU_DEP_1) | instskip(NEXT) | instid1(VALU_DEP_1)
	v_lshlrev_b64 v[1:2], 2, v[13:14]
	v_add_co_u32 v1, s0, s6, v1
	s_delay_alu instid0(VALU_DEP_1) | instskip(SKIP_2) | instid1(VALU_DEP_1)
	v_add_co_ci_u32_e64 v2, s0, s7, v2, s0
	global_load_b32 v15, v[1:2], off
	v_lshlrev_b64 v[1:2], 4, v[13:14]
	v_add_co_u32 v1, s0, s8, v1
	s_delay_alu instid0(VALU_DEP_1) | instskip(SKIP_3) | instid1(VALU_DEP_1)
	v_add_co_ci_u32_e64 v2, s0, s9, v2, s0
	global_load_b128 v[1:4], v[1:2], off
	s_waitcnt vmcnt(1)
	v_subrev_nc_u32_e32 v13, s20, v15
	v_ashrrev_i32_e32 v14, 31, v13
	s_delay_alu instid0(VALU_DEP_1) | instskip(SKIP_2) | instid1(VALU_DEP_2)
	v_lshlrev_b64 v[13:14], 4, v[13:14]
	s_waitcnt vmcnt(0)
	v_xor_b32_e32 v19, 0x80000000, v4
	v_add_co_u32 v13, s0, s10, v13
	s_delay_alu instid0(VALU_DEP_1) | instskip(NEXT) | instid1(VALU_DEP_3)
	v_add_co_ci_u32_e64 v14, s0, s11, v14, s0
	v_cndmask_b32_e32 v4, v4, v19, vcc_lo
	global_load_b128 v[13:16], v[13:14], off
	v_mul_f64 v[19:20], v[9:10], v[3:4]
	v_mul_f64 v[3:4], v[3:4], -v[11:12]
	s_delay_alu instid0(VALU_DEP_2) | instskip(NEXT) | instid1(VALU_DEP_2)
	v_fma_f64 v[19:20], v[11:12], v[1:2], v[19:20]
	v_fma_f64 v[1:2], v[9:10], v[1:2], v[3:4]
	s_waitcnt vmcnt(0)
	s_delay_alu instid0(VALU_DEP_2) | instskip(NEXT) | instid1(VALU_DEP_2)
	v_mul_f64 v[3:4], v[15:16], -v[19:20]
	v_mul_f64 v[15:16], v[1:2], v[15:16]
	s_delay_alu instid0(VALU_DEP_2) | instskip(NEXT) | instid1(VALU_DEP_2)
	v_fma_f64 v[1:2], v[1:2], v[13:14], v[3:4]
	v_fma_f64 v[3:4], v[19:20], v[13:14], v[15:16]
.LBB63_18:
	s_or_b32 exec_lo, exec_lo, s19
	v_lshlrev_b32_e32 v13, 4, v0
	ds_store_b128 v13, v[1:4] offset:8192
.LBB63_19:
	s_or_b32 exec_lo, exec_lo, s18
	v_or_b32_e32 v1, 0x300, v0
	s_mov_b32 s18, exec_lo
	s_delay_alu instid0(VALU_DEP_1) | instskip(NEXT) | instid1(VALU_DEP_1)
	v_lshrrev_b32_e32 v1, s2, v1
	v_add_nc_u32_e32 v1, s14, v1
	s_delay_alu instid0(VALU_DEP_1)
	v_cmpx_gt_u32_e64 s15, v1
	s_cbranch_execz .LBB63_23
; %bb.20:
	v_dual_mov_b32 v14, 0 :: v_dual_add_nc_u32 v13, s3, v1
	s_delay_alu instid0(VALU_DEP_1) | instskip(NEXT) | instid1(VALU_DEP_1)
	v_lshlrev_b64 v[1:2], 2, v[13:14]
	v_add_co_u32 v1, s0, s16, v1
	s_delay_alu instid0(VALU_DEP_1) | instskip(SKIP_3) | instid1(VALU_DEP_1)
	v_add_co_ci_u32_e64 v2, s0, s17, v2, s0
	global_load_b32 v1, v[1:2], off
	s_waitcnt vmcnt(0)
	v_ashrrev_i32_e32 v2, 31, v1
	v_lshlrev_b64 v[1:2], 2, v[1:2]
	s_delay_alu instid0(VALU_DEP_1) | instskip(NEXT) | instid1(VALU_DEP_1)
	v_add_co_u32 v1, s0, s4, v1
	v_add_co_ci_u32_e64 v2, s0, s5, v2, s0
	global_load_b64 v[15:16], v[1:2], off
	v_mov_b32_e32 v1, 0
	v_mov_b32_e32 v2, 0
	s_waitcnt vmcnt(0)
	v_sub_nc_u32_e32 v3, v16, v15
	s_delay_alu instid0(VALU_DEP_1) | instskip(NEXT) | instid1(VALU_DEP_3)
	v_cmp_lt_u32_e64 s0, v18, v3
	v_dual_mov_b32 v4, v2 :: v_dual_mov_b32 v3, v1
	s_delay_alu instid0(VALU_DEP_2)
	s_and_saveexec_b32 s4, s0
	s_cbranch_execz .LBB63_22
; %bb.21:
	v_add_nc_u32_e32 v13, v15, v17
	s_delay_alu instid0(VALU_DEP_1) | instskip(NEXT) | instid1(VALU_DEP_1)
	v_lshlrev_b64 v[1:2], 2, v[13:14]
	v_add_co_u32 v1, s0, s6, v1
	s_delay_alu instid0(VALU_DEP_1) | instskip(SKIP_2) | instid1(VALU_DEP_1)
	v_add_co_ci_u32_e64 v2, s0, s7, v2, s0
	global_load_b32 v15, v[1:2], off
	v_lshlrev_b64 v[1:2], 4, v[13:14]
	v_add_co_u32 v1, s0, s8, v1
	s_delay_alu instid0(VALU_DEP_1) | instskip(SKIP_3) | instid1(VALU_DEP_1)
	v_add_co_ci_u32_e64 v2, s0, s9, v2, s0
	global_load_b128 v[1:4], v[1:2], off
	s_waitcnt vmcnt(1)
	v_subrev_nc_u32_e32 v13, s20, v15
	v_ashrrev_i32_e32 v14, 31, v13
	s_delay_alu instid0(VALU_DEP_1) | instskip(SKIP_2) | instid1(VALU_DEP_2)
	v_lshlrev_b64 v[13:14], 4, v[13:14]
	s_waitcnt vmcnt(0)
	v_xor_b32_e32 v17, 0x80000000, v4
	v_add_co_u32 v13, s0, s10, v13
	s_delay_alu instid0(VALU_DEP_1) | instskip(NEXT) | instid1(VALU_DEP_3)
	v_add_co_ci_u32_e64 v14, s0, s11, v14, s0
	v_cndmask_b32_e32 v4, v4, v17, vcc_lo
	global_load_b128 v[13:16], v[13:14], off
	v_mul_f64 v[17:18], v[9:10], v[3:4]
	v_mul_f64 v[3:4], v[3:4], -v[11:12]
	s_delay_alu instid0(VALU_DEP_2) | instskip(NEXT) | instid1(VALU_DEP_2)
	v_fma_f64 v[11:12], v[11:12], v[1:2], v[17:18]
	v_fma_f64 v[1:2], v[9:10], v[1:2], v[3:4]
	s_waitcnt vmcnt(0)
	s_delay_alu instid0(VALU_DEP_2) | instskip(NEXT) | instid1(VALU_DEP_2)
	v_mul_f64 v[3:4], v[15:16], -v[11:12]
	v_mul_f64 v[9:10], v[1:2], v[15:16]
	s_delay_alu instid0(VALU_DEP_2) | instskip(NEXT) | instid1(VALU_DEP_2)
	v_fma_f64 v[1:2], v[1:2], v[13:14], v[3:4]
	v_fma_f64 v[3:4], v[11:12], v[13:14], v[9:10]
.LBB63_22:
	s_or_b32 exec_lo, exec_lo, s4
	v_lshlrev_b32_e32 v9, 4, v0
	ds_store_b128 v9, v[1:4] offset:12288
.LBB63_23:
	s_or_b32 exec_lo, exec_lo, s18
	s_cmp_lt_u32 s2, 11
	s_waitcnt vmcnt(0) lgkmcnt(0)
	s_waitcnt_vscnt null, 0x0
	s_barrier
	buffer_gl0_inv
	s_cbranch_scc0 .LBB63_32
; %bb.24:
	v_cmp_neq_f64_e32 vcc_lo, 0, v[5:6]
	v_cmp_neq_f64_e64 s0, 0, v[7:8]
	v_mov_b32_e32 v10, 0
	s_sub_i32 s4, s15, s14
	s_add_i32 s3, s3, s14
	s_mov_b32 s5, 0
	s_delay_alu instid0(VALU_DEP_2)
	s_or_b32 s0, vcc_lo, s0
	s_branch .LBB63_27
.LBB63_25:                              ;   in Loop: Header=BB63_27 Depth=1
	s_or_b32 exec_lo, exec_lo, s7
	s_delay_alu instid0(VALU_DEP_1) | instskip(NEXT) | instid1(VALU_DEP_2)
	v_add_co_u32 v11, vcc_lo, s12, v11
	v_add_co_ci_u32_e32 v12, vcc_lo, s13, v12, vcc_lo
	global_store_b128 v[11:12], v[1:4], off
.LBB63_26:                              ;   in Loop: Header=BB63_27 Depth=1
	s_or_b32 exec_lo, exec_lo, s6
	s_addk_i32 s5, 0x100
	s_delay_alu instid0(SALU_CYCLE_1)
	s_cmp_lt_u32 s5, s1
	s_cbranch_scc0 .LBB63_32
.LBB63_27:                              ; =>This Loop Header: Depth=1
                                        ;     Child Loop BB63_29 Depth 2
	v_add_nc_u32_e32 v1, s5, v0
	s_mov_b32 s6, exec_lo
	s_delay_alu instid0(VALU_DEP_1)
	v_cmpx_gt_u32_e64 s4, v1
	s_cbranch_execz .LBB63_26
; %bb.28:                               ;   in Loop: Header=BB63_27 Depth=1
	v_add_nc_u32_e32 v9, s3, v1
	s_mov_b32 s7, 1
	s_delay_alu instid0(VALU_DEP_1) | instskip(NEXT) | instid1(VALU_DEP_1)
	v_lshlrev_b64 v[2:3], 2, v[9:10]
	v_add_co_u32 v2, vcc_lo, s16, v2
	s_delay_alu instid0(VALU_DEP_2) | instskip(SKIP_3) | instid1(VALU_DEP_1)
	v_add_co_ci_u32_e32 v3, vcc_lo, s17, v3, vcc_lo
	global_load_b32 v11, v[2:3], off
	v_mov_b32_e32 v3, 0
	v_dual_mov_b32 v4, 0 :: v_dual_lshlrev_b32 v1, s2, v1
	v_lshlrev_b32_e32 v9, 4, v1
	s_delay_alu instid0(VALU_DEP_2)
	v_dual_mov_b32 v1, v3 :: v_dual_mov_b32 v2, v4
.LBB63_29:                              ;   Parent Loop BB63_27 Depth=1
                                        ; =>  This Inner Loop Header: Depth=2
	ds_load_b128 v[12:15], v9
	v_add_nc_u32_e32 v9, 16, v9
	s_lshr_b32 s8, s7, s2
	s_add_i32 s7, s7, 1
	s_cmp_lg_u32 s8, 0
	s_waitcnt lgkmcnt(0)
	v_add_f64 v[1:2], v[1:2], v[12:13]
	v_add_f64 v[3:4], v[3:4], v[14:15]
	s_cbranch_scc0 .LBB63_29
; %bb.30:                               ;   in Loop: Header=BB63_27 Depth=1
	s_waitcnt vmcnt(0)
	v_ashrrev_i32_e32 v12, 31, v11
	s_delay_alu instid0(VALU_DEP_1)
	v_lshlrev_b64 v[11:12], 4, v[11:12]
	s_and_saveexec_b32 s7, s0
	s_cbranch_execz .LBB63_25
; %bb.31:                               ;   in Loop: Header=BB63_27 Depth=1
	s_delay_alu instid0(VALU_DEP_1) | instskip(NEXT) | instid1(VALU_DEP_2)
	v_add_co_u32 v13, vcc_lo, s12, v11
	v_add_co_ci_u32_e32 v14, vcc_lo, s13, v12, vcc_lo
	global_load_b128 v[13:16], v[13:14], off
	s_waitcnt vmcnt(0)
	v_fma_f64 v[1:2], v[5:6], v[13:14], v[1:2]
	v_fma_f64 v[3:4], v[7:8], v[13:14], v[3:4]
	s_delay_alu instid0(VALU_DEP_2) | instskip(NEXT) | instid1(VALU_DEP_2)
	v_fma_f64 v[1:2], -v[7:8], v[15:16], v[1:2]
	v_fma_f64 v[3:4], v[5:6], v[15:16], v[3:4]
	s_branch .LBB63_25
.LBB63_32:
	s_endpgm
	.section	.rodata,"a",@progbits
	.p2align	6, 0x0
	.amdhsa_kernel _ZN9rocsparseL30csrmvn_lrb_short_rows_2_kernelIii21rocsparse_complex_numIdES2_S2_S2_EEvbT_PT0_S5_jNS_24const_host_device_scalarIT4_EEPKS3_PKS4_PKT1_PKT2_S8_PT3_21rocsparse_index_base_b
		.amdhsa_group_segment_fixed_size 16384
		.amdhsa_private_segment_fixed_size 24
		.amdhsa_kernarg_size 112
		.amdhsa_user_sgpr_count 15
		.amdhsa_user_sgpr_dispatch_ptr 0
		.amdhsa_user_sgpr_queue_ptr 0
		.amdhsa_user_sgpr_kernarg_segment_ptr 1
		.amdhsa_user_sgpr_dispatch_id 0
		.amdhsa_user_sgpr_private_segment_size 0
		.amdhsa_wavefront_size32 1
		.amdhsa_uses_dynamic_stack 0
		.amdhsa_enable_private_segment 1
		.amdhsa_system_sgpr_workgroup_id_x 1
		.amdhsa_system_sgpr_workgroup_id_y 0
		.amdhsa_system_sgpr_workgroup_id_z 0
		.amdhsa_system_sgpr_workgroup_info 0
		.amdhsa_system_vgpr_workitem_id 0
		.amdhsa_next_free_vgpr 21
		.amdhsa_next_free_sgpr 22
		.amdhsa_reserve_vcc 1
		.amdhsa_float_round_mode_32 0
		.amdhsa_float_round_mode_16_64 0
		.amdhsa_float_denorm_mode_32 3
		.amdhsa_float_denorm_mode_16_64 3
		.amdhsa_dx10_clamp 1
		.amdhsa_ieee_mode 1
		.amdhsa_fp16_overflow 0
		.amdhsa_workgroup_processor_mode 1
		.amdhsa_memory_ordered 1
		.amdhsa_forward_progress 0
		.amdhsa_shared_vgpr_count 0
		.amdhsa_exception_fp_ieee_invalid_op 0
		.amdhsa_exception_fp_denorm_src 0
		.amdhsa_exception_fp_ieee_div_zero 0
		.amdhsa_exception_fp_ieee_overflow 0
		.amdhsa_exception_fp_ieee_underflow 0
		.amdhsa_exception_fp_ieee_inexact 0
		.amdhsa_exception_int_div_zero 0
	.end_amdhsa_kernel
	.section	.text._ZN9rocsparseL30csrmvn_lrb_short_rows_2_kernelIii21rocsparse_complex_numIdES2_S2_S2_EEvbT_PT0_S5_jNS_24const_host_device_scalarIT4_EEPKS3_PKS4_PKT1_PKT2_S8_PT3_21rocsparse_index_base_b,"axG",@progbits,_ZN9rocsparseL30csrmvn_lrb_short_rows_2_kernelIii21rocsparse_complex_numIdES2_S2_S2_EEvbT_PT0_S5_jNS_24const_host_device_scalarIT4_EEPKS3_PKS4_PKT1_PKT2_S8_PT3_21rocsparse_index_base_b,comdat
.Lfunc_end63:
	.size	_ZN9rocsparseL30csrmvn_lrb_short_rows_2_kernelIii21rocsparse_complex_numIdES2_S2_S2_EEvbT_PT0_S5_jNS_24const_host_device_scalarIT4_EEPKS3_PKS4_PKT1_PKT2_S8_PT3_21rocsparse_index_base_b, .Lfunc_end63-_ZN9rocsparseL30csrmvn_lrb_short_rows_2_kernelIii21rocsparse_complex_numIdES2_S2_S2_EEvbT_PT0_S5_jNS_24const_host_device_scalarIT4_EEPKS3_PKS4_PKT1_PKT2_S8_PT3_21rocsparse_index_base_b
                                        ; -- End function
	.section	.AMDGPU.csdata,"",@progbits
; Kernel info:
; codeLenInByte = 2512
; NumSgprs: 24
; NumVgprs: 21
; ScratchSize: 24
; MemoryBound: 0
; FloatMode: 240
; IeeeMode: 1
; LDSByteSize: 16384 bytes/workgroup (compile time only)
; SGPRBlocks: 2
; VGPRBlocks: 2
; NumSGPRsForWavesPerEU: 24
; NumVGPRsForWavesPerEU: 21
; Occupancy: 16
; WaveLimiterHint : 1
; COMPUTE_PGM_RSRC2:SCRATCH_EN: 1
; COMPUTE_PGM_RSRC2:USER_SGPR: 15
; COMPUTE_PGM_RSRC2:TRAP_HANDLER: 0
; COMPUTE_PGM_RSRC2:TGID_X_EN: 1
; COMPUTE_PGM_RSRC2:TGID_Y_EN: 0
; COMPUTE_PGM_RSRC2:TGID_Z_EN: 0
; COMPUTE_PGM_RSRC2:TIDIG_COMP_CNT: 0
	.section	.text._ZN9rocsparseL41csrmvn_lrb_medium_rows_warp_reduce_kernelILj256ELj32Eii21rocsparse_complex_numIdES2_S2_S2_EEvbT1_lPT2_S5_jNS_24const_host_device_scalarIT6_EEPKS3_PKS4_PKT3_PKT4_S8_PT5_21rocsparse_index_base_b,"axG",@progbits,_ZN9rocsparseL41csrmvn_lrb_medium_rows_warp_reduce_kernelILj256ELj32Eii21rocsparse_complex_numIdES2_S2_S2_EEvbT1_lPT2_S5_jNS_24const_host_device_scalarIT6_EEPKS3_PKS4_PKT3_PKT4_S8_PT5_21rocsparse_index_base_b,comdat
	.globl	_ZN9rocsparseL41csrmvn_lrb_medium_rows_warp_reduce_kernelILj256ELj32Eii21rocsparse_complex_numIdES2_S2_S2_EEvbT1_lPT2_S5_jNS_24const_host_device_scalarIT6_EEPKS3_PKS4_PKT3_PKT4_S8_PT5_21rocsparse_index_base_b ; -- Begin function _ZN9rocsparseL41csrmvn_lrb_medium_rows_warp_reduce_kernelILj256ELj32Eii21rocsparse_complex_numIdES2_S2_S2_EEvbT1_lPT2_S5_jNS_24const_host_device_scalarIT6_EEPKS3_PKS4_PKT3_PKT4_S8_PT5_21rocsparse_index_base_b
	.p2align	8
	.type	_ZN9rocsparseL41csrmvn_lrb_medium_rows_warp_reduce_kernelILj256ELj32Eii21rocsparse_complex_numIdES2_S2_S2_EEvbT1_lPT2_S5_jNS_24const_host_device_scalarIT6_EEPKS3_PKS4_PKT3_PKT4_S8_PT5_21rocsparse_index_base_b,@function
_ZN9rocsparseL41csrmvn_lrb_medium_rows_warp_reduce_kernelILj256ELj32Eii21rocsparse_complex_numIdES2_S2_S2_EEvbT1_lPT2_S5_jNS_24const_host_device_scalarIT6_EEPKS3_PKS4_PKT3_PKT4_S8_PT5_21rocsparse_index_base_b: ; @_ZN9rocsparseL41csrmvn_lrb_medium_rows_warp_reduce_kernelILj256ELj32Eii21rocsparse_complex_numIdES2_S2_S2_EEvbT1_lPT2_S5_jNS_24const_host_device_scalarIT6_EEPKS3_PKS4_PKT3_PKT4_S8_PT5_21rocsparse_index_base_b
; %bb.0:
	s_clause 0x1
	s_load_b64 s[12:13], s[2:3], 0x70
	s_load_b128 s[4:7], s[2:3], 0x28
	s_load_b64 s[16:17], s[0:1], 0x4
	s_mov_b64 s[0:1], src_shared_base
	v_and_b32_e32 v10, 0x3ff, v0
	s_load_b128 s[8:11], s[2:3], 0x58
	v_bfe_u32 v2, v0, 10, 10
	v_bfe_u32 v0, v0, 20, 10
	s_waitcnt lgkmcnt(0)
	s_bitcmp1_b32 s13, 0
	s_cselect_b32 s0, -1, 0
	s_delay_alu instid0(SALU_CYCLE_1) | instskip(SKIP_4) | instid1(SALU_CYCLE_1)
	s_and_b32 vcc_lo, s0, exec_lo
	s_cselect_b32 s13, s1, s5
	s_lshr_b32 s14, s16, 16
	v_mov_b32_e32 v6, s13
	s_mul_i32 s14, s14, s17
	v_mul_lo_u32 v1, s14, v10
	s_delay_alu instid0(VALU_DEP_1) | instskip(SKIP_1) | instid1(VALU_DEP_2)
	v_mad_u32_u24 v1, v2, s17, v1
	v_dual_mov_b32 v2, s8 :: v_dual_mov_b32 v3, s9
	v_add_lshl_u32 v4, v1, v0, 3
	v_dual_mov_b32 v0, s4 :: v_dual_mov_b32 v1, s5
	s_delay_alu instid0(VALU_DEP_2)
	v_add_nc_u32_e32 v5, 0x800, v4
	ds_store_2addr_stride64_b64 v4, v[2:3], v[0:1] offset1:4
	v_dual_mov_b32 v2, s6 :: v_dual_mov_b32 v3, s7
	v_cndmask_b32_e64 v5, s4, v5, s0
	s_xor_b32 s6, s0, -1
	flat_load_b64 v[0:1], v[5:6]
	s_cbranch_vccnz .LBB64_2
; %bb.1:
	v_dual_mov_b32 v2, s4 :: v_dual_mov_b32 v3, s5
	flat_load_b64 v[2:3], v[2:3] offset:8
.LBB64_2:
	s_and_b32 s4, s0, exec_lo
	s_cselect_b32 s1, s1, s9
	v_cndmask_b32_e64 v4, s8, v4, s0
	v_dual_mov_b32 v5, s1 :: v_dual_mov_b32 v6, s10
	v_mov_b32_e32 v7, s11
	s_and_not1_b32 vcc_lo, exec_lo, s6
	flat_load_b64 v[4:5], v[4:5]
	s_cbranch_vccnz .LBB64_4
; %bb.3:
	v_dual_mov_b32 v6, s8 :: v_dual_mov_b32 v7, s9
	flat_load_b64 v[6:7], v[6:7] offset:8
.LBB64_4:
	s_waitcnt vmcnt(1) lgkmcnt(1)
	v_cmp_eq_f64_e32 vcc_lo, 0, v[0:1]
	v_cmp_eq_f64_e64 s0, 0, v[2:3]
	s_delay_alu instid0(VALU_DEP_1)
	s_and_b32 s4, vcc_lo, s0
	s_mov_b32 s0, -1
	s_and_saveexec_b32 s1, s4
	s_cbranch_execz .LBB64_6
; %bb.5:
	s_waitcnt vmcnt(0) lgkmcnt(0)
	v_cmp_neq_f64_e32 vcc_lo, 1.0, v[4:5]
	v_cmp_neq_f64_e64 s0, 0, v[6:7]
	s_delay_alu instid0(VALU_DEP_1) | instskip(NEXT) | instid1(SALU_CYCLE_1)
	s_or_b32 s0, vcc_lo, s0
	s_or_not1_b32 s0, s0, exec_lo
.LBB64_6:
	s_or_b32 exec_lo, exec_lo, s1
	s_and_saveexec_b32 s1, s0
	s_cbranch_execz .LBB64_16
; %bb.7:
	s_load_b64 s[0:1], s[2:3], 0x8
	v_lshrrev_b32_e32 v8, 5, v10
	s_delay_alu instid0(VALU_DEP_1) | instskip(NEXT) | instid1(VALU_DEP_1)
	v_lshl_or_b32 v8, s15, 3, v8
	v_ashrrev_i32_e32 v9, 31, v8
	s_waitcnt lgkmcnt(0)
	s_delay_alu instid0(VALU_DEP_1)
	v_cmp_gt_i64_e32 vcc_lo, s[0:1], v[8:9]
	s_and_b32 exec_lo, exec_lo, vcc_lo
	s_cbranch_execz .LBB64_16
; %bb.8:
	s_clause 0x1
	s_load_b32 s0, s[2:3], 0x20
	s_load_b128 s[4:7], s[2:3], 0x10
	s_mov_b32 s1, 0
	v_and_b32_e32 v16, 31, v10
	s_mov_b32 s10, exec_lo
	s_delay_alu instid0(VALU_DEP_1) | instskip(SKIP_2) | instid1(SALU_CYCLE_1)
	v_subrev_nc_u32_e32 v14, s12, v16
	s_waitcnt lgkmcnt(0)
	s_lshl_b64 s[8:9], s[0:1], 2
	s_add_u32 s6, s6, s8
	s_addc_u32 s7, s7, s9
	s_load_b64 s[8:9], s[2:3], 0x68
	s_load_b32 s0, s[6:7], 0x0
	s_waitcnt lgkmcnt(0)
	v_add_nc_u32_e32 v8, s0, v8
	s_delay_alu instid0(VALU_DEP_1) | instskip(NEXT) | instid1(VALU_DEP_1)
	v_ashrrev_i32_e32 v9, 31, v8
	v_lshlrev_b64 v[8:9], 2, v[8:9]
	s_delay_alu instid0(VALU_DEP_1) | instskip(NEXT) | instid1(VALU_DEP_2)
	v_add_co_u32 v8, vcc_lo, s4, v8
	v_add_co_ci_u32_e32 v9, vcc_lo, s5, v9, vcc_lo
	s_load_b64 s[4:5], s[2:3], 0x38
	global_load_b32 v8, v[8:9], off
	s_waitcnt vmcnt(0)
	v_ashrrev_i32_e32 v9, 31, v8
	s_delay_alu instid0(VALU_DEP_1) | instskip(SKIP_1) | instid1(VALU_DEP_1)
	v_lshlrev_b64 v[11:12], 2, v[8:9]
	s_waitcnt lgkmcnt(0)
	v_add_co_u32 v11, vcc_lo, s4, v11
	s_delay_alu instid0(VALU_DEP_2)
	v_add_co_ci_u32_e32 v12, vcc_lo, s5, v12, vcc_lo
	global_load_b64 v[12:13], v[11:12], off
	v_mov_b32_e32 v10, 0
	v_mov_b32_e32 v11, 0
	s_waitcnt vmcnt(0)
	v_subrev_nc_u32_e32 v17, s12, v13
	s_delay_alu instid0(VALU_DEP_2) | instskip(SKIP_1) | instid1(VALU_DEP_2)
	v_dual_mov_b32 v13, v11 :: v_dual_add_nc_u32 v14, v12, v14
	v_mov_b32_e32 v12, v10
	v_cmpx_lt_i32_e64 v14, v17
	s_cbranch_execz .LBB64_12
; %bb.9:
	s_clause 0x2
	s_load_b32 s0, s[2:3], 0x0
	s_load_b128 s[4:7], s[2:3], 0x40
	s_load_b64 s[2:3], s[2:3], 0x50
	v_mov_b32_e32 v10, 0
	v_mov_b32_e32 v11, 0
	s_delay_alu instid0(VALU_DEP_1)
	v_dual_mov_b32 v13, v11 :: v_dual_mov_b32 v12, v10
	s_waitcnt lgkmcnt(0)
	s_bitcmp1_b32 s0, 0
	s_cselect_b32 vcc_lo, -1, 0
.LBB64_10:                              ; =>This Inner Loop Header: Depth=1
	v_ashrrev_i32_e32 v15, 31, v14
	s_delay_alu instid0(VALU_DEP_1) | instskip(NEXT) | instid1(VALU_DEP_1)
	v_lshlrev_b64 v[18:19], 2, v[14:15]
	v_add_co_u32 v18, s0, s4, v18
	s_delay_alu instid0(VALU_DEP_1) | instskip(SKIP_3) | instid1(VALU_DEP_2)
	v_add_co_ci_u32_e64 v19, s0, s5, v19, s0
	global_load_b32 v22, v[18:19], off
	v_lshlrev_b64 v[18:19], 4, v[14:15]
	v_add_nc_u32_e32 v14, 32, v14
	v_add_co_u32 v18, s0, s6, v18
	s_delay_alu instid0(VALU_DEP_1) | instskip(SKIP_3) | instid1(VALU_DEP_1)
	v_add_co_ci_u32_e64 v19, s0, s7, v19, s0
	global_load_b128 v[18:21], v[18:19], off
	s_waitcnt vmcnt(1)
	v_subrev_nc_u32_e32 v22, s12, v22
	v_ashrrev_i32_e32 v23, 31, v22
	s_delay_alu instid0(VALU_DEP_1) | instskip(SKIP_2) | instid1(VALU_DEP_2)
	v_lshlrev_b64 v[22:23], 4, v[22:23]
	s_waitcnt vmcnt(0)
	v_xor_b32_e32 v15, 0x80000000, v21
	v_add_co_u32 v22, s0, s2, v22
	s_delay_alu instid0(VALU_DEP_1) | instskip(NEXT) | instid1(VALU_DEP_3)
	v_add_co_ci_u32_e64 v23, s0, s3, v23, s0
	v_cndmask_b32_e32 v21, v21, v15, vcc_lo
	v_cmp_ge_i32_e64 s0, v14, v17
	global_load_b128 v[22:25], v[22:23], off
	v_mul_f64 v[26:27], v[20:21], -v[2:3]
	v_mul_f64 v[20:21], v[0:1], v[20:21]
	s_or_b32 s1, s0, s1
	s_delay_alu instid0(VALU_DEP_2) | instskip(NEXT) | instid1(VALU_DEP_2)
	v_fma_f64 v[26:27], v[0:1], v[18:19], v[26:27]
	v_fma_f64 v[18:19], v[2:3], v[18:19], v[20:21]
	s_waitcnt vmcnt(0)
	s_delay_alu instid0(VALU_DEP_2) | instskip(NEXT) | instid1(VALU_DEP_2)
	v_fma_f64 v[12:13], v[26:27], v[22:23], v[12:13]
	v_fma_f64 v[10:11], v[18:19], v[22:23], v[10:11]
	s_delay_alu instid0(VALU_DEP_2) | instskip(NEXT) | instid1(VALU_DEP_2)
	v_fma_f64 v[12:13], -v[18:19], v[24:25], v[12:13]
	v_fma_f64 v[10:11], v[26:27], v[24:25], v[10:11]
	s_and_not1_b32 exec_lo, exec_lo, s1
	s_cbranch_execnz .LBB64_10
; %bb.11:
	s_or_b32 exec_lo, exec_lo, s1
.LBB64_12:
	s_delay_alu instid0(SALU_CYCLE_1) | instskip(SKIP_1) | instid1(VALU_DEP_1)
	s_or_b32 exec_lo, exec_lo, s10
	v_mbcnt_lo_u32_b32 v14, -1, 0
	v_xor_b32_e32 v0, 16, v14
	s_delay_alu instid0(VALU_DEP_1) | instskip(SKIP_1) | instid1(VALU_DEP_1)
	v_cmp_gt_i32_e32 vcc_lo, 32, v0
	v_cndmask_b32_e32 v0, v14, v0, vcc_lo
	v_lshlrev_b32_e32 v3, 2, v0
	ds_bpermute_b32 v0, v3, v12
	ds_bpermute_b32 v1, v3, v13
	;; [unrolled: 1-line block ×4, first 2 shown]
	s_waitcnt lgkmcnt(2)
	v_add_f64 v[0:1], v[12:13], v[0:1]
	s_waitcnt lgkmcnt(0)
	v_add_f64 v[2:3], v[10:11], v[2:3]
	v_xor_b32_e32 v10, 8, v14
	s_delay_alu instid0(VALU_DEP_1) | instskip(SKIP_1) | instid1(VALU_DEP_1)
	v_cmp_gt_i32_e32 vcc_lo, 32, v10
	v_cndmask_b32_e32 v10, v14, v10, vcc_lo
	v_lshlrev_b32_e32 v13, 2, v10
	ds_bpermute_b32 v10, v13, v0
	ds_bpermute_b32 v11, v13, v1
	;; [unrolled: 1-line block ×4, first 2 shown]
	s_waitcnt lgkmcnt(2)
	v_add_f64 v[0:1], v[0:1], v[10:11]
	v_xor_b32_e32 v10, 4, v14
	s_waitcnt lgkmcnt(0)
	v_add_f64 v[2:3], v[2:3], v[12:13]
	s_delay_alu instid0(VALU_DEP_2) | instskip(SKIP_1) | instid1(VALU_DEP_1)
	v_cmp_gt_i32_e32 vcc_lo, 32, v10
	v_cndmask_b32_e32 v10, v14, v10, vcc_lo
	v_lshlrev_b32_e32 v13, 2, v10
	ds_bpermute_b32 v10, v13, v0
	ds_bpermute_b32 v11, v13, v1
	;; [unrolled: 1-line block ×4, first 2 shown]
	s_waitcnt lgkmcnt(2)
	v_add_f64 v[0:1], v[0:1], v[10:11]
	v_xor_b32_e32 v10, 2, v14
	s_waitcnt lgkmcnt(0)
	v_add_f64 v[2:3], v[2:3], v[12:13]
	s_delay_alu instid0(VALU_DEP_2) | instskip(SKIP_1) | instid1(VALU_DEP_1)
	v_cmp_gt_i32_e32 vcc_lo, 32, v10
	v_cndmask_b32_e32 v10, v14, v10, vcc_lo
	v_lshlrev_b32_e32 v13, 2, v10
	ds_bpermute_b32 v10, v13, v0
	ds_bpermute_b32 v11, v13, v1
	;; [unrolled: 1-line block ×4, first 2 shown]
	s_waitcnt lgkmcnt(2)
	v_add_f64 v[0:1], v[0:1], v[10:11]
	v_xor_b32_e32 v10, 1, v14
	s_waitcnt lgkmcnt(0)
	v_add_f64 v[2:3], v[2:3], v[12:13]
	s_delay_alu instid0(VALU_DEP_2) | instskip(SKIP_2) | instid1(VALU_DEP_2)
	v_cmp_gt_i32_e32 vcc_lo, 32, v10
	v_cndmask_b32_e32 v10, v14, v10, vcc_lo
	v_cmp_eq_u32_e32 vcc_lo, 31, v16
	v_lshlrev_b32_e32 v13, 2, v10
	ds_bpermute_b32 v10, v13, v0
	ds_bpermute_b32 v11, v13, v1
	;; [unrolled: 1-line block ×4, first 2 shown]
	s_and_b32 exec_lo, exec_lo, vcc_lo
	s_cbranch_execz .LBB64_16
; %bb.13:
	v_cmp_neq_f64_e32 vcc_lo, 0, v[4:5]
	v_cmp_neq_f64_e64 s0, 0, v[6:7]
	s_waitcnt lgkmcnt(2)
	v_add_f64 v[0:1], v[0:1], v[10:11]
	s_waitcnt lgkmcnt(0)
	v_add_f64 v[2:3], v[2:3], v[12:13]
	v_lshlrev_b64 v[8:9], 4, v[8:9]
	s_delay_alu instid0(VALU_DEP_4) | instskip(NEXT) | instid1(SALU_CYCLE_1)
	s_or_b32 s1, vcc_lo, s0
	s_and_saveexec_b32 s0, s1
	s_cbranch_execz .LBB64_15
; %bb.14:
	s_delay_alu instid0(VALU_DEP_1) | instskip(NEXT) | instid1(VALU_DEP_2)
	v_add_co_u32 v10, vcc_lo, s8, v8
	v_add_co_ci_u32_e32 v11, vcc_lo, s9, v9, vcc_lo
	global_load_b128 v[10:13], v[10:11], off
	s_waitcnt vmcnt(0)
	v_fma_f64 v[0:1], v[4:5], v[10:11], v[0:1]
	v_fma_f64 v[2:3], v[6:7], v[10:11], v[2:3]
	s_delay_alu instid0(VALU_DEP_2) | instskip(NEXT) | instid1(VALU_DEP_2)
	v_fma_f64 v[0:1], -v[6:7], v[12:13], v[0:1]
	v_fma_f64 v[2:3], v[4:5], v[12:13], v[2:3]
.LBB64_15:
	s_or_b32 exec_lo, exec_lo, s0
	s_delay_alu instid0(VALU_DEP_1)
	v_add_co_u32 v4, vcc_lo, s8, v8
	v_add_co_ci_u32_e32 v5, vcc_lo, s9, v9, vcc_lo
	global_store_b128 v[4:5], v[0:3], off
.LBB64_16:
	s_nop 0
	s_sendmsg sendmsg(MSG_DEALLOC_VGPRS)
	s_endpgm
	.section	.rodata,"a",@progbits
	.p2align	6, 0x0
	.amdhsa_kernel _ZN9rocsparseL41csrmvn_lrb_medium_rows_warp_reduce_kernelILj256ELj32Eii21rocsparse_complex_numIdES2_S2_S2_EEvbT1_lPT2_S5_jNS_24const_host_device_scalarIT6_EEPKS3_PKS4_PKT3_PKT4_S8_PT5_21rocsparse_index_base_b
		.amdhsa_group_segment_fixed_size 4096
		.amdhsa_private_segment_fixed_size 0
		.amdhsa_kernarg_size 120
		.amdhsa_user_sgpr_count 15
		.amdhsa_user_sgpr_dispatch_ptr 1
		.amdhsa_user_sgpr_queue_ptr 0
		.amdhsa_user_sgpr_kernarg_segment_ptr 1
		.amdhsa_user_sgpr_dispatch_id 0
		.amdhsa_user_sgpr_private_segment_size 0
		.amdhsa_wavefront_size32 1
		.amdhsa_uses_dynamic_stack 0
		.amdhsa_enable_private_segment 0
		.amdhsa_system_sgpr_workgroup_id_x 1
		.amdhsa_system_sgpr_workgroup_id_y 0
		.amdhsa_system_sgpr_workgroup_id_z 0
		.amdhsa_system_sgpr_workgroup_info 0
		.amdhsa_system_vgpr_workitem_id 2
		.amdhsa_next_free_vgpr 28
		.amdhsa_next_free_sgpr 18
		.amdhsa_reserve_vcc 1
		.amdhsa_float_round_mode_32 0
		.amdhsa_float_round_mode_16_64 0
		.amdhsa_float_denorm_mode_32 3
		.amdhsa_float_denorm_mode_16_64 3
		.amdhsa_dx10_clamp 1
		.amdhsa_ieee_mode 1
		.amdhsa_fp16_overflow 0
		.amdhsa_workgroup_processor_mode 1
		.amdhsa_memory_ordered 1
		.amdhsa_forward_progress 0
		.amdhsa_shared_vgpr_count 0
		.amdhsa_exception_fp_ieee_invalid_op 0
		.amdhsa_exception_fp_denorm_src 0
		.amdhsa_exception_fp_ieee_div_zero 0
		.amdhsa_exception_fp_ieee_overflow 0
		.amdhsa_exception_fp_ieee_underflow 0
		.amdhsa_exception_fp_ieee_inexact 0
		.amdhsa_exception_int_div_zero 0
	.end_amdhsa_kernel
	.section	.text._ZN9rocsparseL41csrmvn_lrb_medium_rows_warp_reduce_kernelILj256ELj32Eii21rocsparse_complex_numIdES2_S2_S2_EEvbT1_lPT2_S5_jNS_24const_host_device_scalarIT6_EEPKS3_PKS4_PKT3_PKT4_S8_PT5_21rocsparse_index_base_b,"axG",@progbits,_ZN9rocsparseL41csrmvn_lrb_medium_rows_warp_reduce_kernelILj256ELj32Eii21rocsparse_complex_numIdES2_S2_S2_EEvbT1_lPT2_S5_jNS_24const_host_device_scalarIT6_EEPKS3_PKS4_PKT3_PKT4_S8_PT5_21rocsparse_index_base_b,comdat
.Lfunc_end64:
	.size	_ZN9rocsparseL41csrmvn_lrb_medium_rows_warp_reduce_kernelILj256ELj32Eii21rocsparse_complex_numIdES2_S2_S2_EEvbT1_lPT2_S5_jNS_24const_host_device_scalarIT6_EEPKS3_PKS4_PKT3_PKT4_S8_PT5_21rocsparse_index_base_b, .Lfunc_end64-_ZN9rocsparseL41csrmvn_lrb_medium_rows_warp_reduce_kernelILj256ELj32Eii21rocsparse_complex_numIdES2_S2_S2_EEvbT1_lPT2_S5_jNS_24const_host_device_scalarIT6_EEPKS3_PKS4_PKT3_PKT4_S8_PT5_21rocsparse_index_base_b
                                        ; -- End function
	.section	.AMDGPU.csdata,"",@progbits
; Kernel info:
; codeLenInByte = 1480
; NumSgprs: 20
; NumVgprs: 28
; ScratchSize: 0
; MemoryBound: 0
; FloatMode: 240
; IeeeMode: 1
; LDSByteSize: 4096 bytes/workgroup (compile time only)
; SGPRBlocks: 2
; VGPRBlocks: 3
; NumSGPRsForWavesPerEU: 20
; NumVGPRsForWavesPerEU: 28
; Occupancy: 16
; WaveLimiterHint : 1
; COMPUTE_PGM_RSRC2:SCRATCH_EN: 0
; COMPUTE_PGM_RSRC2:USER_SGPR: 15
; COMPUTE_PGM_RSRC2:TRAP_HANDLER: 0
; COMPUTE_PGM_RSRC2:TGID_X_EN: 1
; COMPUTE_PGM_RSRC2:TGID_Y_EN: 0
; COMPUTE_PGM_RSRC2:TGID_Z_EN: 0
; COMPUTE_PGM_RSRC2:TIDIG_COMP_CNT: 2
	.section	.text._ZN9rocsparseL41csrmvn_lrb_medium_rows_warp_reduce_kernelILj256ELj64Eii21rocsparse_complex_numIdES2_S2_S2_EEvbT1_lPT2_S5_jNS_24const_host_device_scalarIT6_EEPKS3_PKS4_PKT3_PKT4_S8_PT5_21rocsparse_index_base_b,"axG",@progbits,_ZN9rocsparseL41csrmvn_lrb_medium_rows_warp_reduce_kernelILj256ELj64Eii21rocsparse_complex_numIdES2_S2_S2_EEvbT1_lPT2_S5_jNS_24const_host_device_scalarIT6_EEPKS3_PKS4_PKT3_PKT4_S8_PT5_21rocsparse_index_base_b,comdat
	.globl	_ZN9rocsparseL41csrmvn_lrb_medium_rows_warp_reduce_kernelILj256ELj64Eii21rocsparse_complex_numIdES2_S2_S2_EEvbT1_lPT2_S5_jNS_24const_host_device_scalarIT6_EEPKS3_PKS4_PKT3_PKT4_S8_PT5_21rocsparse_index_base_b ; -- Begin function _ZN9rocsparseL41csrmvn_lrb_medium_rows_warp_reduce_kernelILj256ELj64Eii21rocsparse_complex_numIdES2_S2_S2_EEvbT1_lPT2_S5_jNS_24const_host_device_scalarIT6_EEPKS3_PKS4_PKT3_PKT4_S8_PT5_21rocsparse_index_base_b
	.p2align	8
	.type	_ZN9rocsparseL41csrmvn_lrb_medium_rows_warp_reduce_kernelILj256ELj64Eii21rocsparse_complex_numIdES2_S2_S2_EEvbT1_lPT2_S5_jNS_24const_host_device_scalarIT6_EEPKS3_PKS4_PKT3_PKT4_S8_PT5_21rocsparse_index_base_b,@function
_ZN9rocsparseL41csrmvn_lrb_medium_rows_warp_reduce_kernelILj256ELj64Eii21rocsparse_complex_numIdES2_S2_S2_EEvbT1_lPT2_S5_jNS_24const_host_device_scalarIT6_EEPKS3_PKS4_PKT3_PKT4_S8_PT5_21rocsparse_index_base_b: ; @_ZN9rocsparseL41csrmvn_lrb_medium_rows_warp_reduce_kernelILj256ELj64Eii21rocsparse_complex_numIdES2_S2_S2_EEvbT1_lPT2_S5_jNS_24const_host_device_scalarIT6_EEPKS3_PKS4_PKT3_PKT4_S8_PT5_21rocsparse_index_base_b
; %bb.0:
	s_clause 0x1
	s_load_b64 s[12:13], s[2:3], 0x70
	s_load_b128 s[4:7], s[2:3], 0x28
	s_load_b64 s[16:17], s[0:1], 0x4
	s_mov_b64 s[0:1], src_shared_base
	v_and_b32_e32 v10, 0x3ff, v0
	s_load_b128 s[8:11], s[2:3], 0x58
	v_bfe_u32 v2, v0, 10, 10
	v_bfe_u32 v0, v0, 20, 10
	s_waitcnt lgkmcnt(0)
	s_bitcmp1_b32 s13, 0
	s_cselect_b32 s0, -1, 0
	s_delay_alu instid0(SALU_CYCLE_1) | instskip(SKIP_4) | instid1(SALU_CYCLE_1)
	s_and_b32 vcc_lo, s0, exec_lo
	s_cselect_b32 s13, s1, s5
	s_lshr_b32 s14, s16, 16
	v_mov_b32_e32 v6, s13
	s_mul_i32 s14, s14, s17
	v_mul_lo_u32 v1, s14, v10
	s_delay_alu instid0(VALU_DEP_1) | instskip(SKIP_1) | instid1(VALU_DEP_2)
	v_mad_u32_u24 v1, v2, s17, v1
	v_dual_mov_b32 v2, s8 :: v_dual_mov_b32 v3, s9
	v_add_lshl_u32 v4, v1, v0, 3
	v_dual_mov_b32 v0, s4 :: v_dual_mov_b32 v1, s5
	s_delay_alu instid0(VALU_DEP_2)
	v_add_nc_u32_e32 v5, 0x800, v4
	ds_store_2addr_stride64_b64 v4, v[2:3], v[0:1] offset1:4
	v_dual_mov_b32 v2, s6 :: v_dual_mov_b32 v3, s7
	v_cndmask_b32_e64 v5, s4, v5, s0
	s_xor_b32 s6, s0, -1
	flat_load_b64 v[0:1], v[5:6]
	s_cbranch_vccnz .LBB65_2
; %bb.1:
	v_dual_mov_b32 v2, s4 :: v_dual_mov_b32 v3, s5
	flat_load_b64 v[2:3], v[2:3] offset:8
.LBB65_2:
	s_and_b32 s4, s0, exec_lo
	s_cselect_b32 s1, s1, s9
	v_cndmask_b32_e64 v4, s8, v4, s0
	v_dual_mov_b32 v5, s1 :: v_dual_mov_b32 v6, s10
	v_mov_b32_e32 v7, s11
	s_and_not1_b32 vcc_lo, exec_lo, s6
	flat_load_b64 v[4:5], v[4:5]
	s_cbranch_vccnz .LBB65_4
; %bb.3:
	v_dual_mov_b32 v6, s8 :: v_dual_mov_b32 v7, s9
	flat_load_b64 v[6:7], v[6:7] offset:8
.LBB65_4:
	s_waitcnt vmcnt(1) lgkmcnt(1)
	v_cmp_eq_f64_e32 vcc_lo, 0, v[0:1]
	v_cmp_eq_f64_e64 s0, 0, v[2:3]
	s_delay_alu instid0(VALU_DEP_1)
	s_and_b32 s4, vcc_lo, s0
	s_mov_b32 s0, -1
	s_and_saveexec_b32 s1, s4
	s_cbranch_execz .LBB65_6
; %bb.5:
	s_waitcnt vmcnt(0) lgkmcnt(0)
	v_cmp_neq_f64_e32 vcc_lo, 1.0, v[4:5]
	v_cmp_neq_f64_e64 s0, 0, v[6:7]
	s_delay_alu instid0(VALU_DEP_1) | instskip(NEXT) | instid1(SALU_CYCLE_1)
	s_or_b32 s0, vcc_lo, s0
	s_or_not1_b32 s0, s0, exec_lo
.LBB65_6:
	s_or_b32 exec_lo, exec_lo, s1
	s_and_saveexec_b32 s1, s0
	s_cbranch_execz .LBB65_16
; %bb.7:
	s_load_b64 s[0:1], s[2:3], 0x8
	v_lshrrev_b32_e32 v8, 6, v10
	s_delay_alu instid0(VALU_DEP_1) | instskip(NEXT) | instid1(VALU_DEP_1)
	v_lshl_or_b32 v8, s15, 2, v8
	v_ashrrev_i32_e32 v9, 31, v8
	s_waitcnt lgkmcnt(0)
	s_delay_alu instid0(VALU_DEP_1)
	v_cmp_gt_i64_e32 vcc_lo, s[0:1], v[8:9]
	s_and_b32 exec_lo, exec_lo, vcc_lo
	s_cbranch_execz .LBB65_16
; %bb.8:
	s_clause 0x1
	s_load_b32 s0, s[2:3], 0x20
	s_load_b128 s[4:7], s[2:3], 0x10
	s_mov_b32 s1, 0
	v_and_b32_e32 v16, 63, v10
	s_mov_b32 s10, exec_lo
	s_delay_alu instid0(VALU_DEP_1) | instskip(SKIP_2) | instid1(SALU_CYCLE_1)
	v_subrev_nc_u32_e32 v14, s12, v16
	s_waitcnt lgkmcnt(0)
	s_lshl_b64 s[8:9], s[0:1], 2
	s_add_u32 s6, s6, s8
	s_addc_u32 s7, s7, s9
	s_load_b64 s[8:9], s[2:3], 0x68
	s_load_b32 s0, s[6:7], 0x0
	s_waitcnt lgkmcnt(0)
	v_add_nc_u32_e32 v8, s0, v8
	s_delay_alu instid0(VALU_DEP_1) | instskip(NEXT) | instid1(VALU_DEP_1)
	v_ashrrev_i32_e32 v9, 31, v8
	v_lshlrev_b64 v[8:9], 2, v[8:9]
	s_delay_alu instid0(VALU_DEP_1) | instskip(NEXT) | instid1(VALU_DEP_2)
	v_add_co_u32 v8, vcc_lo, s4, v8
	v_add_co_ci_u32_e32 v9, vcc_lo, s5, v9, vcc_lo
	s_load_b64 s[4:5], s[2:3], 0x38
	global_load_b32 v8, v[8:9], off
	s_waitcnt vmcnt(0)
	v_ashrrev_i32_e32 v9, 31, v8
	s_delay_alu instid0(VALU_DEP_1) | instskip(SKIP_1) | instid1(VALU_DEP_1)
	v_lshlrev_b64 v[11:12], 2, v[8:9]
	s_waitcnt lgkmcnt(0)
	v_add_co_u32 v11, vcc_lo, s4, v11
	s_delay_alu instid0(VALU_DEP_2)
	v_add_co_ci_u32_e32 v12, vcc_lo, s5, v12, vcc_lo
	global_load_b64 v[12:13], v[11:12], off
	v_mov_b32_e32 v10, 0
	v_mov_b32_e32 v11, 0
	s_waitcnt vmcnt(0)
	v_subrev_nc_u32_e32 v17, s12, v13
	s_delay_alu instid0(VALU_DEP_2) | instskip(SKIP_1) | instid1(VALU_DEP_2)
	v_dual_mov_b32 v13, v11 :: v_dual_add_nc_u32 v14, v12, v14
	v_mov_b32_e32 v12, v10
	v_cmpx_lt_i32_e64 v14, v17
	s_cbranch_execz .LBB65_12
; %bb.9:
	s_clause 0x2
	s_load_b32 s0, s[2:3], 0x0
	s_load_b128 s[4:7], s[2:3], 0x40
	s_load_b64 s[2:3], s[2:3], 0x50
	v_mov_b32_e32 v10, 0
	v_mov_b32_e32 v11, 0
	s_delay_alu instid0(VALU_DEP_1)
	v_dual_mov_b32 v13, v11 :: v_dual_mov_b32 v12, v10
	s_waitcnt lgkmcnt(0)
	s_bitcmp1_b32 s0, 0
	s_cselect_b32 vcc_lo, -1, 0
.LBB65_10:                              ; =>This Inner Loop Header: Depth=1
	v_ashrrev_i32_e32 v15, 31, v14
	s_delay_alu instid0(VALU_DEP_1) | instskip(NEXT) | instid1(VALU_DEP_1)
	v_lshlrev_b64 v[18:19], 2, v[14:15]
	v_add_co_u32 v18, s0, s4, v18
	s_delay_alu instid0(VALU_DEP_1) | instskip(SKIP_3) | instid1(VALU_DEP_2)
	v_add_co_ci_u32_e64 v19, s0, s5, v19, s0
	global_load_b32 v22, v[18:19], off
	v_lshlrev_b64 v[18:19], 4, v[14:15]
	v_add_nc_u32_e32 v14, 64, v14
	v_add_co_u32 v18, s0, s6, v18
	s_delay_alu instid0(VALU_DEP_1) | instskip(SKIP_3) | instid1(VALU_DEP_1)
	v_add_co_ci_u32_e64 v19, s0, s7, v19, s0
	global_load_b128 v[18:21], v[18:19], off
	s_waitcnt vmcnt(1)
	v_subrev_nc_u32_e32 v22, s12, v22
	v_ashrrev_i32_e32 v23, 31, v22
	s_delay_alu instid0(VALU_DEP_1) | instskip(SKIP_2) | instid1(VALU_DEP_2)
	v_lshlrev_b64 v[22:23], 4, v[22:23]
	s_waitcnt vmcnt(0)
	v_xor_b32_e32 v15, 0x80000000, v21
	v_add_co_u32 v22, s0, s2, v22
	s_delay_alu instid0(VALU_DEP_1) | instskip(NEXT) | instid1(VALU_DEP_3)
	v_add_co_ci_u32_e64 v23, s0, s3, v23, s0
	v_cndmask_b32_e32 v21, v21, v15, vcc_lo
	v_cmp_ge_i32_e64 s0, v14, v17
	global_load_b128 v[22:25], v[22:23], off
	v_mul_f64 v[26:27], v[20:21], -v[2:3]
	v_mul_f64 v[20:21], v[0:1], v[20:21]
	s_or_b32 s1, s0, s1
	s_delay_alu instid0(VALU_DEP_2) | instskip(NEXT) | instid1(VALU_DEP_2)
	v_fma_f64 v[26:27], v[0:1], v[18:19], v[26:27]
	v_fma_f64 v[18:19], v[2:3], v[18:19], v[20:21]
	s_waitcnt vmcnt(0)
	s_delay_alu instid0(VALU_DEP_2) | instskip(NEXT) | instid1(VALU_DEP_2)
	v_fma_f64 v[12:13], v[26:27], v[22:23], v[12:13]
	v_fma_f64 v[10:11], v[18:19], v[22:23], v[10:11]
	s_delay_alu instid0(VALU_DEP_2) | instskip(NEXT) | instid1(VALU_DEP_2)
	v_fma_f64 v[12:13], -v[18:19], v[24:25], v[12:13]
	v_fma_f64 v[10:11], v[26:27], v[24:25], v[10:11]
	s_and_not1_b32 exec_lo, exec_lo, s1
	s_cbranch_execnz .LBB65_10
; %bb.11:
	s_or_b32 exec_lo, exec_lo, s1
.LBB65_12:
	s_delay_alu instid0(SALU_CYCLE_1) | instskip(SKIP_1) | instid1(VALU_DEP_1)
	s_or_b32 exec_lo, exec_lo, s10
	v_mbcnt_lo_u32_b32 v14, -1, 0
	v_or_b32_e32 v0, 32, v14
	s_delay_alu instid0(VALU_DEP_1) | instskip(SKIP_1) | instid1(VALU_DEP_1)
	v_cmp_gt_i32_e32 vcc_lo, 32, v0
	v_cndmask_b32_e32 v0, v14, v0, vcc_lo
	v_lshlrev_b32_e32 v3, 2, v0
	ds_bpermute_b32 v0, v3, v12
	ds_bpermute_b32 v1, v3, v13
	ds_bpermute_b32 v2, v3, v10
	ds_bpermute_b32 v3, v3, v11
	s_waitcnt lgkmcnt(2)
	v_add_f64 v[0:1], v[12:13], v[0:1]
	s_waitcnt lgkmcnt(0)
	v_add_f64 v[2:3], v[10:11], v[2:3]
	v_xor_b32_e32 v10, 16, v14
	s_delay_alu instid0(VALU_DEP_1) | instskip(SKIP_1) | instid1(VALU_DEP_1)
	v_cmp_gt_i32_e32 vcc_lo, 32, v10
	v_cndmask_b32_e32 v10, v14, v10, vcc_lo
	v_lshlrev_b32_e32 v13, 2, v10
	ds_bpermute_b32 v10, v13, v0
	ds_bpermute_b32 v11, v13, v1
	ds_bpermute_b32 v12, v13, v2
	ds_bpermute_b32 v13, v13, v3
	s_waitcnt lgkmcnt(2)
	v_add_f64 v[0:1], v[0:1], v[10:11]
	v_xor_b32_e32 v10, 8, v14
	s_waitcnt lgkmcnt(0)
	v_add_f64 v[2:3], v[2:3], v[12:13]
	s_delay_alu instid0(VALU_DEP_2) | instskip(SKIP_1) | instid1(VALU_DEP_1)
	v_cmp_gt_i32_e32 vcc_lo, 32, v10
	v_cndmask_b32_e32 v10, v14, v10, vcc_lo
	v_lshlrev_b32_e32 v13, 2, v10
	ds_bpermute_b32 v10, v13, v0
	ds_bpermute_b32 v11, v13, v1
	ds_bpermute_b32 v12, v13, v2
	ds_bpermute_b32 v13, v13, v3
	s_waitcnt lgkmcnt(2)
	v_add_f64 v[0:1], v[0:1], v[10:11]
	v_xor_b32_e32 v10, 4, v14
	s_waitcnt lgkmcnt(0)
	v_add_f64 v[2:3], v[2:3], v[12:13]
	s_delay_alu instid0(VALU_DEP_2) | instskip(SKIP_1) | instid1(VALU_DEP_1)
	;; [unrolled: 13-line block ×3, first 2 shown]
	v_cmp_gt_i32_e32 vcc_lo, 32, v10
	v_cndmask_b32_e32 v10, v14, v10, vcc_lo
	v_lshlrev_b32_e32 v13, 2, v10
	ds_bpermute_b32 v10, v13, v0
	ds_bpermute_b32 v11, v13, v1
	;; [unrolled: 1-line block ×4, first 2 shown]
	s_waitcnt lgkmcnt(2)
	v_add_f64 v[0:1], v[0:1], v[10:11]
	v_xor_b32_e32 v10, 1, v14
	s_waitcnt lgkmcnt(0)
	v_add_f64 v[2:3], v[2:3], v[12:13]
	s_delay_alu instid0(VALU_DEP_2) | instskip(SKIP_2) | instid1(VALU_DEP_2)
	v_cmp_gt_i32_e32 vcc_lo, 32, v10
	v_cndmask_b32_e32 v10, v14, v10, vcc_lo
	v_cmp_eq_u32_e32 vcc_lo, 63, v16
	v_lshlrev_b32_e32 v13, 2, v10
	ds_bpermute_b32 v10, v13, v0
	ds_bpermute_b32 v11, v13, v1
	;; [unrolled: 1-line block ×4, first 2 shown]
	s_and_b32 exec_lo, exec_lo, vcc_lo
	s_cbranch_execz .LBB65_16
; %bb.13:
	v_cmp_neq_f64_e32 vcc_lo, 0, v[4:5]
	v_cmp_neq_f64_e64 s0, 0, v[6:7]
	s_waitcnt lgkmcnt(2)
	v_add_f64 v[0:1], v[0:1], v[10:11]
	s_waitcnt lgkmcnt(0)
	v_add_f64 v[2:3], v[2:3], v[12:13]
	v_lshlrev_b64 v[8:9], 4, v[8:9]
	s_delay_alu instid0(VALU_DEP_4) | instskip(NEXT) | instid1(SALU_CYCLE_1)
	s_or_b32 s1, vcc_lo, s0
	s_and_saveexec_b32 s0, s1
	s_cbranch_execz .LBB65_15
; %bb.14:
	s_delay_alu instid0(VALU_DEP_1) | instskip(NEXT) | instid1(VALU_DEP_2)
	v_add_co_u32 v10, vcc_lo, s8, v8
	v_add_co_ci_u32_e32 v11, vcc_lo, s9, v9, vcc_lo
	global_load_b128 v[10:13], v[10:11], off
	s_waitcnt vmcnt(0)
	v_fma_f64 v[0:1], v[4:5], v[10:11], v[0:1]
	v_fma_f64 v[2:3], v[6:7], v[10:11], v[2:3]
	s_delay_alu instid0(VALU_DEP_2) | instskip(NEXT) | instid1(VALU_DEP_2)
	v_fma_f64 v[0:1], -v[6:7], v[12:13], v[0:1]
	v_fma_f64 v[2:3], v[4:5], v[12:13], v[2:3]
.LBB65_15:
	s_or_b32 exec_lo, exec_lo, s0
	s_delay_alu instid0(VALU_DEP_1)
	v_add_co_u32 v4, vcc_lo, s8, v8
	v_add_co_ci_u32_e32 v5, vcc_lo, s9, v9, vcc_lo
	global_store_b128 v[4:5], v[0:3], off
.LBB65_16:
	s_nop 0
	s_sendmsg sendmsg(MSG_DEALLOC_VGPRS)
	s_endpgm
	.section	.rodata,"a",@progbits
	.p2align	6, 0x0
	.amdhsa_kernel _ZN9rocsparseL41csrmvn_lrb_medium_rows_warp_reduce_kernelILj256ELj64Eii21rocsparse_complex_numIdES2_S2_S2_EEvbT1_lPT2_S5_jNS_24const_host_device_scalarIT6_EEPKS3_PKS4_PKT3_PKT4_S8_PT5_21rocsparse_index_base_b
		.amdhsa_group_segment_fixed_size 4096
		.amdhsa_private_segment_fixed_size 0
		.amdhsa_kernarg_size 120
		.amdhsa_user_sgpr_count 15
		.amdhsa_user_sgpr_dispatch_ptr 1
		.amdhsa_user_sgpr_queue_ptr 0
		.amdhsa_user_sgpr_kernarg_segment_ptr 1
		.amdhsa_user_sgpr_dispatch_id 0
		.amdhsa_user_sgpr_private_segment_size 0
		.amdhsa_wavefront_size32 1
		.amdhsa_uses_dynamic_stack 0
		.amdhsa_enable_private_segment 0
		.amdhsa_system_sgpr_workgroup_id_x 1
		.amdhsa_system_sgpr_workgroup_id_y 0
		.amdhsa_system_sgpr_workgroup_id_z 0
		.amdhsa_system_sgpr_workgroup_info 0
		.amdhsa_system_vgpr_workitem_id 2
		.amdhsa_next_free_vgpr 28
		.amdhsa_next_free_sgpr 18
		.amdhsa_reserve_vcc 1
		.amdhsa_float_round_mode_32 0
		.amdhsa_float_round_mode_16_64 0
		.amdhsa_float_denorm_mode_32 3
		.amdhsa_float_denorm_mode_16_64 3
		.amdhsa_dx10_clamp 1
		.amdhsa_ieee_mode 1
		.amdhsa_fp16_overflow 0
		.amdhsa_workgroup_processor_mode 1
		.amdhsa_memory_ordered 1
		.amdhsa_forward_progress 0
		.amdhsa_shared_vgpr_count 0
		.amdhsa_exception_fp_ieee_invalid_op 0
		.amdhsa_exception_fp_denorm_src 0
		.amdhsa_exception_fp_ieee_div_zero 0
		.amdhsa_exception_fp_ieee_overflow 0
		.amdhsa_exception_fp_ieee_underflow 0
		.amdhsa_exception_fp_ieee_inexact 0
		.amdhsa_exception_int_div_zero 0
	.end_amdhsa_kernel
	.section	.text._ZN9rocsparseL41csrmvn_lrb_medium_rows_warp_reduce_kernelILj256ELj64Eii21rocsparse_complex_numIdES2_S2_S2_EEvbT1_lPT2_S5_jNS_24const_host_device_scalarIT6_EEPKS3_PKS4_PKT3_PKT4_S8_PT5_21rocsparse_index_base_b,"axG",@progbits,_ZN9rocsparseL41csrmvn_lrb_medium_rows_warp_reduce_kernelILj256ELj64Eii21rocsparse_complex_numIdES2_S2_S2_EEvbT1_lPT2_S5_jNS_24const_host_device_scalarIT6_EEPKS3_PKS4_PKT3_PKT4_S8_PT5_21rocsparse_index_base_b,comdat
.Lfunc_end65:
	.size	_ZN9rocsparseL41csrmvn_lrb_medium_rows_warp_reduce_kernelILj256ELj64Eii21rocsparse_complex_numIdES2_S2_S2_EEvbT1_lPT2_S5_jNS_24const_host_device_scalarIT6_EEPKS3_PKS4_PKT3_PKT4_S8_PT5_21rocsparse_index_base_b, .Lfunc_end65-_ZN9rocsparseL41csrmvn_lrb_medium_rows_warp_reduce_kernelILj256ELj64Eii21rocsparse_complex_numIdES2_S2_S2_EEvbT1_lPT2_S5_jNS_24const_host_device_scalarIT6_EEPKS3_PKS4_PKT3_PKT4_S8_PT5_21rocsparse_index_base_b
                                        ; -- End function
	.section	.AMDGPU.csdata,"",@progbits
; Kernel info:
; codeLenInByte = 1556
; NumSgprs: 20
; NumVgprs: 28
; ScratchSize: 0
; MemoryBound: 0
; FloatMode: 240
; IeeeMode: 1
; LDSByteSize: 4096 bytes/workgroup (compile time only)
; SGPRBlocks: 2
; VGPRBlocks: 3
; NumSGPRsForWavesPerEU: 20
; NumVGPRsForWavesPerEU: 28
; Occupancy: 16
; WaveLimiterHint : 1
; COMPUTE_PGM_RSRC2:SCRATCH_EN: 0
; COMPUTE_PGM_RSRC2:USER_SGPR: 15
; COMPUTE_PGM_RSRC2:TRAP_HANDLER: 0
; COMPUTE_PGM_RSRC2:TGID_X_EN: 1
; COMPUTE_PGM_RSRC2:TGID_Y_EN: 0
; COMPUTE_PGM_RSRC2:TGID_Z_EN: 0
; COMPUTE_PGM_RSRC2:TIDIG_COMP_CNT: 2
	.section	.text._ZN9rocsparseL29csrmvn_lrb_medium_rows_kernelILj256Eii21rocsparse_complex_numIdES2_S2_S2_EEvbT0_PT1_S5_jNS_24const_host_device_scalarIT5_EEPKS3_PKS4_PKT2_PKT3_S8_PT4_21rocsparse_index_base_b,"axG",@progbits,_ZN9rocsparseL29csrmvn_lrb_medium_rows_kernelILj256Eii21rocsparse_complex_numIdES2_S2_S2_EEvbT0_PT1_S5_jNS_24const_host_device_scalarIT5_EEPKS3_PKS4_PKT2_PKT3_S8_PT4_21rocsparse_index_base_b,comdat
	.globl	_ZN9rocsparseL29csrmvn_lrb_medium_rows_kernelILj256Eii21rocsparse_complex_numIdES2_S2_S2_EEvbT0_PT1_S5_jNS_24const_host_device_scalarIT5_EEPKS3_PKS4_PKT2_PKT3_S8_PT4_21rocsparse_index_base_b ; -- Begin function _ZN9rocsparseL29csrmvn_lrb_medium_rows_kernelILj256Eii21rocsparse_complex_numIdES2_S2_S2_EEvbT0_PT1_S5_jNS_24const_host_device_scalarIT5_EEPKS3_PKS4_PKT2_PKT3_S8_PT4_21rocsparse_index_base_b
	.p2align	8
	.type	_ZN9rocsparseL29csrmvn_lrb_medium_rows_kernelILj256Eii21rocsparse_complex_numIdES2_S2_S2_EEvbT0_PT1_S5_jNS_24const_host_device_scalarIT5_EEPKS3_PKS4_PKT2_PKT3_S8_PT4_21rocsparse_index_base_b,@function
_ZN9rocsparseL29csrmvn_lrb_medium_rows_kernelILj256Eii21rocsparse_complex_numIdES2_S2_S2_EEvbT0_PT1_S5_jNS_24const_host_device_scalarIT5_EEPKS3_PKS4_PKT2_PKT3_S8_PT4_21rocsparse_index_base_b: ; @_ZN9rocsparseL29csrmvn_lrb_medium_rows_kernelILj256Eii21rocsparse_complex_numIdES2_S2_S2_EEvbT0_PT1_S5_jNS_24const_host_device_scalarIT5_EEPKS3_PKS4_PKT2_PKT3_S8_PT4_21rocsparse_index_base_b
; %bb.0:
	s_clause 0x1
	s_load_b64 s[12:13], s[2:3], 0x68
	s_load_b128 s[4:7], s[2:3], 0x20
	s_load_b64 s[16:17], s[0:1], 0x4
	s_mov_b64 s[0:1], src_shared_base
	v_and_b32_e32 v14, 0x3ff, v0
	s_load_b128 s[8:11], s[2:3], 0x50
	v_bfe_u32 v2, v0, 10, 10
	v_bfe_u32 v0, v0, 20, 10
	s_waitcnt lgkmcnt(0)
	s_bitcmp1_b32 s13, 0
	v_mov_b32_e32 v11, s7
	s_cselect_b32 s0, -1, 0
	v_mov_b32_e32 v10, s6
	s_and_b32 vcc_lo, s0, exec_lo
	s_cselect_b32 s13, s1, s5
	s_lshr_b32 s14, s16, 16
	s_xor_b32 s6, s0, -1
	s_mul_i32 s14, s14, s17
	v_mov_b32_e32 v5, s13
	v_mul_lo_u32 v1, s14, v14
	s_delay_alu instid0(VALU_DEP_1) | instskip(SKIP_1) | instid1(VALU_DEP_2)
	v_mad_u32_u24 v1, v2, s17, v1
	v_dual_mov_b32 v2, s8 :: v_dual_mov_b32 v3, s9
	v_add_lshl_u32 v6, v1, v0, 3
	v_dual_mov_b32 v0, s4 :: v_dual_mov_b32 v1, s5
	s_delay_alu instid0(VALU_DEP_2)
	v_add_nc_u32_e32 v4, 0x1800, v6
	ds_store_2addr_stride64_b64 v6, v[2:3], v[0:1] offset0:8 offset1:12
	v_add_nc_u32_e32 v0, 0x1000, v6
	v_cndmask_b32_e64 v4, s4, v4, s0
	flat_load_b64 v[8:9], v[4:5]
	s_cbranch_vccnz .LBB66_2
; %bb.1:
	v_dual_mov_b32 v1, s4 :: v_dual_mov_b32 v2, s5
	flat_load_b64 v[10:11], v[1:2] offset:8
.LBB66_2:
	s_and_b32 s4, s0, exec_lo
	s_cselect_b32 s1, s1, s9
	v_cndmask_b32_e64 v0, s8, v0, s0
	v_dual_mov_b32 v1, s1 :: v_dual_mov_b32 v6, s10
	v_mov_b32_e32 v7, s11
	s_and_not1_b32 vcc_lo, exec_lo, s6
	flat_load_b64 v[4:5], v[0:1]
	s_cbranch_vccnz .LBB66_4
; %bb.3:
	v_dual_mov_b32 v0, s8 :: v_dual_mov_b32 v1, s9
	flat_load_b64 v[6:7], v[0:1] offset:8
.LBB66_4:
	s_waitcnt vmcnt(1) lgkmcnt(1)
	v_cmp_eq_f64_e32 vcc_lo, 0, v[8:9]
	v_cmp_eq_f64_e64 s0, 0, v[10:11]
	s_delay_alu instid0(VALU_DEP_1)
	s_and_b32 s4, vcc_lo, s0
	s_mov_b32 s0, -1
	s_and_saveexec_b32 s1, s4
	s_cbranch_execz .LBB66_6
; %bb.5:
	s_waitcnt vmcnt(0) lgkmcnt(0)
	v_cmp_neq_f64_e32 vcc_lo, 1.0, v[4:5]
	v_cmp_neq_f64_e64 s0, 0, v[6:7]
	s_delay_alu instid0(VALU_DEP_1) | instskip(NEXT) | instid1(SALU_CYCLE_1)
	s_or_b32 s0, vcc_lo, s0
	s_or_not1_b32 s0, s0, exec_lo
.LBB66_6:
	s_or_b32 exec_lo, exec_lo, s1
	s_and_saveexec_b32 s1, s0
	s_cbranch_execz .LBB66_31
; %bb.7:
	s_clause 0x1
	s_load_b32 s0, s[2:3], 0x18
	s_load_b128 s[4:7], s[2:3], 0x8
	s_mov_b32 s1, 0
	v_mov_b32_e32 v2, 0
	v_subrev_nc_u32_e32 v0, s12, v14
	s_mov_b32 s13, exec_lo
	s_waitcnt lgkmcnt(0)
	s_lshl_b64 s[8:9], s[0:1], 2
	s_delay_alu instid0(SALU_CYCLE_1) | instskip(SKIP_4) | instid1(SALU_CYCLE_1)
	s_add_u32 s6, s6, s8
	s_addc_u32 s7, s7, s9
	s_load_b32 s0, s[6:7], 0x0
	s_waitcnt lgkmcnt(0)
	s_add_i32 s6, s0, s15
	s_ashr_i32 s7, s6, 31
	s_delay_alu instid0(SALU_CYCLE_1) | instskip(NEXT) | instid1(SALU_CYCLE_1)
	s_lshl_b64 s[6:7], s[6:7], 2
	s_add_u32 s4, s4, s6
	s_addc_u32 s5, s5, s7
	s_load_b32 s8, s[4:5], 0x0
	s_load_b64 s[4:5], s[2:3], 0x30
	s_waitcnt lgkmcnt(0)
	s_ashr_i32 s9, s8, 31
	s_delay_alu instid0(SALU_CYCLE_1) | instskip(NEXT) | instid1(SALU_CYCLE_1)
	s_lshl_b64 s[6:7], s[8:9], 2
	s_add_u32 s4, s4, s6
	s_addc_u32 s5, s5, s7
	s_load_b64 s[4:5], s[4:5], 0x0
	s_load_b64 s[10:11], s[2:3], 0x60
	s_waitcnt lgkmcnt(0)
	v_dual_mov_b32 v3, 0 :: v_dual_add_nc_u32 v12, s4, v0
	s_delay_alu instid0(VALU_DEP_1)
	v_dual_mov_b32 v0, v2 :: v_dual_mov_b32 v1, v3
	s_sub_i32 s14, s5, s12
	s_delay_alu instid0(VALU_DEP_2) | instid1(SALU_CYCLE_1)
	v_cmpx_gt_i32_e64 s14, v12
	s_cbranch_execz .LBB66_11
; %bb.8:
	s_clause 0x2
	s_load_b32 s0, s[2:3], 0x0
	s_load_b128 s[4:7], s[2:3], 0x38
	s_load_b64 s[2:3], s[2:3], 0x48
	v_mov_b32_e32 v2, 0
	v_mov_b32_e32 v3, 0
	s_delay_alu instid0(VALU_DEP_1)
	v_dual_mov_b32 v0, v2 :: v_dual_mov_b32 v1, v3
	s_waitcnt lgkmcnt(0)
	s_bitcmp1_b32 s0, 0
	s_cselect_b32 vcc_lo, -1, 0
.LBB66_9:                               ; =>This Inner Loop Header: Depth=1
	v_ashrrev_i32_e32 v13, 31, v12
	s_delay_alu instid0(VALU_DEP_1) | instskip(NEXT) | instid1(VALU_DEP_1)
	v_lshlrev_b64 v[15:16], 2, v[12:13]
	v_add_co_u32 v15, s0, s4, v15
	s_delay_alu instid0(VALU_DEP_1) | instskip(SKIP_3) | instid1(VALU_DEP_2)
	v_add_co_ci_u32_e64 v16, s0, s5, v16, s0
	global_load_b32 v19, v[15:16], off
	v_lshlrev_b64 v[15:16], 4, v[12:13]
	v_add_nc_u32_e32 v12, 0x100, v12
	v_add_co_u32 v15, s0, s6, v15
	s_delay_alu instid0(VALU_DEP_1) | instskip(SKIP_3) | instid1(VALU_DEP_1)
	v_add_co_ci_u32_e64 v16, s0, s7, v16, s0
	global_load_b128 v[15:18], v[15:16], off
	s_waitcnt vmcnt(1)
	v_subrev_nc_u32_e32 v19, s12, v19
	v_ashrrev_i32_e32 v20, 31, v19
	s_delay_alu instid0(VALU_DEP_1) | instskip(SKIP_2) | instid1(VALU_DEP_2)
	v_lshlrev_b64 v[19:20], 4, v[19:20]
	s_waitcnt vmcnt(0)
	v_xor_b32_e32 v13, 0x80000000, v18
	v_add_co_u32 v19, s0, s2, v19
	s_delay_alu instid0(VALU_DEP_1) | instskip(NEXT) | instid1(VALU_DEP_3)
	v_add_co_ci_u32_e64 v20, s0, s3, v20, s0
	v_cndmask_b32_e32 v18, v18, v13, vcc_lo
	v_cmp_le_i32_e64 s0, s14, v12
	global_load_b128 v[19:22], v[19:20], off
	v_mul_f64 v[23:24], v[17:18], -v[10:11]
	v_mul_f64 v[17:18], v[8:9], v[17:18]
	s_or_b32 s1, s0, s1
	s_delay_alu instid0(VALU_DEP_2) | instskip(NEXT) | instid1(VALU_DEP_2)
	v_fma_f64 v[23:24], v[8:9], v[15:16], v[23:24]
	v_fma_f64 v[15:16], v[10:11], v[15:16], v[17:18]
	s_waitcnt vmcnt(0)
	s_delay_alu instid0(VALU_DEP_2) | instskip(NEXT) | instid1(VALU_DEP_2)
	v_fma_f64 v[0:1], v[23:24], v[19:20], v[0:1]
	v_fma_f64 v[2:3], v[15:16], v[19:20], v[2:3]
	s_delay_alu instid0(VALU_DEP_2) | instskip(NEXT) | instid1(VALU_DEP_2)
	v_fma_f64 v[0:1], -v[15:16], v[21:22], v[0:1]
	v_fma_f64 v[2:3], v[23:24], v[21:22], v[2:3]
	s_and_not1_b32 exec_lo, exec_lo, s1
	s_cbranch_execnz .LBB66_9
; %bb.10:
	s_or_b32 exec_lo, exec_lo, s1
.LBB66_11:
	s_delay_alu instid0(SALU_CYCLE_1)
	s_or_b32 exec_lo, exec_lo, s13
	v_lshlrev_b32_e32 v8, 4, v14
	s_mov_b32 s0, exec_lo
	ds_store_b128 v8, v[0:3]
	s_waitcnt vmcnt(0) lgkmcnt(0)
	s_barrier
	buffer_gl0_inv
	v_cmpx_gt_u32_e32 0x80, v14
	s_cbranch_execz .LBB66_13
; %bb.12:
	ds_load_b128 v[0:3], v8 offset:2048
	ds_load_b128 v[9:12], v8
	s_waitcnt lgkmcnt(0)
	v_add_f64 v[0:1], v[0:1], v[9:10]
	v_add_f64 v[2:3], v[2:3], v[11:12]
	ds_store_b128 v8, v[0:3]
.LBB66_13:
	s_or_b32 exec_lo, exec_lo, s0
	s_delay_alu instid0(SALU_CYCLE_1)
	s_mov_b32 s0, exec_lo
	s_waitcnt lgkmcnt(0)
	s_barrier
	buffer_gl0_inv
	v_cmpx_gt_u32_e32 64, v14
	s_cbranch_execz .LBB66_15
; %bb.14:
	ds_load_b128 v[0:3], v8 offset:1024
	ds_load_b128 v[9:12], v8
	s_waitcnt lgkmcnt(0)
	v_add_f64 v[0:1], v[0:1], v[9:10]
	v_add_f64 v[2:3], v[2:3], v[11:12]
	ds_store_b128 v8, v[0:3]
.LBB66_15:
	s_or_b32 exec_lo, exec_lo, s0
	s_delay_alu instid0(SALU_CYCLE_1)
	s_mov_b32 s0, exec_lo
	s_waitcnt lgkmcnt(0)
	;; [unrolled: 16-line block ×6, first 2 shown]
	s_barrier
	buffer_gl0_inv
	v_cmpx_gt_u32_e32 2, v14
	s_cbranch_execz .LBB66_25
; %bb.24:
	ds_load_b128 v[0:3], v8
	ds_load_b128 v[9:12], v8 offset:32
	s_waitcnt lgkmcnt(0)
	v_add_f64 v[0:1], v[9:10], v[0:1]
	v_add_f64 v[2:3], v[11:12], v[2:3]
	ds_store_b128 v8, v[0:3]
.LBB66_25:
	s_or_b32 exec_lo, exec_lo, s0
	v_cmp_eq_u32_e32 vcc_lo, 0, v14
	s_waitcnt lgkmcnt(0)
	s_barrier
	buffer_gl0_inv
	s_and_saveexec_b32 s0, vcc_lo
	s_cbranch_execz .LBB66_27
; %bb.26:
	v_mov_b32_e32 v12, 0
	ds_load_b128 v[0:3], v12
	ds_load_b128 v[8:11], v12 offset:16
	s_waitcnt lgkmcnt(0)
	v_add_f64 v[0:1], v[8:9], v[0:1]
	v_add_f64 v[2:3], v[10:11], v[2:3]
	ds_store_b128 v12, v[0:3]
.LBB66_27:
	s_or_b32 exec_lo, exec_lo, s0
	s_waitcnt lgkmcnt(0)
	s_barrier
	buffer_gl0_inv
	s_and_b32 exec_lo, exec_lo, vcc_lo
	s_cbranch_execz .LBB66_31
; %bb.28:
	v_cmp_neq_f64_e32 vcc_lo, 0, v[4:5]
	v_cmp_neq_f64_e64 s0, 0, v[6:7]
	v_mov_b32_e32 v8, 0
	ds_load_b128 v[0:3], v8
	s_or_b32 s1, vcc_lo, s0
	s_delay_alu instid0(SALU_CYCLE_1)
	s_and_saveexec_b32 s0, s1
	s_cbranch_execz .LBB66_30
; %bb.29:
	s_lshl_b64 s[2:3], s[8:9], 4
	s_delay_alu instid0(SALU_CYCLE_1)
	s_add_u32 s2, s10, s2
	s_addc_u32 s3, s11, s3
	s_load_b128 s[4:7], s[2:3], 0x0
	s_waitcnt lgkmcnt(0)
	v_fma_f64 v[0:1], v[4:5], s[4:5], v[0:1]
	v_fma_f64 v[2:3], v[6:7], s[4:5], v[2:3]
	s_delay_alu instid0(VALU_DEP_2) | instskip(NEXT) | instid1(VALU_DEP_2)
	v_fma_f64 v[0:1], -v[6:7], s[6:7], v[0:1]
	v_fma_f64 v[2:3], v[4:5], s[6:7], v[2:3]
.LBB66_30:
	s_or_b32 exec_lo, exec_lo, s0
	s_lshl_b64 s[0:1], s[8:9], 4
	s_delay_alu instid0(SALU_CYCLE_1)
	s_add_u32 s0, s10, s0
	s_addc_u32 s1, s11, s1
	s_waitcnt lgkmcnt(0)
	global_store_b128 v8, v[0:3], s[0:1]
.LBB66_31:
	s_nop 0
	s_sendmsg sendmsg(MSG_DEALLOC_VGPRS)
	s_endpgm
	.section	.rodata,"a",@progbits
	.p2align	6, 0x0
	.amdhsa_kernel _ZN9rocsparseL29csrmvn_lrb_medium_rows_kernelILj256Eii21rocsparse_complex_numIdES2_S2_S2_EEvbT0_PT1_S5_jNS_24const_host_device_scalarIT5_EEPKS3_PKS4_PKT2_PKT3_S8_PT4_21rocsparse_index_base_b
		.amdhsa_group_segment_fixed_size 8192
		.amdhsa_private_segment_fixed_size 0
		.amdhsa_kernarg_size 112
		.amdhsa_user_sgpr_count 15
		.amdhsa_user_sgpr_dispatch_ptr 1
		.amdhsa_user_sgpr_queue_ptr 0
		.amdhsa_user_sgpr_kernarg_segment_ptr 1
		.amdhsa_user_sgpr_dispatch_id 0
		.amdhsa_user_sgpr_private_segment_size 0
		.amdhsa_wavefront_size32 1
		.amdhsa_uses_dynamic_stack 0
		.amdhsa_enable_private_segment 0
		.amdhsa_system_sgpr_workgroup_id_x 1
		.amdhsa_system_sgpr_workgroup_id_y 0
		.amdhsa_system_sgpr_workgroup_id_z 0
		.amdhsa_system_sgpr_workgroup_info 0
		.amdhsa_system_vgpr_workitem_id 2
		.amdhsa_next_free_vgpr 25
		.amdhsa_next_free_sgpr 18
		.amdhsa_reserve_vcc 1
		.amdhsa_float_round_mode_32 0
		.amdhsa_float_round_mode_16_64 0
		.amdhsa_float_denorm_mode_32 3
		.amdhsa_float_denorm_mode_16_64 3
		.amdhsa_dx10_clamp 1
		.amdhsa_ieee_mode 1
		.amdhsa_fp16_overflow 0
		.amdhsa_workgroup_processor_mode 1
		.amdhsa_memory_ordered 1
		.amdhsa_forward_progress 0
		.amdhsa_shared_vgpr_count 0
		.amdhsa_exception_fp_ieee_invalid_op 0
		.amdhsa_exception_fp_denorm_src 0
		.amdhsa_exception_fp_ieee_div_zero 0
		.amdhsa_exception_fp_ieee_overflow 0
		.amdhsa_exception_fp_ieee_underflow 0
		.amdhsa_exception_fp_ieee_inexact 0
		.amdhsa_exception_int_div_zero 0
	.end_amdhsa_kernel
	.section	.text._ZN9rocsparseL29csrmvn_lrb_medium_rows_kernelILj256Eii21rocsparse_complex_numIdES2_S2_S2_EEvbT0_PT1_S5_jNS_24const_host_device_scalarIT5_EEPKS3_PKS4_PKT2_PKT3_S8_PT4_21rocsparse_index_base_b,"axG",@progbits,_ZN9rocsparseL29csrmvn_lrb_medium_rows_kernelILj256Eii21rocsparse_complex_numIdES2_S2_S2_EEvbT0_PT1_S5_jNS_24const_host_device_scalarIT5_EEPKS3_PKS4_PKT2_PKT3_S8_PT4_21rocsparse_index_base_b,comdat
.Lfunc_end66:
	.size	_ZN9rocsparseL29csrmvn_lrb_medium_rows_kernelILj256Eii21rocsparse_complex_numIdES2_S2_S2_EEvbT0_PT1_S5_jNS_24const_host_device_scalarIT5_EEPKS3_PKS4_PKT2_PKT3_S8_PT4_21rocsparse_index_base_b, .Lfunc_end66-_ZN9rocsparseL29csrmvn_lrb_medium_rows_kernelILj256Eii21rocsparse_complex_numIdES2_S2_S2_EEvbT0_PT1_S5_jNS_24const_host_device_scalarIT5_EEPKS3_PKS4_PKT2_PKT3_S8_PT4_21rocsparse_index_base_b
                                        ; -- End function
	.section	.AMDGPU.csdata,"",@progbits
; Kernel info:
; codeLenInByte = 1696
; NumSgprs: 20
; NumVgprs: 25
; ScratchSize: 0
; MemoryBound: 0
; FloatMode: 240
; IeeeMode: 1
; LDSByteSize: 8192 bytes/workgroup (compile time only)
; SGPRBlocks: 2
; VGPRBlocks: 3
; NumSGPRsForWavesPerEU: 20
; NumVGPRsForWavesPerEU: 25
; Occupancy: 16
; WaveLimiterHint : 1
; COMPUTE_PGM_RSRC2:SCRATCH_EN: 0
; COMPUTE_PGM_RSRC2:USER_SGPR: 15
; COMPUTE_PGM_RSRC2:TRAP_HANDLER: 0
; COMPUTE_PGM_RSRC2:TGID_X_EN: 1
; COMPUTE_PGM_RSRC2:TGID_Y_EN: 0
; COMPUTE_PGM_RSRC2:TGID_Z_EN: 0
; COMPUTE_PGM_RSRC2:TIDIG_COMP_CNT: 2
	.section	.text._ZN9rocsparseL27csrmvn_lrb_long_rows_kernelIii21rocsparse_complex_numIdES2_S2_S2_EEvbT_PjPT0_S6_jNS_24const_host_device_scalarIT4_EEPKS3_PKS5_PKT1_PKT2_S9_PT3_21rocsparse_index_base_b,"axG",@progbits,_ZN9rocsparseL27csrmvn_lrb_long_rows_kernelIii21rocsparse_complex_numIdES2_S2_S2_EEvbT_PjPT0_S6_jNS_24const_host_device_scalarIT4_EEPKS3_PKS5_PKT1_PKT2_S9_PT3_21rocsparse_index_base_b,comdat
	.globl	_ZN9rocsparseL27csrmvn_lrb_long_rows_kernelIii21rocsparse_complex_numIdES2_S2_S2_EEvbT_PjPT0_S6_jNS_24const_host_device_scalarIT4_EEPKS3_PKS5_PKT1_PKT2_S9_PT3_21rocsparse_index_base_b ; -- Begin function _ZN9rocsparseL27csrmvn_lrb_long_rows_kernelIii21rocsparse_complex_numIdES2_S2_S2_EEvbT_PjPT0_S6_jNS_24const_host_device_scalarIT4_EEPKS3_PKS5_PKT1_PKT2_S9_PT3_21rocsparse_index_base_b
	.p2align	8
	.type	_ZN9rocsparseL27csrmvn_lrb_long_rows_kernelIii21rocsparse_complex_numIdES2_S2_S2_EEvbT_PjPT0_S6_jNS_24const_host_device_scalarIT4_EEPKS3_PKS5_PKT1_PKT2_S9_PT3_21rocsparse_index_base_b,@function
_ZN9rocsparseL27csrmvn_lrb_long_rows_kernelIii21rocsparse_complex_numIdES2_S2_S2_EEvbT_PjPT0_S6_jNS_24const_host_device_scalarIT4_EEPKS3_PKS5_PKT1_PKT2_S9_PT3_21rocsparse_index_base_b: ; @_ZN9rocsparseL27csrmvn_lrb_long_rows_kernelIii21rocsparse_complex_numIdES2_S2_S2_EEvbT_PjPT0_S6_jNS_24const_host_device_scalarIT4_EEPKS3_PKS5_PKT1_PKT2_S9_PT3_21rocsparse_index_base_b
; %bb.0:
	s_mov_b32 s12, s15
	s_clause 0x1
	s_load_b64 s[18:19], s[2:3], 0x70
	s_load_b128 s[4:7], s[2:3], 0x28
	s_load_b64 s[14:15], s[0:1], 0x4
	s_mov_b64 s[0:1], src_shared_base
	v_and_b32_e32 v12, 0x3ff, v0
	s_load_b128 s[8:11], s[2:3], 0x58
	v_bfe_u32 v2, v0, 10, 10
	v_bfe_u32 v0, v0, 20, 10
	s_waitcnt lgkmcnt(0)
	s_bitcmp1_b32 s19, 0
	s_cselect_b32 s0, -1, 0
	s_delay_alu instid0(SALU_CYCLE_1) | instskip(SKIP_4) | instid1(SALU_CYCLE_1)
	s_and_b32 vcc_lo, s0, exec_lo
	s_cselect_b32 s13, s1, s5
	s_lshr_b32 s14, s14, 16
	v_mov_b32_e32 v5, s13
	s_mul_i32 s14, s14, s15
	v_mul_lo_u32 v1, s14, v12
	s_delay_alu instid0(VALU_DEP_1) | instskip(SKIP_1) | instid1(VALU_DEP_2)
	v_mad_u32_u24 v1, v2, s15, v1
	v_dual_mov_b32 v2, s8 :: v_dual_mov_b32 v3, s9
	v_add_lshl_u32 v6, v1, v0, 3
	v_dual_mov_b32 v0, s4 :: v_dual_mov_b32 v1, s5
	s_delay_alu instid0(VALU_DEP_2)
	v_add_nc_u32_e32 v4, 0x1800, v6
	ds_store_2addr_stride64_b64 v6, v[2:3], v[0:1] offset0:8 offset1:12
	v_add_nc_u32_e32 v0, 0x1000, v6
	v_mov_b32_e32 v6, s6
	v_cndmask_b32_e64 v4, s4, v4, s0
	v_mov_b32_e32 v7, s7
	s_xor_b32 s6, s0, -1
	flat_load_b64 v[4:5], v[4:5]
	s_cbranch_vccnz .LBB67_2
; %bb.1:
	v_dual_mov_b32 v1, s4 :: v_dual_mov_b32 v2, s5
	flat_load_b64 v[6:7], v[1:2] offset:8
.LBB67_2:
	s_and_b32 s4, s0, exec_lo
	s_cselect_b32 s1, s1, s9
	v_cndmask_b32_e64 v0, s8, v0, s0
	v_dual_mov_b32 v1, s1 :: v_dual_mov_b32 v8, s10
	v_mov_b32_e32 v9, s11
	s_and_not1_b32 vcc_lo, exec_lo, s6
	flat_load_b64 v[10:11], v[0:1]
	s_cbranch_vccnz .LBB67_4
; %bb.3:
	v_dual_mov_b32 v0, s8 :: v_dual_mov_b32 v1, s9
	flat_load_b64 v[8:9], v[0:1] offset:8
.LBB67_4:
	s_waitcnt vmcnt(1) lgkmcnt(1)
	v_cmp_eq_f64_e32 vcc_lo, 0, v[4:5]
	v_cmp_eq_f64_e64 s0, 0, v[6:7]
	s_delay_alu instid0(VALU_DEP_1)
	s_and_b32 s4, vcc_lo, s0
	s_mov_b32 s0, -1
	s_and_saveexec_b32 s1, s4
	s_cbranch_execz .LBB67_6
; %bb.5:
	s_waitcnt vmcnt(0) lgkmcnt(0)
	v_cmp_neq_f64_e32 vcc_lo, 1.0, v[10:11]
	v_cmp_neq_f64_e64 s0, 0, v[8:9]
	s_delay_alu instid0(VALU_DEP_1) | instskip(NEXT) | instid1(SALU_CYCLE_1)
	s_or_b32 s0, vcc_lo, s0
	s_or_not1_b32 s0, s0, exec_lo
.LBB67_6:
	s_or_b32 exec_lo, exec_lo, s1
	s_and_saveexec_b32 s1, s0
	s_cbranch_execz .LBB67_44
; %bb.7:
	s_clause 0x1
	s_load_b32 s0, s[2:3], 0x20
	s_load_b64 s[4:5], s[2:3], 0x18
	s_mov_b32 s1, 0
	s_waitcnt lgkmcnt(0)
	s_lshl_b64 s[6:7], s[0:1], 2
	s_delay_alu instid0(SALU_CYCLE_1)
	s_add_u32 s4, s4, s6
	s_addc_u32 s5, s5, s7
	s_lshl_b32 s0, -1, s0
	s_load_b32 s9, s[4:5], 0x0
	s_not_b32 s0, s0
	s_load_b128 s[4:7], s[2:3], 0x8
	s_mul_hi_u32 s0, s0, 0x2aaaaaab
	s_delay_alu instid0(SALU_CYCLE_1) | instskip(NEXT) | instid1(SALU_CYCLE_1)
	s_lshr_b32 s0, s0, 7
	s_add_i32 s8, s0, 1
	s_not_b32 s0, s0
	v_cvt_f32_u32_e32 v0, s8
	s_delay_alu instid0(VALU_DEP_1) | instskip(SKIP_2) | instid1(VALU_DEP_1)
	v_rcp_iflag_f32_e32 v0, v0
	s_waitcnt_depctr 0xfff
	v_mul_f32_e32 v0, 0x4f7ffffe, v0
	v_cvt_u32_f32_e32 v0, v0
	s_delay_alu instid0(VALU_DEP_1) | instskip(SKIP_2) | instid1(VALU_DEP_3)
	v_readfirstlane_b32 s1, v0
	v_mov_b32_e32 v0, 0
	v_mov_b32_e32 v1, 0
	s_mul_i32 s0, s0, s1
	s_delay_alu instid0(SALU_CYCLE_1) | instskip(NEXT) | instid1(SALU_CYCLE_1)
	s_mul_hi_u32 s0, s1, s0
	s_add_i32 s1, s1, s0
	s_delay_alu instid0(SALU_CYCLE_1) | instskip(NEXT) | instid1(SALU_CYCLE_1)
	s_mul_hi_u32 s0, s12, s1
	s_mul_i32 s1, s0, s8
	s_add_i32 s10, s0, 1
	s_sub_i32 s1, s12, s1
	s_delay_alu instid0(SALU_CYCLE_1)
	s_sub_i32 s11, s1, s8
	s_cmp_ge_u32 s1, s8
	s_cselect_b32 s0, s10, s0
	s_cselect_b32 s1, s11, s1
	s_add_i32 s10, s0, 1
	s_cmp_ge_u32 s1, s8
	s_cselect_b32 s10, s10, s0
	s_waitcnt lgkmcnt(0)
	s_add_i32 s0, s10, s9
	s_mul_i32 s16, s10, s8
	s_ashr_i32 s1, s0, 31
	s_sub_i32 s20, s12, s16
	s_lshl_b64 s[0:1], s[0:1], 2
	v_or_b32_e32 v2, s20, v12
	s_add_u32 s0, s6, s0
	s_addc_u32 s1, s7, s1
	s_load_b32 s6, s[0:1], 0x0
	s_load_b64 s[0:1], s[2:3], 0x38
	v_cmp_eq_u32_e32 vcc_lo, 0, v2
	v_dual_mov_b32 v3, v1 :: v_dual_mov_b32 v2, v0
	s_waitcnt lgkmcnt(0)
	s_ashr_i32 s7, s6, 31
	s_delay_alu instid0(SALU_CYCLE_1) | instskip(NEXT) | instid1(SALU_CYCLE_1)
	s_lshl_b64 s[8:9], s[6:7], 2
	s_add_u32 s0, s0, s8
	s_addc_u32 s1, s1, s9
	s_ashr_i32 s13, s12, 31
	s_delay_alu instid0(SALU_CYCLE_1)
	s_lshl_b64 s[8:9], s[12:13], 2
	s_load_b64 s[12:13], s[2:3], 0x68
	s_add_u32 s14, s4, s8
	s_addc_u32 s15, s5, s9
	s_load_b64 s[0:1], s[0:1], 0x0
	s_load_b32 s19, s[14:15], 0x0
	s_and_saveexec_b32 s21, vcc_lo
	s_cbranch_execz .LBB67_11
; %bb.8:
	s_waitcnt vmcnt(0)
	v_add_f64 v[0:1], v[10:11], -1.0
	s_lshl_b64 s[8:9], s[6:7], 4
	s_mov_b32 s22, exec_lo
	s_waitcnt lgkmcnt(0)
	s_add_u32 s8, s12, s8
	s_addc_u32 s9, s13, s9
	v_mbcnt_lo_u32_b32 v13, s22, 0
	s_load_b128 s[8:11], s[8:9], 0x0
	s_waitcnt vmcnt(0) expcnt(0) lgkmcnt(0)
	v_mul_f64 v[2:3], s[10:11], -v[8:9]
	s_delay_alu instid0(VALU_DEP_3)
	v_mul_f64 v[10:11], v[0:1], s[10:11]
	s_mov_b32 s10, exec_lo
	v_cmpx_eq_u32_e32 0, v13
	s_cbranch_execz .LBB67_10
; %bb.9:
	s_ashr_i32 s17, s16, 31
	s_delay_alu instid0(SALU_CYCLE_1) | instskip(NEXT) | instid1(SALU_CYCLE_1)
	s_lshl_b64 s[24:25], s[16:17], 2
	s_add_u32 s24, s4, s24
	s_addc_u32 s25, s5, s25
	s_bcnt1_i32_b32 s11, s22
	s_delay_alu instid0(SALU_CYCLE_1) | instskip(NEXT) | instid1(SALU_CYCLE_1)
	s_and_b32 s11, s11, 1
	v_dual_mov_b32 v13, 0 :: v_dual_mov_b32 v14, s11
	global_atomic_xor_b32 v13, v14, s[24:25]
.LBB67_10:
	s_or_b32 exec_lo, exec_lo, s10
	s_delay_alu instid0(VALU_DEP_3) | instskip(NEXT) | instid1(VALU_DEP_3)
	v_fma_f64 v[0:1], v[0:1], s[8:9], v[2:3]
	v_fma_f64 v[2:3], v[8:9], s[8:9], v[10:11]
.LBB67_11:
	s_or_b32 exec_lo, exec_lo, s21
	s_mul_i32 s8, s20, 0x300
	s_waitcnt lgkmcnt(0)
	s_sub_i32 s1, s1, s18
	s_sub_i32 s8, s8, s18
	s_delay_alu instid0(SALU_CYCLE_1) | instskip(SKIP_3) | instid1(SALU_CYCLE_1)
	s_add_i32 s0, s8, s0
	s_waitcnt vmcnt(0)
	v_add_nc_u32_e32 v8, s0, v12
	s_addk_i32 s0, 0x300
	s_min_i32 s17, s0, s1
	s_mov_b32 s1, exec_lo
	s_delay_alu instid0(VALU_DEP_1)
	v_cmpx_gt_i32_e64 s17, v8
	s_cbranch_execz .LBB67_15
; %bb.12:
	s_clause 0x2
	s_load_b32 s0, s[2:3], 0x0
	s_load_b128 s[8:11], s[2:3], 0x40
	s_load_b64 s[2:3], s[2:3], 0x50
	s_mov_b32 s21, 0
	s_waitcnt lgkmcnt(0)
	s_bitcmp1_b32 s0, 0
	s_cselect_b32 vcc_lo, -1, 0
.LBB67_13:                              ; =>This Inner Loop Header: Depth=1
	v_ashrrev_i32_e32 v9, 31, v8
	s_delay_alu instid0(VALU_DEP_1) | instskip(NEXT) | instid1(VALU_DEP_1)
	v_lshlrev_b64 v[10:11], 2, v[8:9]
	v_add_co_u32 v10, s0, s8, v10
	s_delay_alu instid0(VALU_DEP_1) | instskip(SKIP_3) | instid1(VALU_DEP_2)
	v_add_co_ci_u32_e64 v11, s0, s9, v11, s0
	global_load_b32 v11, v[10:11], off
	v_lshlrev_b64 v[9:10], 4, v[8:9]
	v_add_nc_u32_e32 v8, 0x100, v8
	v_add_co_u32 v9, s0, s10, v9
	s_delay_alu instid0(VALU_DEP_1) | instskip(SKIP_3) | instid1(VALU_DEP_1)
	v_add_co_ci_u32_e64 v10, s0, s11, v10, s0
	global_load_b128 v[13:16], v[9:10], off
	s_waitcnt vmcnt(1)
	v_subrev_nc_u32_e32 v9, s18, v11
	v_ashrrev_i32_e32 v10, 31, v9
	s_delay_alu instid0(VALU_DEP_1) | instskip(NEXT) | instid1(VALU_DEP_1)
	v_lshlrev_b64 v[9:10], 4, v[9:10]
	v_add_co_u32 v9, s0, s2, v9
	s_delay_alu instid0(VALU_DEP_1)
	v_add_co_ci_u32_e64 v10, s0, s3, v10, s0
	v_cmp_le_i32_e64 s0, s17, v8
	global_load_b128 v[17:20], v[9:10], off
	s_waitcnt vmcnt(1)
	v_xor_b32_e32 v9, 0x80000000, v16
	s_or_b32 s21, s0, s21
	s_delay_alu instid0(VALU_DEP_1) | instskip(NEXT) | instid1(VALU_DEP_1)
	v_cndmask_b32_e32 v16, v16, v9, vcc_lo
	v_mul_f64 v[9:10], v[15:16], -v[6:7]
	v_mul_f64 v[15:16], v[4:5], v[15:16]
	s_delay_alu instid0(VALU_DEP_2) | instskip(NEXT) | instid1(VALU_DEP_2)
	v_fma_f64 v[9:10], v[4:5], v[13:14], v[9:10]
	v_fma_f64 v[13:14], v[6:7], v[13:14], v[15:16]
	s_waitcnt vmcnt(0)
	s_delay_alu instid0(VALU_DEP_2) | instskip(NEXT) | instid1(VALU_DEP_2)
	v_fma_f64 v[0:1], v[9:10], v[17:18], v[0:1]
	v_fma_f64 v[2:3], v[13:14], v[17:18], v[2:3]
	s_delay_alu instid0(VALU_DEP_2) | instskip(NEXT) | instid1(VALU_DEP_2)
	v_fma_f64 v[0:1], -v[13:14], v[19:20], v[0:1]
	v_fma_f64 v[2:3], v[9:10], v[19:20], v[2:3]
	s_and_not1_b32 exec_lo, exec_lo, s21
	s_cbranch_execnz .LBB67_13
; %bb.14:
	s_or_b32 exec_lo, exec_lo, s21
.LBB67_15:
	s_delay_alu instid0(SALU_CYCLE_1)
	s_or_b32 exec_lo, exec_lo, s1
	v_lshlrev_b32_e32 v4, 4, v12
	s_mov_b32 s0, exec_lo
	ds_store_b128 v4, v[0:3]
	s_waitcnt lgkmcnt(0)
	s_waitcnt_vscnt null, 0x0
	s_barrier
	buffer_gl0_inv
	v_cmpx_gt_u32_e32 0x80, v12
	s_cbranch_execz .LBB67_17
; %bb.16:
	ds_load_b128 v[0:3], v4 offset:2048
	ds_load_b128 v[5:8], v4
	s_waitcnt lgkmcnt(0)
	v_add_f64 v[0:1], v[0:1], v[5:6]
	v_add_f64 v[2:3], v[2:3], v[7:8]
	ds_store_b128 v4, v[0:3]
.LBB67_17:
	s_or_b32 exec_lo, exec_lo, s0
	s_delay_alu instid0(SALU_CYCLE_1)
	s_mov_b32 s0, exec_lo
	s_waitcnt lgkmcnt(0)
	s_barrier
	buffer_gl0_inv
	v_cmpx_gt_u32_e32 64, v12
	s_cbranch_execz .LBB67_19
; %bb.18:
	ds_load_b128 v[0:3], v4 offset:1024
	ds_load_b128 v[5:8], v4
	s_waitcnt lgkmcnt(0)
	v_add_f64 v[0:1], v[0:1], v[5:6]
	v_add_f64 v[2:3], v[2:3], v[7:8]
	ds_store_b128 v4, v[0:3]
.LBB67_19:
	s_or_b32 exec_lo, exec_lo, s0
	s_delay_alu instid0(SALU_CYCLE_1)
	s_mov_b32 s0, exec_lo
	s_waitcnt lgkmcnt(0)
	;; [unrolled: 16-line block ×6, first 2 shown]
	s_barrier
	buffer_gl0_inv
	v_cmpx_gt_u32_e32 2, v12
	s_cbranch_execz .LBB67_29
; %bb.28:
	ds_load_b128 v[0:3], v4
	ds_load_b128 v[5:8], v4 offset:32
	s_waitcnt lgkmcnt(0)
	v_add_f64 v[0:1], v[5:6], v[0:1]
	v_add_f64 v[2:3], v[7:8], v[2:3]
	ds_store_b128 v4, v[0:3]
.LBB67_29:
	s_or_b32 exec_lo, exec_lo, s0
	v_cmp_eq_u32_e32 vcc_lo, 0, v12
	s_waitcnt lgkmcnt(0)
	s_barrier
	buffer_gl0_inv
	s_and_saveexec_b32 s0, vcc_lo
	s_cbranch_execz .LBB67_31
; %bb.30:
	v_mov_b32_e32 v8, 0
	ds_load_b128 v[0:3], v8
	ds_load_b128 v[4:7], v8 offset:16
	s_waitcnt lgkmcnt(0)
	v_add_f64 v[0:1], v[4:5], v[0:1]
	v_add_f64 v[2:3], v[6:7], v[2:3]
	ds_store_b128 v8, v[0:3]
.LBB67_31:
	s_or_b32 exec_lo, exec_lo, s0
	s_waitcnt lgkmcnt(0)
	s_barrier
	buffer_gl0_inv
	s_and_b32 exec_lo, exec_lo, vcc_lo
	s_cbranch_execz .LBB67_44
; %bb.32:
	s_cmp_eq_u32 s20, 0
	s_cbranch_scc1 .LBB67_38
; %bb.33:
	s_ashr_i32 s17, s16, 31
	v_mov_b32_e32 v0, 0
	s_lshl_b64 s[0:1], s[16:17], 2
	s_delay_alu instid0(SALU_CYCLE_1)
	s_add_u32 s0, s4, s0
	s_addc_u32 s1, s5, s1
	s_branch .LBB67_35
.LBB67_34:                              ;   in Loop: Header=BB67_35 Depth=1
	s_or_b32 exec_lo, exec_lo, s2
	s_waitcnt vmcnt(0)
	v_readfirstlane_b32 s2, v1
	s_delay_alu instid0(VALU_DEP_1)
	s_cmp_eq_u32 s2, s19
	s_cbranch_scc0 .LBB67_37
.LBB67_35:                              ; =>This Inner Loop Header: Depth=1
	v_mbcnt_lo_u32_b32 v1, exec_lo, 0
	s_delay_alu instid0(VALU_DEP_1)
	v_cmp_eq_u32_e32 vcc_lo, 0, v1
                                        ; implicit-def: $vgpr1
	s_and_saveexec_b32 s2, vcc_lo
	s_cbranch_execz .LBB67_34
; %bb.36:                               ;   in Loop: Header=BB67_35 Depth=1
	global_load_b32 v1, v0, s[0:1] glc
	s_branch .LBB67_34
.LBB67_37:
	v_mov_b32_e32 v0, 0
	global_load_b32 v1, v0, s[14:15]
	s_waitcnt vmcnt(0)
	v_xor_b32_e32 v1, 1, v1
	global_store_b32 v0, v1, s[14:15]
.LBB67_38:
	v_mov_b32_e32 v8, 0
	s_mov_b32 s3, exec_lo
	s_lshl_b64 s[0:1], s[6:7], 4
	v_mbcnt_lo_u32_b32 v4, s3, 0
	s_add_u32 s0, s12, s0
	ds_load_b128 v[0:3], v8
	s_addc_u32 s1, s13, s1
	s_mov_b32 s2, exec_lo
	v_cmpx_eq_u32_e32 0, v4
	s_cbranch_execz .LBB67_41
; %bb.39:
	global_load_b64 v[6:7], v8, s[0:1]
	s_bcnt1_i32_b32 s3, s3
	s_delay_alu instid0(SALU_CYCLE_1) | instskip(SKIP_2) | instid1(VALU_DEP_1)
	v_cvt_f64_u32_e32 v[4:5], s3
	s_mov_b32 s3, 0
	s_waitcnt lgkmcnt(0)
	v_mul_f64 v[0:1], v[0:1], v[4:5]
.LBB67_40:                              ; =>This Inner Loop Header: Depth=1
	s_waitcnt vmcnt(0)
	s_delay_alu instid0(VALU_DEP_1)
	v_add_f64 v[4:5], v[6:7], v[0:1]
	global_atomic_cmpswap_b64 v[4:5], v8, v[4:7], s[0:1] glc
	s_waitcnt vmcnt(0)
	v_cmp_eq_u64_e32 vcc_lo, v[4:5], v[6:7]
	v_dual_mov_b32 v7, v5 :: v_dual_mov_b32 v6, v4
	s_or_b32 s3, vcc_lo, s3
	s_delay_alu instid0(SALU_CYCLE_1)
	s_and_not1_b32 exec_lo, exec_lo, s3
	s_cbranch_execnz .LBB67_40
.LBB67_41:
	s_or_b32 exec_lo, exec_lo, s2
	s_delay_alu instid0(SALU_CYCLE_1) | instskip(SKIP_3) | instid1(VALU_DEP_1)
	s_mov_b32 s3, exec_lo
	s_mov_b32 s2, 0
	s_waitcnt lgkmcnt(0)
	v_mbcnt_lo_u32_b32 v0, s3, 0
	v_cmp_eq_u32_e32 vcc_lo, 0, v0
	s_and_b32 s4, exec_lo, vcc_lo
	s_delay_alu instid0(SALU_CYCLE_1)
	s_mov_b32 exec_lo, s4
	s_cbranch_execz .LBB67_44
; %bb.42:
	v_mov_b32_e32 v6, 0
	s_bcnt1_i32_b32 s3, s3
	s_delay_alu instid0(SALU_CYCLE_1)
	v_cvt_f64_u32_e32 v[0:1], s3
	global_load_b64 v[4:5], v6, s[0:1] offset:8
	v_mul_f64 v[0:1], v[2:3], v[0:1]
.LBB67_43:                              ; =>This Inner Loop Header: Depth=1
	s_waitcnt vmcnt(0)
	s_delay_alu instid0(VALU_DEP_1)
	v_add_f64 v[2:3], v[4:5], v[0:1]
	global_atomic_cmpswap_b64 v[2:3], v6, v[2:5], s[0:1] offset:8 glc
	s_waitcnt vmcnt(0)
	v_cmp_eq_u64_e32 vcc_lo, v[2:3], v[4:5]
	v_dual_mov_b32 v5, v3 :: v_dual_mov_b32 v4, v2
	s_or_b32 s2, vcc_lo, s2
	s_delay_alu instid0(SALU_CYCLE_1)
	s_and_not1_b32 exec_lo, exec_lo, s2
	s_cbranch_execnz .LBB67_43
.LBB67_44:
	s_nop 0
	s_sendmsg sendmsg(MSG_DEALLOC_VGPRS)
	s_endpgm
	.section	.rodata,"a",@progbits
	.p2align	6, 0x0
	.amdhsa_kernel _ZN9rocsparseL27csrmvn_lrb_long_rows_kernelIii21rocsparse_complex_numIdES2_S2_S2_EEvbT_PjPT0_S6_jNS_24const_host_device_scalarIT4_EEPKS3_PKS5_PKT1_PKT2_S9_PT3_21rocsparse_index_base_b
		.amdhsa_group_segment_fixed_size 8192
		.amdhsa_private_segment_fixed_size 0
		.amdhsa_kernarg_size 120
		.amdhsa_user_sgpr_count 15
		.amdhsa_user_sgpr_dispatch_ptr 1
		.amdhsa_user_sgpr_queue_ptr 0
		.amdhsa_user_sgpr_kernarg_segment_ptr 1
		.amdhsa_user_sgpr_dispatch_id 0
		.amdhsa_user_sgpr_private_segment_size 0
		.amdhsa_wavefront_size32 1
		.amdhsa_uses_dynamic_stack 0
		.amdhsa_enable_private_segment 0
		.amdhsa_system_sgpr_workgroup_id_x 1
		.amdhsa_system_sgpr_workgroup_id_y 0
		.amdhsa_system_sgpr_workgroup_id_z 0
		.amdhsa_system_sgpr_workgroup_info 0
		.amdhsa_system_vgpr_workitem_id 2
		.amdhsa_next_free_vgpr 21
		.amdhsa_next_free_sgpr 26
		.amdhsa_reserve_vcc 1
		.amdhsa_float_round_mode_32 0
		.amdhsa_float_round_mode_16_64 0
		.amdhsa_float_denorm_mode_32 3
		.amdhsa_float_denorm_mode_16_64 3
		.amdhsa_dx10_clamp 1
		.amdhsa_ieee_mode 1
		.amdhsa_fp16_overflow 0
		.amdhsa_workgroup_processor_mode 1
		.amdhsa_memory_ordered 1
		.amdhsa_forward_progress 0
		.amdhsa_shared_vgpr_count 0
		.amdhsa_exception_fp_ieee_invalid_op 0
		.amdhsa_exception_fp_denorm_src 0
		.amdhsa_exception_fp_ieee_div_zero 0
		.amdhsa_exception_fp_ieee_overflow 0
		.amdhsa_exception_fp_ieee_underflow 0
		.amdhsa_exception_fp_ieee_inexact 0
		.amdhsa_exception_int_div_zero 0
	.end_amdhsa_kernel
	.section	.text._ZN9rocsparseL27csrmvn_lrb_long_rows_kernelIii21rocsparse_complex_numIdES2_S2_S2_EEvbT_PjPT0_S6_jNS_24const_host_device_scalarIT4_EEPKS3_PKS5_PKT1_PKT2_S9_PT3_21rocsparse_index_base_b,"axG",@progbits,_ZN9rocsparseL27csrmvn_lrb_long_rows_kernelIii21rocsparse_complex_numIdES2_S2_S2_EEvbT_PjPT0_S6_jNS_24const_host_device_scalarIT4_EEPKS3_PKS5_PKT1_PKT2_S9_PT3_21rocsparse_index_base_b,comdat
.Lfunc_end67:
	.size	_ZN9rocsparseL27csrmvn_lrb_long_rows_kernelIii21rocsparse_complex_numIdES2_S2_S2_EEvbT_PjPT0_S6_jNS_24const_host_device_scalarIT4_EEPKS3_PKS5_PKT1_PKT2_S9_PT3_21rocsparse_index_base_b, .Lfunc_end67-_ZN9rocsparseL27csrmvn_lrb_long_rows_kernelIii21rocsparse_complex_numIdES2_S2_S2_EEvbT_PjPT0_S6_jNS_24const_host_device_scalarIT4_EEPKS3_PKS5_PKT1_PKT2_S9_PT3_21rocsparse_index_base_b
                                        ; -- End function
	.section	.AMDGPU.csdata,"",@progbits
; Kernel info:
; codeLenInByte = 2336
; NumSgprs: 28
; NumVgprs: 21
; ScratchSize: 0
; MemoryBound: 0
; FloatMode: 240
; IeeeMode: 1
; LDSByteSize: 8192 bytes/workgroup (compile time only)
; SGPRBlocks: 3
; VGPRBlocks: 2
; NumSGPRsForWavesPerEU: 28
; NumVGPRsForWavesPerEU: 21
; Occupancy: 16
; WaveLimiterHint : 1
; COMPUTE_PGM_RSRC2:SCRATCH_EN: 0
; COMPUTE_PGM_RSRC2:USER_SGPR: 15
; COMPUTE_PGM_RSRC2:TRAP_HANDLER: 0
; COMPUTE_PGM_RSRC2:TGID_X_EN: 1
; COMPUTE_PGM_RSRC2:TGID_Y_EN: 0
; COMPUTE_PGM_RSRC2:TGID_Z_EN: 0
; COMPUTE_PGM_RSRC2:TIDIG_COMP_CNT: 2
	.section	.text._ZN9rocsparseL28csrmvn_lrb_short_rows_kernelIli21rocsparse_complex_numIdES2_S2_S2_EEvbT_PT0_S5_jNS_24const_host_device_scalarIT4_EEPKS3_PKS4_PKT1_PKT2_S8_PT3_21rocsparse_index_base_b,"axG",@progbits,_ZN9rocsparseL28csrmvn_lrb_short_rows_kernelIli21rocsparse_complex_numIdES2_S2_S2_EEvbT_PT0_S5_jNS_24const_host_device_scalarIT4_EEPKS3_PKS4_PKT1_PKT2_S8_PT3_21rocsparse_index_base_b,comdat
	.globl	_ZN9rocsparseL28csrmvn_lrb_short_rows_kernelIli21rocsparse_complex_numIdES2_S2_S2_EEvbT_PT0_S5_jNS_24const_host_device_scalarIT4_EEPKS3_PKS4_PKT1_PKT2_S8_PT3_21rocsparse_index_base_b ; -- Begin function _ZN9rocsparseL28csrmvn_lrb_short_rows_kernelIli21rocsparse_complex_numIdES2_S2_S2_EEvbT_PT0_S5_jNS_24const_host_device_scalarIT4_EEPKS3_PKS4_PKT1_PKT2_S8_PT3_21rocsparse_index_base_b
	.p2align	8
	.type	_ZN9rocsparseL28csrmvn_lrb_short_rows_kernelIli21rocsparse_complex_numIdES2_S2_S2_EEvbT_PT0_S5_jNS_24const_host_device_scalarIT4_EEPKS3_PKS4_PKT1_PKT2_S8_PT3_21rocsparse_index_base_b,@function
_ZN9rocsparseL28csrmvn_lrb_short_rows_kernelIli21rocsparse_complex_numIdES2_S2_S2_EEvbT_PT0_S5_jNS_24const_host_device_scalarIT4_EEPKS3_PKS4_PKT1_PKT2_S8_PT3_21rocsparse_index_base_b: ; @_ZN9rocsparseL28csrmvn_lrb_short_rows_kernelIli21rocsparse_complex_numIdES2_S2_S2_EEvbT_PT0_S5_jNS_24const_host_device_scalarIT4_EEPKS3_PKS4_PKT1_PKT2_S8_PT3_21rocsparse_index_base_b
; %bb.0:
	s_clause 0x2
	s_load_b64 s[12:13], s[0:1], 0x70
	s_load_b128 s[8:11], s[0:1], 0x28
	s_load_b128 s[4:7], s[0:1], 0x58
	s_mov_b64 s[2:3], src_private_base
	v_mov_b32_e32 v1, 0
	s_waitcnt lgkmcnt(0)
	s_bitcmp1_b32 s13, 0
	v_dual_mov_b32 v3, s8 :: v_dual_mov_b32 v6, s5
	s_cselect_b32 s2, -1, 0
	v_mov_b32_e32 v4, s9
	s_and_b32 vcc_lo, s2, exec_lo
	s_cselect_b32 s13, s3, s9
	v_cndmask_b32_e64 v1, s8, v1, s2
	v_dual_mov_b32 v5, s4 :: v_dual_mov_b32 v2, s13
	s_clause 0x1
	scratch_store_b64 off, v[3:4], off
	scratch_store_b64 off, v[5:6], off offset:8
	v_dual_mov_b32 v12, s11 :: v_dual_mov_b32 v11, s10
	flat_load_b64 v[9:10], v[1:2]
	s_xor_b32 s10, s2, -1
	s_cbranch_vccnz .LBB68_2
; %bb.1:
	v_dual_mov_b32 v1, s8 :: v_dual_mov_b32 v2, s9
	flat_load_b64 v[11:12], v[1:2] offset:8
.LBB68_2:
	s_and_b32 s8, s2, exec_lo
	s_cselect_b32 s3, s3, s5
	s_delay_alu instid0(SALU_CYCLE_1) | instskip(SKIP_2) | instid1(VALU_DEP_2)
	v_dual_mov_b32 v1, 8 :: v_dual_mov_b32 v2, s3
	v_dual_mov_b32 v8, s7 :: v_dual_mov_b32 v7, s6
	s_and_not1_b32 vcc_lo, exec_lo, s10
	v_cndmask_b32_e64 v1, s4, v1, s2
	flat_load_b64 v[5:6], v[1:2]
	s_cbranch_vccnz .LBB68_4
; %bb.3:
	v_dual_mov_b32 v1, s4 :: v_dual_mov_b32 v2, s5
	flat_load_b64 v[7:8], v[1:2] offset:8
.LBB68_4:
	s_waitcnt vmcnt(1) lgkmcnt(1)
	v_cmp_eq_f64_e32 vcc_lo, 0, v[9:10]
	v_cmp_eq_f64_e64 s2, 0, v[11:12]
	s_delay_alu instid0(VALU_DEP_1)
	s_and_b32 s4, vcc_lo, s2
	s_mov_b32 s2, -1
	s_and_saveexec_b32 s3, s4
	s_cbranch_execz .LBB68_6
; %bb.5:
	s_waitcnt vmcnt(0) lgkmcnt(0)
	v_cmp_neq_f64_e32 vcc_lo, 1.0, v[5:6]
	v_cmp_neq_f64_e64 s2, 0, v[7:8]
	s_delay_alu instid0(VALU_DEP_1) | instskip(NEXT) | instid1(SALU_CYCLE_1)
	s_or_b32 s2, vcc_lo, s2
	s_or_not1_b32 s2, s2, exec_lo
.LBB68_6:
	s_or_b32 exec_lo, exec_lo, s3
	s_and_saveexec_b32 s3, s2
	s_cbranch_execz .LBB68_20
; %bb.7:
	s_clause 0x1
	s_load_b32 s20, s[0:1], 0x20
	s_load_b128 s[16:19], s[0:1], 0x10
	s_mov_b32 s21, 0
	s_delay_alu instid0(SALU_CYCLE_1) | instskip(SKIP_2) | instid1(SALU_CYCLE_1)
	s_mov_b32 s5, s21
	s_waitcnt lgkmcnt(0)
	s_lshl_b64 s[2:3], s[20:21], 2
	s_add_u32 s2, s18, s2
	s_addc_u32 s3, s19, s3
	s_add_i32 s4, s20, 1
	s_delay_alu instid0(SALU_CYCLE_1) | instskip(NEXT) | instid1(SALU_CYCLE_1)
	s_lshl_b64 s[4:5], s[4:5], 2
	s_add_u32 s4, s18, s4
	s_addc_u32 s5, s19, s5
	s_clause 0x1
	s_load_b32 s3, s[2:3], 0x0
	s_load_b32 s2, s[4:5], 0x0
	s_lshl_b32 s13, s15, 8
	s_delay_alu instid0(SALU_CYCLE_1) | instskip(SKIP_2) | instid1(SALU_CYCLE_1)
	s_add_i32 s4, s13, 0x100
	s_waitcnt lgkmcnt(0)
	s_sub_i32 s2, s2, s3
	s_min_u32 s14, s2, s4
	s_cmp_gt_u32 s20, 23
	s_cbranch_scc1 .LBB68_14
; %bb.8:
	s_clause 0x1
	s_load_b32 s2, s[0:1], 0x0
	s_load_b256 s[4:11], s[0:1], 0x38
	v_mov_b32_e32 v14, 0
	s_lshl_b32 s15, 0x100, s20
	v_bfe_u32 v15, v0, 0, s20
	v_lshl_add_u32 v19, v0, 4, 0
	s_delay_alu instid0(VALU_DEP_3)
	v_mov_b32_e32 v16, v14
	s_waitcnt lgkmcnt(0)
	s_bitcmp1_b32 s2, 0
	s_cselect_b32 vcc_lo, -1, 0
	s_branch .LBB68_11
.LBB68_9:                               ;   in Loop: Header=BB68_11 Depth=1
	s_or_b32 exec_lo, exec_lo, s19
	ds_store_2addr_b64 v19, v[3:4], v[17:18] offset1:1
.LBB68_10:                              ;   in Loop: Header=BB68_11 Depth=1
	s_or_b32 exec_lo, exec_lo, s18
	v_add_nc_u32_e32 v19, 0x1000, v19
	s_addk_i32 s21, 0x100
	s_delay_alu instid0(SALU_CYCLE_1)
	s_cmp_ge_u32 s21, s15
	s_cbranch_scc1 .LBB68_14
.LBB68_11:                              ; =>This Inner Loop Header: Depth=1
	v_add_nc_u32_e32 v1, s21, v0
	s_mov_b32 s18, exec_lo
	s_delay_alu instid0(VALU_DEP_1) | instskip(NEXT) | instid1(VALU_DEP_1)
	v_lshrrev_b32_e32 v1, s20, v1
	v_add_nc_u32_e32 v1, s13, v1
	s_delay_alu instid0(VALU_DEP_1)
	v_cmpx_gt_u32_e64 s14, v1
	s_cbranch_execz .LBB68_10
; %bb.12:                               ;   in Loop: Header=BB68_11 Depth=1
	v_add_nc_u32_e32 v13, s3, v1
	s_delay_alu instid0(VALU_DEP_1) | instskip(NEXT) | instid1(VALU_DEP_1)
	v_lshlrev_b64 v[1:2], 2, v[13:14]
	v_add_co_u32 v1, s2, s16, v1
	s_delay_alu instid0(VALU_DEP_1) | instskip(SKIP_3) | instid1(VALU_DEP_1)
	v_add_co_ci_u32_e64 v2, s2, s17, v2, s2
	global_load_b32 v1, v[1:2], off
	s_waitcnt vmcnt(0)
	v_ashrrev_i32_e32 v2, 31, v1
	v_lshlrev_b64 v[1:2], 3, v[1:2]
	s_delay_alu instid0(VALU_DEP_1) | instskip(NEXT) | instid1(VALU_DEP_1)
	v_add_co_u32 v1, s2, s4, v1
	v_add_co_ci_u32_e64 v2, s2, s5, v2, s2
	global_load_b128 v[1:4], v[1:2], off
	s_waitcnt vmcnt(0)
	v_sub_co_u32 v17, s2, v3, v1
	s_delay_alu instid0(VALU_DEP_1) | instskip(SKIP_2) | instid1(VALU_DEP_3)
	v_sub_co_ci_u32_e64 v18, s2, v4, v2, s2
	v_mov_b32_e32 v3, 0
	v_mov_b32_e32 v4, 0
	v_cmp_gt_i64_e64 s2, v[17:18], v[15:16]
	s_delay_alu instid0(VALU_DEP_2) | instskip(NEXT) | instid1(VALU_DEP_2)
	v_dual_mov_b32 v18, v4 :: v_dual_mov_b32 v17, v3
	s_and_saveexec_b32 s19, s2
	s_cbranch_execz .LBB68_9
; %bb.13:                               ;   in Loop: Header=BB68_11 Depth=1
	v_sub_co_u32 v1, s2, v1, s12
	s_delay_alu instid0(VALU_DEP_1) | instskip(NEXT) | instid1(VALU_DEP_2)
	v_subrev_co_ci_u32_e64 v2, s2, 0, v2, s2
	v_add_co_u32 v1, s2, v1, v15
	s_delay_alu instid0(VALU_DEP_1) | instskip(NEXT) | instid1(VALU_DEP_1)
	v_add_co_ci_u32_e64 v2, s2, 0, v2, s2
	v_lshlrev_b64 v[3:4], 2, v[1:2]
	v_lshlrev_b64 v[1:2], 4, v[1:2]
	s_delay_alu instid0(VALU_DEP_2) | instskip(NEXT) | instid1(VALU_DEP_1)
	v_add_co_u32 v3, s2, s6, v3
	v_add_co_ci_u32_e64 v4, s2, s7, v4, s2
	s_delay_alu instid0(VALU_DEP_3) | instskip(NEXT) | instid1(VALU_DEP_1)
	v_add_co_u32 v1, s2, s8, v1
	v_add_co_ci_u32_e64 v2, s2, s9, v2, s2
	global_load_b32 v13, v[3:4], off
	global_load_b128 v[1:4], v[1:2], off
	s_waitcnt vmcnt(1)
	v_subrev_nc_u32_e32 v17, s12, v13
	s_waitcnt vmcnt(0)
	v_xor_b32_e32 v13, 0x80000000, v4
	s_delay_alu instid0(VALU_DEP_2) | instskip(NEXT) | instid1(VALU_DEP_2)
	v_ashrrev_i32_e32 v18, 31, v17
	v_cndmask_b32_e32 v4, v4, v13, vcc_lo
	s_delay_alu instid0(VALU_DEP_2) | instskip(NEXT) | instid1(VALU_DEP_1)
	v_lshlrev_b64 v[17:18], 4, v[17:18]
	v_add_co_u32 v17, s2, s10, v17
	s_delay_alu instid0(VALU_DEP_1) | instskip(SKIP_3) | instid1(VALU_DEP_2)
	v_add_co_ci_u32_e64 v18, s2, s11, v18, s2
	global_load_b128 v[20:23], v[17:18], off
	v_mul_f64 v[17:18], v[9:10], v[3:4]
	v_mul_f64 v[3:4], v[3:4], -v[11:12]
	v_fma_f64 v[17:18], v[11:12], v[1:2], v[17:18]
	s_delay_alu instid0(VALU_DEP_2) | instskip(SKIP_1) | instid1(VALU_DEP_2)
	v_fma_f64 v[1:2], v[9:10], v[1:2], v[3:4]
	s_waitcnt vmcnt(0)
	v_mul_f64 v[3:4], v[22:23], -v[17:18]
	s_delay_alu instid0(VALU_DEP_2) | instskip(NEXT) | instid1(VALU_DEP_2)
	v_mul_f64 v[22:23], v[1:2], v[22:23]
	v_fma_f64 v[3:4], v[1:2], v[20:21], v[3:4]
	s_delay_alu instid0(VALU_DEP_2)
	v_fma_f64 v[17:18], v[17:18], v[20:21], v[22:23]
	s_branch .LBB68_9
.LBB68_14:
	s_sub_i32 s2, s14, s13
	s_waitcnt vmcnt(0) lgkmcnt(0)
	s_waitcnt_vscnt null, 0x0
	v_cmp_gt_u32_e32 vcc_lo, s2, v0
	s_barrier
	buffer_gl0_inv
	s_and_b32 exec_lo, exec_lo, vcc_lo
	s_cbranch_execz .LBB68_20
; %bb.15:
	v_add3_u32 v1, s3, s13, v0
	v_mov_b32_e32 v2, 0
	s_load_b64 s[2:3], s[0:1], 0x68
	v_lshlrev_b32_e32 v0, s20, v0
	s_mov_b32 s0, 1
	s_delay_alu instid0(VALU_DEP_2) | instskip(NEXT) | instid1(VALU_DEP_1)
	v_lshlrev_b64 v[1:2], 2, v[1:2]
	v_add_co_u32 v1, vcc_lo, s16, v1
	s_delay_alu instid0(VALU_DEP_2) | instskip(SKIP_4) | instid1(VALU_DEP_2)
	v_add_co_ci_u32_e32 v2, vcc_lo, s17, v2, vcc_lo
	global_load_b32 v9, v[1:2], off
	v_mov_b32_e32 v2, 0
	v_mov_b32_e32 v3, 0
	v_lshl_add_u32 v4, v0, 4, 0
	v_dual_mov_b32 v0, v2 :: v_dual_mov_b32 v1, v3
.LBB68_16:                              ; =>This Inner Loop Header: Depth=1
	ds_load_2addr_b64 v[10:13], v4 offset1:1
	v_add_nc_u32_e32 v4, 16, v4
	s_lshr_b32 s1, s0, s20
	s_add_i32 s0, s0, 1
	s_cmp_lg_u32 s1, 0
	s_waitcnt lgkmcnt(0)
	v_add_f64 v[0:1], v[0:1], v[10:11]
	v_add_f64 v[2:3], v[2:3], v[12:13]
	s_cbranch_scc0 .LBB68_16
; %bb.17:
	v_cmp_neq_f64_e32 vcc_lo, 0, v[5:6]
	v_cmp_neq_f64_e64 s0, 0, v[7:8]
	s_waitcnt vmcnt(0)
	v_ashrrev_i32_e32 v10, 31, v9
	s_delay_alu instid0(VALU_DEP_1) | instskip(NEXT) | instid1(VALU_DEP_3)
	v_lshlrev_b64 v[9:10], 4, v[9:10]
	s_or_b32 s1, vcc_lo, s0
	s_delay_alu instid0(SALU_CYCLE_1)
	s_and_saveexec_b32 s0, s1
	s_cbranch_execz .LBB68_19
; %bb.18:
	s_delay_alu instid0(VALU_DEP_1) | instskip(NEXT) | instid1(VALU_DEP_2)
	v_add_co_u32 v11, vcc_lo, s2, v9
	v_add_co_ci_u32_e32 v12, vcc_lo, s3, v10, vcc_lo
	global_load_b128 v[11:14], v[11:12], off
	s_waitcnt vmcnt(0)
	v_fma_f64 v[0:1], v[5:6], v[11:12], v[0:1]
	v_fma_f64 v[2:3], v[7:8], v[11:12], v[2:3]
	s_delay_alu instid0(VALU_DEP_2) | instskip(NEXT) | instid1(VALU_DEP_2)
	v_fma_f64 v[0:1], -v[7:8], v[13:14], v[0:1]
	v_fma_f64 v[2:3], v[5:6], v[13:14], v[2:3]
.LBB68_19:
	s_or_b32 exec_lo, exec_lo, s0
	s_delay_alu instid0(VALU_DEP_1)
	v_add_co_u32 v4, vcc_lo, s2, v9
	v_add_co_ci_u32_e32 v5, vcc_lo, s3, v10, vcc_lo
	global_store_b128 v[4:5], v[0:3], off
.LBB68_20:
	s_endpgm
	.section	.rodata,"a",@progbits
	.p2align	6, 0x0
	.amdhsa_kernel _ZN9rocsparseL28csrmvn_lrb_short_rows_kernelIli21rocsparse_complex_numIdES2_S2_S2_EEvbT_PT0_S5_jNS_24const_host_device_scalarIT4_EEPKS3_PKS4_PKT1_PKT2_S8_PT3_21rocsparse_index_base_b
		.amdhsa_group_segment_fixed_size 0
		.amdhsa_private_segment_fixed_size 24
		.amdhsa_kernarg_size 120
		.amdhsa_user_sgpr_count 15
		.amdhsa_user_sgpr_dispatch_ptr 0
		.amdhsa_user_sgpr_queue_ptr 0
		.amdhsa_user_sgpr_kernarg_segment_ptr 1
		.amdhsa_user_sgpr_dispatch_id 0
		.amdhsa_user_sgpr_private_segment_size 0
		.amdhsa_wavefront_size32 1
		.amdhsa_uses_dynamic_stack 0
		.amdhsa_enable_private_segment 1
		.amdhsa_system_sgpr_workgroup_id_x 1
		.amdhsa_system_sgpr_workgroup_id_y 0
		.amdhsa_system_sgpr_workgroup_id_z 0
		.amdhsa_system_sgpr_workgroup_info 0
		.amdhsa_system_vgpr_workitem_id 0
		.amdhsa_next_free_vgpr 24
		.amdhsa_next_free_sgpr 22
		.amdhsa_reserve_vcc 1
		.amdhsa_float_round_mode_32 0
		.amdhsa_float_round_mode_16_64 0
		.amdhsa_float_denorm_mode_32 3
		.amdhsa_float_denorm_mode_16_64 3
		.amdhsa_dx10_clamp 1
		.amdhsa_ieee_mode 1
		.amdhsa_fp16_overflow 0
		.amdhsa_workgroup_processor_mode 1
		.amdhsa_memory_ordered 1
		.amdhsa_forward_progress 0
		.amdhsa_shared_vgpr_count 0
		.amdhsa_exception_fp_ieee_invalid_op 0
		.amdhsa_exception_fp_denorm_src 0
		.amdhsa_exception_fp_ieee_div_zero 0
		.amdhsa_exception_fp_ieee_overflow 0
		.amdhsa_exception_fp_ieee_underflow 0
		.amdhsa_exception_fp_ieee_inexact 0
		.amdhsa_exception_int_div_zero 0
	.end_amdhsa_kernel
	.section	.text._ZN9rocsparseL28csrmvn_lrb_short_rows_kernelIli21rocsparse_complex_numIdES2_S2_S2_EEvbT_PT0_S5_jNS_24const_host_device_scalarIT4_EEPKS3_PKS4_PKT1_PKT2_S8_PT3_21rocsparse_index_base_b,"axG",@progbits,_ZN9rocsparseL28csrmvn_lrb_short_rows_kernelIli21rocsparse_complex_numIdES2_S2_S2_EEvbT_PT0_S5_jNS_24const_host_device_scalarIT4_EEPKS3_PKS4_PKT1_PKT2_S8_PT3_21rocsparse_index_base_b,comdat
.Lfunc_end68:
	.size	_ZN9rocsparseL28csrmvn_lrb_short_rows_kernelIli21rocsparse_complex_numIdES2_S2_S2_EEvbT_PT0_S5_jNS_24const_host_device_scalarIT4_EEPKS3_PKS4_PKT1_PKT2_S8_PT3_21rocsparse_index_base_b, .Lfunc_end68-_ZN9rocsparseL28csrmvn_lrb_short_rows_kernelIli21rocsparse_complex_numIdES2_S2_S2_EEvbT_PT0_S5_jNS_24const_host_device_scalarIT4_EEPKS3_PKS4_PKT1_PKT2_S8_PT3_21rocsparse_index_base_b
                                        ; -- End function
	.section	.AMDGPU.csdata,"",@progbits
; Kernel info:
; codeLenInByte = 1292
; NumSgprs: 24
; NumVgprs: 24
; ScratchSize: 24
; MemoryBound: 0
; FloatMode: 240
; IeeeMode: 1
; LDSByteSize: 0 bytes/workgroup (compile time only)
; SGPRBlocks: 2
; VGPRBlocks: 2
; NumSGPRsForWavesPerEU: 24
; NumVGPRsForWavesPerEU: 24
; Occupancy: 16
; WaveLimiterHint : 1
; COMPUTE_PGM_RSRC2:SCRATCH_EN: 1
; COMPUTE_PGM_RSRC2:USER_SGPR: 15
; COMPUTE_PGM_RSRC2:TRAP_HANDLER: 0
; COMPUTE_PGM_RSRC2:TGID_X_EN: 1
; COMPUTE_PGM_RSRC2:TGID_Y_EN: 0
; COMPUTE_PGM_RSRC2:TGID_Z_EN: 0
; COMPUTE_PGM_RSRC2:TIDIG_COMP_CNT: 0
	.section	.text._ZN9rocsparseL30csrmvn_lrb_short_rows_2_kernelIli21rocsparse_complex_numIdES2_S2_S2_EEvbT_PT0_S5_jNS_24const_host_device_scalarIT4_EEPKS3_PKS4_PKT1_PKT2_S8_PT3_21rocsparse_index_base_b,"axG",@progbits,_ZN9rocsparseL30csrmvn_lrb_short_rows_2_kernelIli21rocsparse_complex_numIdES2_S2_S2_EEvbT_PT0_S5_jNS_24const_host_device_scalarIT4_EEPKS3_PKS4_PKT1_PKT2_S8_PT3_21rocsparse_index_base_b,comdat
	.globl	_ZN9rocsparseL30csrmvn_lrb_short_rows_2_kernelIli21rocsparse_complex_numIdES2_S2_S2_EEvbT_PT0_S5_jNS_24const_host_device_scalarIT4_EEPKS3_PKS4_PKT1_PKT2_S8_PT3_21rocsparse_index_base_b ; -- Begin function _ZN9rocsparseL30csrmvn_lrb_short_rows_2_kernelIli21rocsparse_complex_numIdES2_S2_S2_EEvbT_PT0_S5_jNS_24const_host_device_scalarIT4_EEPKS3_PKS4_PKT1_PKT2_S8_PT3_21rocsparse_index_base_b
	.p2align	8
	.type	_ZN9rocsparseL30csrmvn_lrb_short_rows_2_kernelIli21rocsparse_complex_numIdES2_S2_S2_EEvbT_PT0_S5_jNS_24const_host_device_scalarIT4_EEPKS3_PKS4_PKT1_PKT2_S8_PT3_21rocsparse_index_base_b,@function
_ZN9rocsparseL30csrmvn_lrb_short_rows_2_kernelIli21rocsparse_complex_numIdES2_S2_S2_EEvbT_PT0_S5_jNS_24const_host_device_scalarIT4_EEPKS3_PKS4_PKT1_PKT2_S8_PT3_21rocsparse_index_base_b: ; @_ZN9rocsparseL30csrmvn_lrb_short_rows_2_kernelIli21rocsparse_complex_numIdES2_S2_S2_EEvbT_PT0_S5_jNS_24const_host_device_scalarIT4_EEPKS3_PKS4_PKT1_PKT2_S8_PT3_21rocsparse_index_base_b
; %bb.0:
	s_clause 0x2
	s_load_b64 s[20:21], s[0:1], 0x70
	s_load_b128 s[8:11], s[0:1], 0x28
	s_load_b128 s[4:7], s[0:1], 0x58
	s_mov_b64 s[2:3], src_private_base
	v_mov_b32_e32 v1, 0
	s_waitcnt lgkmcnt(0)
	s_bitcmp1_b32 s21, 0
	v_dual_mov_b32 v3, s8 :: v_dual_mov_b32 v6, s5
	s_cselect_b32 s2, -1, 0
	v_mov_b32_e32 v4, s9
	s_and_b32 vcc_lo, s2, exec_lo
	s_cselect_b32 s12, s3, s9
	v_cndmask_b32_e64 v1, s8, v1, s2
	v_dual_mov_b32 v5, s4 :: v_dual_mov_b32 v2, s12
	s_clause 0x1
	scratch_store_b64 off, v[3:4], off
	scratch_store_b64 off, v[5:6], off offset:8
	v_dual_mov_b32 v16, s11 :: v_dual_mov_b32 v15, s10
	flat_load_b64 v[13:14], v[1:2]
	s_xor_b32 s10, s2, -1
	s_cbranch_vccnz .LBB69_2
; %bb.1:
	v_dual_mov_b32 v1, s8 :: v_dual_mov_b32 v2, s9
	flat_load_b64 v[15:16], v[1:2] offset:8
.LBB69_2:
	s_and_b32 s8, s2, exec_lo
	s_cselect_b32 s3, s3, s5
	s_delay_alu instid0(SALU_CYCLE_1) | instskip(SKIP_2) | instid1(VALU_DEP_2)
	v_dual_mov_b32 v1, 8 :: v_dual_mov_b32 v2, s3
	v_dual_mov_b32 v12, s7 :: v_dual_mov_b32 v11, s6
	s_and_not1_b32 vcc_lo, exec_lo, s10
	v_cndmask_b32_e64 v1, s4, v1, s2
	flat_load_b64 v[9:10], v[1:2]
	s_cbranch_vccnz .LBB69_4
; %bb.3:
	v_dual_mov_b32 v1, s4 :: v_dual_mov_b32 v2, s5
	flat_load_b64 v[11:12], v[1:2] offset:8
.LBB69_4:
	s_waitcnt vmcnt(1) lgkmcnt(1)
	v_cmp_eq_f64_e32 vcc_lo, 0, v[13:14]
	v_cmp_eq_f64_e64 s2, 0, v[15:16]
	s_delay_alu instid0(VALU_DEP_1)
	s_and_b32 s4, vcc_lo, s2
	s_mov_b32 s2, -1
	s_and_saveexec_b32 s3, s4
	s_cbranch_execz .LBB69_6
; %bb.5:
	s_waitcnt vmcnt(0) lgkmcnt(0)
	v_cmp_neq_f64_e32 vcc_lo, 1.0, v[9:10]
	v_cmp_neq_f64_e64 s2, 0, v[11:12]
	s_delay_alu instid0(VALU_DEP_1) | instskip(NEXT) | instid1(SALU_CYCLE_1)
	s_or_b32 s2, vcc_lo, s2
	s_or_not1_b32 s2, s2, exec_lo
.LBB69_6:
	s_or_b32 exec_lo, exec_lo, s3
	s_and_saveexec_b32 s3, s2
	s_cbranch_execz .LBB69_32
; %bb.7:
	s_clause 0x2
	s_load_b32 s2, s[0:1], 0x20
	s_load_b32 s3, s[0:1], 0x0
	s_load_b128 s[16:19], s[0:1], 0x10
	v_mov_b32_e32 v18, 0
	s_waitcnt lgkmcnt(0)
	v_lshrrev_b32_e32 v1, s2, v0
	s_bitcmp1_b32 s3, 0
	s_mov_b32 s3, 0
	s_cselect_b32 vcc_lo, -1, 0
	s_lshl_b64 s[4:5], s[2:3], 2
	s_mov_b32 s7, s3
	s_add_u32 s4, s18, s4
	s_addc_u32 s5, s19, s5
	s_add_i32 s6, s2, 1
	v_bfe_u32 v17, v0, 0, s2
	s_lshl_b64 s[6:7], s[6:7], 2
	s_delay_alu instid0(SALU_CYCLE_1)
	s_add_u32 s6, s18, s6
	s_addc_u32 s7, s19, s7
	s_clause 0x1
	s_load_b32 s3, s[4:5], 0x0
	s_load_b32 s18, s[6:7], 0x0
	s_clause 0x1
	s_load_b64 s[12:13], s[0:1], 0x68
	s_load_b256 s[4:11], s[0:1], 0x38
	s_lshr_b32 s1, 0x400, s2
	s_delay_alu instid0(SALU_CYCLE_1) | instskip(NEXT) | instid1(SALU_CYCLE_1)
	s_mul_i32 s14, s1, s15
	v_add_nc_u32_e32 v1, s14, v1
	s_add_i32 s0, s14, s1
	s_waitcnt lgkmcnt(0)
	s_sub_i32 s15, s18, s3
	s_mov_b32 s18, exec_lo
	s_min_u32 s15, s15, s0
	s_delay_alu instid0(SALU_CYCLE_1)
	v_cmpx_gt_u32_e64 s15, v1
	s_cbranch_execz .LBB69_11
; %bb.8:
	v_dual_mov_b32 v2, v18 :: v_dual_add_nc_u32 v1, s3, v1
	s_delay_alu instid0(VALU_DEP_1) | instskip(NEXT) | instid1(VALU_DEP_1)
	v_lshlrev_b64 v[1:2], 2, v[1:2]
	v_add_co_u32 v1, s0, s16, v1
	s_delay_alu instid0(VALU_DEP_1) | instskip(SKIP_3) | instid1(VALU_DEP_1)
	v_add_co_ci_u32_e64 v2, s0, s17, v2, s0
	global_load_b32 v1, v[1:2], off
	s_waitcnt vmcnt(0)
	v_ashrrev_i32_e32 v2, 31, v1
	v_lshlrev_b64 v[1:2], 3, v[1:2]
	s_delay_alu instid0(VALU_DEP_1) | instskip(NEXT) | instid1(VALU_DEP_1)
	v_add_co_u32 v1, s0, s4, v1
	v_add_co_ci_u32_e64 v2, s0, s5, v2, s0
	global_load_b128 v[5:8], v[1:2], off
	v_mov_b32_e32 v1, 0
	v_mov_b32_e32 v2, 0
	s_waitcnt vmcnt(0)
	v_sub_co_u32 v3, s0, v7, v5
	s_delay_alu instid0(VALU_DEP_1) | instskip(NEXT) | instid1(VALU_DEP_1)
	v_sub_co_ci_u32_e64 v4, s0, v8, v6, s0
	v_cmp_gt_i64_e64 s0, v[3:4], v[17:18]
	v_dual_mov_b32 v4, v2 :: v_dual_mov_b32 v3, v1
	s_delay_alu instid0(VALU_DEP_2)
	s_and_saveexec_b32 s19, s0
	s_cbranch_execz .LBB69_10
; %bb.9:
	v_sub_co_u32 v1, s0, v5, s20
	s_delay_alu instid0(VALU_DEP_1) | instskip(NEXT) | instid1(VALU_DEP_2)
	v_subrev_co_ci_u32_e64 v2, s0, 0, v6, s0
	v_add_co_u32 v1, s0, v1, v17
	s_delay_alu instid0(VALU_DEP_1) | instskip(NEXT) | instid1(VALU_DEP_1)
	v_add_co_ci_u32_e64 v2, s0, 0, v2, s0
	v_lshlrev_b64 v[3:4], 2, v[1:2]
	v_lshlrev_b64 v[1:2], 4, v[1:2]
	s_delay_alu instid0(VALU_DEP_2) | instskip(NEXT) | instid1(VALU_DEP_1)
	v_add_co_u32 v3, s0, s6, v3
	v_add_co_ci_u32_e64 v4, s0, s7, v4, s0
	s_delay_alu instid0(VALU_DEP_3) | instskip(NEXT) | instid1(VALU_DEP_1)
	v_add_co_u32 v1, s0, s8, v1
	v_add_co_ci_u32_e64 v2, s0, s9, v2, s0
	global_load_b32 v5, v[3:4], off
	global_load_b128 v[1:4], v[1:2], off
	s_waitcnt vmcnt(1)
	v_subrev_nc_u32_e32 v5, s20, v5
	s_waitcnt vmcnt(0)
	v_xor_b32_e32 v19, 0x80000000, v4
	s_delay_alu instid0(VALU_DEP_2) | instskip(NEXT) | instid1(VALU_DEP_2)
	v_ashrrev_i32_e32 v6, 31, v5
	v_cndmask_b32_e32 v4, v4, v19, vcc_lo
	s_delay_alu instid0(VALU_DEP_2) | instskip(NEXT) | instid1(VALU_DEP_2)
	v_lshlrev_b64 v[5:6], 4, v[5:6]
	v_mul_f64 v[19:20], v[13:14], v[3:4]
	v_mul_f64 v[3:4], v[3:4], -v[15:16]
	s_delay_alu instid0(VALU_DEP_3) | instskip(NEXT) | instid1(VALU_DEP_1)
	v_add_co_u32 v5, s0, s10, v5
	v_add_co_ci_u32_e64 v6, s0, s11, v6, s0
	global_load_b128 v[5:8], v[5:6], off
	v_fma_f64 v[19:20], v[15:16], v[1:2], v[19:20]
	v_fma_f64 v[1:2], v[13:14], v[1:2], v[3:4]
	s_waitcnt vmcnt(0)
	s_delay_alu instid0(VALU_DEP_2) | instskip(NEXT) | instid1(VALU_DEP_2)
	v_mul_f64 v[3:4], v[7:8], -v[19:20]
	v_mul_f64 v[7:8], v[1:2], v[7:8]
	s_delay_alu instid0(VALU_DEP_2) | instskip(NEXT) | instid1(VALU_DEP_2)
	v_fma_f64 v[1:2], v[1:2], v[5:6], v[3:4]
	v_fma_f64 v[3:4], v[19:20], v[5:6], v[7:8]
.LBB69_10:
	s_or_b32 exec_lo, exec_lo, s19
	v_lshlrev_b32_e32 v5, 4, v0
	ds_store_b128 v5, v[1:4]
.LBB69_11:
	s_or_b32 exec_lo, exec_lo, s18
	v_or_b32_e32 v1, 0x100, v0
	s_mov_b32 s18, exec_lo
	s_delay_alu instid0(VALU_DEP_1) | instskip(NEXT) | instid1(VALU_DEP_1)
	v_lshrrev_b32_e32 v1, s2, v1
	v_add_nc_u32_e32 v1, s14, v1
	s_delay_alu instid0(VALU_DEP_1)
	v_cmpx_gt_u32_e64 s15, v1
	s_cbranch_execz .LBB69_15
; %bb.12:
	v_dual_mov_b32 v2, 0 :: v_dual_add_nc_u32 v1, s3, v1
	s_delay_alu instid0(VALU_DEP_1) | instskip(NEXT) | instid1(VALU_DEP_1)
	v_lshlrev_b64 v[1:2], 2, v[1:2]
	v_add_co_u32 v1, s0, s16, v1
	s_delay_alu instid0(VALU_DEP_1) | instskip(SKIP_3) | instid1(VALU_DEP_1)
	v_add_co_ci_u32_e64 v2, s0, s17, v2, s0
	global_load_b32 v1, v[1:2], off
	s_waitcnt vmcnt(0)
	v_ashrrev_i32_e32 v2, 31, v1
	v_lshlrev_b64 v[1:2], 3, v[1:2]
	s_delay_alu instid0(VALU_DEP_1) | instskip(NEXT) | instid1(VALU_DEP_1)
	v_add_co_u32 v1, s0, s4, v1
	v_add_co_ci_u32_e64 v2, s0, s5, v2, s0
	global_load_b128 v[5:8], v[1:2], off
	v_mov_b32_e32 v1, 0
	v_mov_b32_e32 v2, 0
	s_waitcnt vmcnt(0)
	v_sub_co_u32 v3, s0, v7, v5
	s_delay_alu instid0(VALU_DEP_1) | instskip(NEXT) | instid1(VALU_DEP_1)
	v_sub_co_ci_u32_e64 v4, s0, v8, v6, s0
	v_cmp_gt_i64_e64 s0, v[3:4], v[17:18]
	v_dual_mov_b32 v4, v2 :: v_dual_mov_b32 v3, v1
	s_delay_alu instid0(VALU_DEP_2)
	s_and_saveexec_b32 s19, s0
	s_cbranch_execz .LBB69_14
; %bb.13:
	v_sub_co_u32 v1, s0, v5, s20
	s_delay_alu instid0(VALU_DEP_1) | instskip(NEXT) | instid1(VALU_DEP_2)
	v_subrev_co_ci_u32_e64 v2, s0, 0, v6, s0
	v_add_co_u32 v1, s0, v1, v17
	s_delay_alu instid0(VALU_DEP_1) | instskip(NEXT) | instid1(VALU_DEP_1)
	v_add_co_ci_u32_e64 v2, s0, 0, v2, s0
	v_lshlrev_b64 v[3:4], 2, v[1:2]
	v_lshlrev_b64 v[1:2], 4, v[1:2]
	s_delay_alu instid0(VALU_DEP_2) | instskip(NEXT) | instid1(VALU_DEP_1)
	v_add_co_u32 v3, s0, s6, v3
	v_add_co_ci_u32_e64 v4, s0, s7, v4, s0
	s_delay_alu instid0(VALU_DEP_3) | instskip(NEXT) | instid1(VALU_DEP_1)
	v_add_co_u32 v1, s0, s8, v1
	v_add_co_ci_u32_e64 v2, s0, s9, v2, s0
	global_load_b32 v5, v[3:4], off
	global_load_b128 v[1:4], v[1:2], off
	s_waitcnt vmcnt(1)
	v_subrev_nc_u32_e32 v5, s20, v5
	s_waitcnt vmcnt(0)
	v_xor_b32_e32 v19, 0x80000000, v4
	s_delay_alu instid0(VALU_DEP_2) | instskip(NEXT) | instid1(VALU_DEP_2)
	v_ashrrev_i32_e32 v6, 31, v5
	v_cndmask_b32_e32 v4, v4, v19, vcc_lo
	s_delay_alu instid0(VALU_DEP_2) | instskip(NEXT) | instid1(VALU_DEP_2)
	v_lshlrev_b64 v[5:6], 4, v[5:6]
	v_mul_f64 v[19:20], v[13:14], v[3:4]
	v_mul_f64 v[3:4], v[3:4], -v[15:16]
	s_delay_alu instid0(VALU_DEP_3) | instskip(NEXT) | instid1(VALU_DEP_1)
	v_add_co_u32 v5, s0, s10, v5
	v_add_co_ci_u32_e64 v6, s0, s11, v6, s0
	global_load_b128 v[5:8], v[5:6], off
	v_fma_f64 v[19:20], v[15:16], v[1:2], v[19:20]
	v_fma_f64 v[1:2], v[13:14], v[1:2], v[3:4]
	s_waitcnt vmcnt(0)
	s_delay_alu instid0(VALU_DEP_2) | instskip(NEXT) | instid1(VALU_DEP_2)
	v_mul_f64 v[3:4], v[7:8], -v[19:20]
	v_mul_f64 v[7:8], v[1:2], v[7:8]
	s_delay_alu instid0(VALU_DEP_2) | instskip(NEXT) | instid1(VALU_DEP_2)
	v_fma_f64 v[1:2], v[1:2], v[5:6], v[3:4]
	v_fma_f64 v[3:4], v[19:20], v[5:6], v[7:8]
.LBB69_14:
	s_or_b32 exec_lo, exec_lo, s19
	v_lshlrev_b32_e32 v5, 4, v0
	ds_store_b128 v5, v[1:4] offset:4096
.LBB69_15:
	s_or_b32 exec_lo, exec_lo, s18
	v_or_b32_e32 v1, 0x200, v0
	s_mov_b32 s18, exec_lo
	s_delay_alu instid0(VALU_DEP_1) | instskip(NEXT) | instid1(VALU_DEP_1)
	v_lshrrev_b32_e32 v1, s2, v1
	v_add_nc_u32_e32 v1, s14, v1
	s_delay_alu instid0(VALU_DEP_1)
	v_cmpx_gt_u32_e64 s15, v1
	s_cbranch_execz .LBB69_19
; %bb.16:
	v_dual_mov_b32 v2, 0 :: v_dual_add_nc_u32 v1, s3, v1
	s_delay_alu instid0(VALU_DEP_1) | instskip(NEXT) | instid1(VALU_DEP_1)
	v_lshlrev_b64 v[1:2], 2, v[1:2]
	v_add_co_u32 v1, s0, s16, v1
	s_delay_alu instid0(VALU_DEP_1) | instskip(SKIP_3) | instid1(VALU_DEP_1)
	v_add_co_ci_u32_e64 v2, s0, s17, v2, s0
	global_load_b32 v1, v[1:2], off
	s_waitcnt vmcnt(0)
	v_ashrrev_i32_e32 v2, 31, v1
	v_lshlrev_b64 v[1:2], 3, v[1:2]
	s_delay_alu instid0(VALU_DEP_1) | instskip(NEXT) | instid1(VALU_DEP_1)
	v_add_co_u32 v1, s0, s4, v1
	v_add_co_ci_u32_e64 v2, s0, s5, v2, s0
	global_load_b128 v[5:8], v[1:2], off
	v_mov_b32_e32 v1, 0
	v_mov_b32_e32 v2, 0
	s_waitcnt vmcnt(0)
	v_sub_co_u32 v3, s0, v7, v5
	s_delay_alu instid0(VALU_DEP_1) | instskip(NEXT) | instid1(VALU_DEP_1)
	v_sub_co_ci_u32_e64 v4, s0, v8, v6, s0
	v_cmp_gt_i64_e64 s0, v[3:4], v[17:18]
	v_dual_mov_b32 v4, v2 :: v_dual_mov_b32 v3, v1
	s_delay_alu instid0(VALU_DEP_2)
	s_and_saveexec_b32 s19, s0
	s_cbranch_execz .LBB69_18
; %bb.17:
	v_sub_co_u32 v1, s0, v5, s20
	s_delay_alu instid0(VALU_DEP_1) | instskip(NEXT) | instid1(VALU_DEP_2)
	v_subrev_co_ci_u32_e64 v2, s0, 0, v6, s0
	v_add_co_u32 v1, s0, v1, v17
	s_delay_alu instid0(VALU_DEP_1) | instskip(NEXT) | instid1(VALU_DEP_1)
	v_add_co_ci_u32_e64 v2, s0, 0, v2, s0
	v_lshlrev_b64 v[3:4], 2, v[1:2]
	v_lshlrev_b64 v[1:2], 4, v[1:2]
	s_delay_alu instid0(VALU_DEP_2) | instskip(NEXT) | instid1(VALU_DEP_1)
	v_add_co_u32 v3, s0, s6, v3
	v_add_co_ci_u32_e64 v4, s0, s7, v4, s0
	s_delay_alu instid0(VALU_DEP_3) | instskip(NEXT) | instid1(VALU_DEP_1)
	v_add_co_u32 v1, s0, s8, v1
	v_add_co_ci_u32_e64 v2, s0, s9, v2, s0
	global_load_b32 v5, v[3:4], off
	global_load_b128 v[1:4], v[1:2], off
	s_waitcnt vmcnt(1)
	v_subrev_nc_u32_e32 v5, s20, v5
	s_waitcnt vmcnt(0)
	v_xor_b32_e32 v19, 0x80000000, v4
	s_delay_alu instid0(VALU_DEP_2) | instskip(NEXT) | instid1(VALU_DEP_2)
	v_ashrrev_i32_e32 v6, 31, v5
	v_cndmask_b32_e32 v4, v4, v19, vcc_lo
	s_delay_alu instid0(VALU_DEP_2) | instskip(NEXT) | instid1(VALU_DEP_2)
	v_lshlrev_b64 v[5:6], 4, v[5:6]
	v_mul_f64 v[19:20], v[13:14], v[3:4]
	v_mul_f64 v[3:4], v[3:4], -v[15:16]
	s_delay_alu instid0(VALU_DEP_3) | instskip(NEXT) | instid1(VALU_DEP_1)
	v_add_co_u32 v5, s0, s10, v5
	v_add_co_ci_u32_e64 v6, s0, s11, v6, s0
	global_load_b128 v[5:8], v[5:6], off
	v_fma_f64 v[19:20], v[15:16], v[1:2], v[19:20]
	v_fma_f64 v[1:2], v[13:14], v[1:2], v[3:4]
	s_waitcnt vmcnt(0)
	s_delay_alu instid0(VALU_DEP_2) | instskip(NEXT) | instid1(VALU_DEP_2)
	v_mul_f64 v[3:4], v[7:8], -v[19:20]
	v_mul_f64 v[7:8], v[1:2], v[7:8]
	s_delay_alu instid0(VALU_DEP_2) | instskip(NEXT) | instid1(VALU_DEP_2)
	v_fma_f64 v[1:2], v[1:2], v[5:6], v[3:4]
	v_fma_f64 v[3:4], v[19:20], v[5:6], v[7:8]
.LBB69_18:
	s_or_b32 exec_lo, exec_lo, s19
	v_lshlrev_b32_e32 v5, 4, v0
	ds_store_b128 v5, v[1:4] offset:8192
.LBB69_19:
	s_or_b32 exec_lo, exec_lo, s18
	v_or_b32_e32 v1, 0x300, v0
	s_mov_b32 s18, exec_lo
	s_delay_alu instid0(VALU_DEP_1) | instskip(NEXT) | instid1(VALU_DEP_1)
	v_lshrrev_b32_e32 v1, s2, v1
	v_add_nc_u32_e32 v1, s14, v1
	s_delay_alu instid0(VALU_DEP_1)
	v_cmpx_gt_u32_e64 s15, v1
	s_cbranch_execz .LBB69_23
; %bb.20:
	v_dual_mov_b32 v2, 0 :: v_dual_add_nc_u32 v1, s3, v1
	s_delay_alu instid0(VALU_DEP_1) | instskip(NEXT) | instid1(VALU_DEP_1)
	v_lshlrev_b64 v[1:2], 2, v[1:2]
	v_add_co_u32 v1, s0, s16, v1
	s_delay_alu instid0(VALU_DEP_1) | instskip(SKIP_3) | instid1(VALU_DEP_1)
	v_add_co_ci_u32_e64 v2, s0, s17, v2, s0
	global_load_b32 v1, v[1:2], off
	s_waitcnt vmcnt(0)
	v_ashrrev_i32_e32 v2, 31, v1
	v_lshlrev_b64 v[1:2], 3, v[1:2]
	s_delay_alu instid0(VALU_DEP_1) | instskip(NEXT) | instid1(VALU_DEP_1)
	v_add_co_u32 v1, s0, s4, v1
	v_add_co_ci_u32_e64 v2, s0, s5, v2, s0
	global_load_b128 v[5:8], v[1:2], off
	v_mov_b32_e32 v1, 0
	v_mov_b32_e32 v2, 0
	s_waitcnt vmcnt(0)
	v_sub_co_u32 v3, s0, v7, v5
	s_delay_alu instid0(VALU_DEP_1) | instskip(NEXT) | instid1(VALU_DEP_1)
	v_sub_co_ci_u32_e64 v4, s0, v8, v6, s0
	v_cmp_gt_i64_e64 s0, v[3:4], v[17:18]
	v_dual_mov_b32 v4, v2 :: v_dual_mov_b32 v3, v1
	s_delay_alu instid0(VALU_DEP_2)
	s_and_saveexec_b32 s4, s0
	s_cbranch_execz .LBB69_22
; %bb.21:
	v_sub_co_u32 v1, s0, v5, s20
	s_delay_alu instid0(VALU_DEP_1) | instskip(NEXT) | instid1(VALU_DEP_2)
	v_subrev_co_ci_u32_e64 v2, s0, 0, v6, s0
	v_add_co_u32 v1, s0, v1, v17
	s_delay_alu instid0(VALU_DEP_1) | instskip(NEXT) | instid1(VALU_DEP_1)
	v_add_co_ci_u32_e64 v2, s0, 0, v2, s0
	v_lshlrev_b64 v[3:4], 2, v[1:2]
	v_lshlrev_b64 v[1:2], 4, v[1:2]
	s_delay_alu instid0(VALU_DEP_2) | instskip(NEXT) | instid1(VALU_DEP_1)
	v_add_co_u32 v3, s0, s6, v3
	v_add_co_ci_u32_e64 v4, s0, s7, v4, s0
	s_delay_alu instid0(VALU_DEP_3) | instskip(NEXT) | instid1(VALU_DEP_1)
	v_add_co_u32 v1, s0, s8, v1
	v_add_co_ci_u32_e64 v2, s0, s9, v2, s0
	global_load_b32 v5, v[3:4], off
	global_load_b128 v[1:4], v[1:2], off
	s_waitcnt vmcnt(1)
	v_subrev_nc_u32_e32 v5, s20, v5
	s_waitcnt vmcnt(0)
	v_xor_b32_e32 v17, 0x80000000, v4
	s_delay_alu instid0(VALU_DEP_2) | instskip(NEXT) | instid1(VALU_DEP_2)
	v_ashrrev_i32_e32 v6, 31, v5
	v_cndmask_b32_e32 v4, v4, v17, vcc_lo
	s_delay_alu instid0(VALU_DEP_2) | instskip(NEXT) | instid1(VALU_DEP_2)
	v_lshlrev_b64 v[5:6], 4, v[5:6]
	v_mul_f64 v[17:18], v[13:14], v[3:4]
	v_mul_f64 v[3:4], v[3:4], -v[15:16]
	s_delay_alu instid0(VALU_DEP_3) | instskip(NEXT) | instid1(VALU_DEP_1)
	v_add_co_u32 v5, s0, s10, v5
	v_add_co_ci_u32_e64 v6, s0, s11, v6, s0
	global_load_b128 v[5:8], v[5:6], off
	v_fma_f64 v[15:16], v[15:16], v[1:2], v[17:18]
	v_fma_f64 v[1:2], v[13:14], v[1:2], v[3:4]
	s_waitcnt vmcnt(0)
	s_delay_alu instid0(VALU_DEP_2) | instskip(NEXT) | instid1(VALU_DEP_2)
	v_mul_f64 v[3:4], v[7:8], -v[15:16]
	v_mul_f64 v[7:8], v[1:2], v[7:8]
	s_delay_alu instid0(VALU_DEP_2) | instskip(NEXT) | instid1(VALU_DEP_2)
	v_fma_f64 v[1:2], v[1:2], v[5:6], v[3:4]
	v_fma_f64 v[3:4], v[15:16], v[5:6], v[7:8]
.LBB69_22:
	s_or_b32 exec_lo, exec_lo, s4
	v_lshlrev_b32_e32 v5, 4, v0
	ds_store_b128 v5, v[1:4] offset:12288
.LBB69_23:
	s_or_b32 exec_lo, exec_lo, s18
	s_cmp_lt_u32 s2, 11
	s_waitcnt vmcnt(0) lgkmcnt(0)
	s_waitcnt_vscnt null, 0x0
	s_barrier
	buffer_gl0_inv
	s_cbranch_scc0 .LBB69_32
; %bb.24:
	v_cmp_neq_f64_e32 vcc_lo, 0, v[9:10]
	v_cmp_neq_f64_e64 s0, 0, v[11:12]
	v_mov_b32_e32 v5, 0
	s_sub_i32 s4, s15, s14
	s_add_i32 s3, s3, s14
	s_mov_b32 s5, 0
	s_delay_alu instid0(VALU_DEP_2)
	s_or_b32 s0, vcc_lo, s0
	s_branch .LBB69_27
.LBB69_25:                              ;   in Loop: Header=BB69_27 Depth=1
	s_or_b32 exec_lo, exec_lo, s7
	s_delay_alu instid0(VALU_DEP_1) | instskip(NEXT) | instid1(VALU_DEP_2)
	v_add_co_u32 v6, vcc_lo, s12, v6
	v_add_co_ci_u32_e32 v7, vcc_lo, s13, v7, vcc_lo
	global_store_b128 v[6:7], v[1:4], off
.LBB69_26:                              ;   in Loop: Header=BB69_27 Depth=1
	s_or_b32 exec_lo, exec_lo, s6
	s_addk_i32 s5, 0x100
	s_delay_alu instid0(SALU_CYCLE_1)
	s_cmp_lt_u32 s5, s1
	s_cbranch_scc0 .LBB69_32
.LBB69_27:                              ; =>This Loop Header: Depth=1
                                        ;     Child Loop BB69_29 Depth 2
	v_add_nc_u32_e32 v1, s5, v0
	s_mov_b32 s6, exec_lo
	s_delay_alu instid0(VALU_DEP_1)
	v_cmpx_gt_u32_e64 s4, v1
	s_cbranch_execz .LBB69_26
; %bb.28:                               ;   in Loop: Header=BB69_27 Depth=1
	v_add_nc_u32_e32 v4, s3, v1
	v_lshlrev_b32_e32 v1, s2, v1
	s_mov_b32 s7, 1
	s_delay_alu instid0(VALU_DEP_2) | instskip(NEXT) | instid1(VALU_DEP_1)
	v_lshlrev_b64 v[2:3], 2, v[4:5]
	v_add_co_u32 v2, vcc_lo, s16, v2
	s_delay_alu instid0(VALU_DEP_2) | instskip(SKIP_3) | instid1(VALU_DEP_1)
	v_add_co_ci_u32_e32 v3, vcc_lo, s17, v3, vcc_lo
	global_load_b32 v6, v[2:3], off
	v_mov_b32_e32 v3, 0
	v_dual_mov_b32 v4, 0 :: v_dual_lshlrev_b32 v7, 4, v1
	v_dual_mov_b32 v1, v3 :: v_dual_mov_b32 v2, v4
.LBB69_29:                              ;   Parent Loop BB69_27 Depth=1
                                        ; =>  This Inner Loop Header: Depth=2
	ds_load_b128 v[13:16], v7
	v_add_nc_u32_e32 v7, 16, v7
	s_lshr_b32 s8, s7, s2
	s_add_i32 s7, s7, 1
	s_cmp_lg_u32 s8, 0
	s_waitcnt lgkmcnt(0)
	v_add_f64 v[1:2], v[1:2], v[13:14]
	v_add_f64 v[3:4], v[3:4], v[15:16]
	s_cbranch_scc0 .LBB69_29
; %bb.30:                               ;   in Loop: Header=BB69_27 Depth=1
	s_waitcnt vmcnt(0)
	v_ashrrev_i32_e32 v7, 31, v6
	s_delay_alu instid0(VALU_DEP_1)
	v_lshlrev_b64 v[6:7], 4, v[6:7]
	s_and_saveexec_b32 s7, s0
	s_cbranch_execz .LBB69_25
; %bb.31:                               ;   in Loop: Header=BB69_27 Depth=1
	s_delay_alu instid0(VALU_DEP_1) | instskip(NEXT) | instid1(VALU_DEP_2)
	v_add_co_u32 v13, vcc_lo, s12, v6
	v_add_co_ci_u32_e32 v14, vcc_lo, s13, v7, vcc_lo
	global_load_b128 v[13:16], v[13:14], off
	s_waitcnt vmcnt(0)
	v_fma_f64 v[1:2], v[9:10], v[13:14], v[1:2]
	v_fma_f64 v[3:4], v[11:12], v[13:14], v[3:4]
	s_delay_alu instid0(VALU_DEP_2) | instskip(NEXT) | instid1(VALU_DEP_2)
	v_fma_f64 v[1:2], -v[11:12], v[15:16], v[1:2]
	v_fma_f64 v[3:4], v[9:10], v[15:16], v[3:4]
	s_branch .LBB69_25
.LBB69_32:
	s_endpgm
	.section	.rodata,"a",@progbits
	.p2align	6, 0x0
	.amdhsa_kernel _ZN9rocsparseL30csrmvn_lrb_short_rows_2_kernelIli21rocsparse_complex_numIdES2_S2_S2_EEvbT_PT0_S5_jNS_24const_host_device_scalarIT4_EEPKS3_PKS4_PKT1_PKT2_S8_PT3_21rocsparse_index_base_b
		.amdhsa_group_segment_fixed_size 16384
		.amdhsa_private_segment_fixed_size 24
		.amdhsa_kernarg_size 120
		.amdhsa_user_sgpr_count 15
		.amdhsa_user_sgpr_dispatch_ptr 0
		.amdhsa_user_sgpr_queue_ptr 0
		.amdhsa_user_sgpr_kernarg_segment_ptr 1
		.amdhsa_user_sgpr_dispatch_id 0
		.amdhsa_user_sgpr_private_segment_size 0
		.amdhsa_wavefront_size32 1
		.amdhsa_uses_dynamic_stack 0
		.amdhsa_enable_private_segment 1
		.amdhsa_system_sgpr_workgroup_id_x 1
		.amdhsa_system_sgpr_workgroup_id_y 0
		.amdhsa_system_sgpr_workgroup_id_z 0
		.amdhsa_system_sgpr_workgroup_info 0
		.amdhsa_system_vgpr_workitem_id 0
		.amdhsa_next_free_vgpr 21
		.amdhsa_next_free_sgpr 22
		.amdhsa_reserve_vcc 1
		.amdhsa_float_round_mode_32 0
		.amdhsa_float_round_mode_16_64 0
		.amdhsa_float_denorm_mode_32 3
		.amdhsa_float_denorm_mode_16_64 3
		.amdhsa_dx10_clamp 1
		.amdhsa_ieee_mode 1
		.amdhsa_fp16_overflow 0
		.amdhsa_workgroup_processor_mode 1
		.amdhsa_memory_ordered 1
		.amdhsa_forward_progress 0
		.amdhsa_shared_vgpr_count 0
		.amdhsa_exception_fp_ieee_invalid_op 0
		.amdhsa_exception_fp_denorm_src 0
		.amdhsa_exception_fp_ieee_div_zero 0
		.amdhsa_exception_fp_ieee_overflow 0
		.amdhsa_exception_fp_ieee_underflow 0
		.amdhsa_exception_fp_ieee_inexact 0
		.amdhsa_exception_int_div_zero 0
	.end_amdhsa_kernel
	.section	.text._ZN9rocsparseL30csrmvn_lrb_short_rows_2_kernelIli21rocsparse_complex_numIdES2_S2_S2_EEvbT_PT0_S5_jNS_24const_host_device_scalarIT4_EEPKS3_PKS4_PKT1_PKT2_S8_PT3_21rocsparse_index_base_b,"axG",@progbits,_ZN9rocsparseL30csrmvn_lrb_short_rows_2_kernelIli21rocsparse_complex_numIdES2_S2_S2_EEvbT_PT0_S5_jNS_24const_host_device_scalarIT4_EEPKS3_PKS4_PKT1_PKT2_S8_PT3_21rocsparse_index_base_b,comdat
.Lfunc_end69:
	.size	_ZN9rocsparseL30csrmvn_lrb_short_rows_2_kernelIli21rocsparse_complex_numIdES2_S2_S2_EEvbT_PT0_S5_jNS_24const_host_device_scalarIT4_EEPKS3_PKS4_PKT1_PKT2_S8_PT3_21rocsparse_index_base_b, .Lfunc_end69-_ZN9rocsparseL30csrmvn_lrb_short_rows_2_kernelIli21rocsparse_complex_numIdES2_S2_S2_EEvbT_PT0_S5_jNS_24const_host_device_scalarIT4_EEPKS3_PKS4_PKT1_PKT2_S8_PT3_21rocsparse_index_base_b
                                        ; -- End function
	.section	.AMDGPU.csdata,"",@progbits
; Kernel info:
; codeLenInByte = 2684
; NumSgprs: 24
; NumVgprs: 21
; ScratchSize: 24
; MemoryBound: 0
; FloatMode: 240
; IeeeMode: 1
; LDSByteSize: 16384 bytes/workgroup (compile time only)
; SGPRBlocks: 2
; VGPRBlocks: 2
; NumSGPRsForWavesPerEU: 24
; NumVGPRsForWavesPerEU: 21
; Occupancy: 16
; WaveLimiterHint : 1
; COMPUTE_PGM_RSRC2:SCRATCH_EN: 1
; COMPUTE_PGM_RSRC2:USER_SGPR: 15
; COMPUTE_PGM_RSRC2:TRAP_HANDLER: 0
; COMPUTE_PGM_RSRC2:TGID_X_EN: 1
; COMPUTE_PGM_RSRC2:TGID_Y_EN: 0
; COMPUTE_PGM_RSRC2:TGID_Z_EN: 0
; COMPUTE_PGM_RSRC2:TIDIG_COMP_CNT: 0
	.section	.text._ZN9rocsparseL41csrmvn_lrb_medium_rows_warp_reduce_kernelILj256ELj32Eli21rocsparse_complex_numIdES2_S2_S2_EEvbT1_lPT2_S5_jNS_24const_host_device_scalarIT6_EEPKS3_PKS4_PKT3_PKT4_S8_PT5_21rocsparse_index_base_b,"axG",@progbits,_ZN9rocsparseL41csrmvn_lrb_medium_rows_warp_reduce_kernelILj256ELj32Eli21rocsparse_complex_numIdES2_S2_S2_EEvbT1_lPT2_S5_jNS_24const_host_device_scalarIT6_EEPKS3_PKS4_PKT3_PKT4_S8_PT5_21rocsparse_index_base_b,comdat
	.globl	_ZN9rocsparseL41csrmvn_lrb_medium_rows_warp_reduce_kernelILj256ELj32Eli21rocsparse_complex_numIdES2_S2_S2_EEvbT1_lPT2_S5_jNS_24const_host_device_scalarIT6_EEPKS3_PKS4_PKT3_PKT4_S8_PT5_21rocsparse_index_base_b ; -- Begin function _ZN9rocsparseL41csrmvn_lrb_medium_rows_warp_reduce_kernelILj256ELj32Eli21rocsparse_complex_numIdES2_S2_S2_EEvbT1_lPT2_S5_jNS_24const_host_device_scalarIT6_EEPKS3_PKS4_PKT3_PKT4_S8_PT5_21rocsparse_index_base_b
	.p2align	8
	.type	_ZN9rocsparseL41csrmvn_lrb_medium_rows_warp_reduce_kernelILj256ELj32Eli21rocsparse_complex_numIdES2_S2_S2_EEvbT1_lPT2_S5_jNS_24const_host_device_scalarIT6_EEPKS3_PKS4_PKT3_PKT4_S8_PT5_21rocsparse_index_base_b,@function
_ZN9rocsparseL41csrmvn_lrb_medium_rows_warp_reduce_kernelILj256ELj32Eli21rocsparse_complex_numIdES2_S2_S2_EEvbT1_lPT2_S5_jNS_24const_host_device_scalarIT6_EEPKS3_PKS4_PKT3_PKT4_S8_PT5_21rocsparse_index_base_b: ; @_ZN9rocsparseL41csrmvn_lrb_medium_rows_warp_reduce_kernelILj256ELj32Eli21rocsparse_complex_numIdES2_S2_S2_EEvbT1_lPT2_S5_jNS_24const_host_device_scalarIT6_EEPKS3_PKS4_PKT3_PKT4_S8_PT5_21rocsparse_index_base_b
; %bb.0:
	s_clause 0x1
	s_load_b64 s[12:13], s[2:3], 0x78
	s_load_b128 s[4:7], s[2:3], 0x30
	s_load_b64 s[16:17], s[0:1], 0x4
	s_mov_b64 s[0:1], src_shared_base
	v_and_b32_e32 v10, 0x3ff, v0
	s_load_b128 s[8:11], s[2:3], 0x60
	v_bfe_u32 v2, v0, 10, 10
	v_bfe_u32 v0, v0, 20, 10
	s_waitcnt lgkmcnt(0)
	s_bitcmp1_b32 s13, 0
	s_cselect_b32 s0, -1, 0
	s_delay_alu instid0(SALU_CYCLE_1) | instskip(SKIP_4) | instid1(SALU_CYCLE_1)
	s_and_b32 vcc_lo, s0, exec_lo
	s_cselect_b32 s13, s1, s5
	s_lshr_b32 s14, s16, 16
	v_mov_b32_e32 v6, s13
	s_mul_i32 s14, s14, s17
	v_mul_lo_u32 v1, s14, v10
	s_delay_alu instid0(VALU_DEP_1) | instskip(SKIP_1) | instid1(VALU_DEP_2)
	v_mad_u32_u24 v1, v2, s17, v1
	v_dual_mov_b32 v2, s8 :: v_dual_mov_b32 v3, s9
	v_add_lshl_u32 v4, v1, v0, 3
	v_dual_mov_b32 v0, s4 :: v_dual_mov_b32 v1, s5
	s_delay_alu instid0(VALU_DEP_2)
	v_add_nc_u32_e32 v5, 0x800, v4
	ds_store_2addr_stride64_b64 v4, v[2:3], v[0:1] offset1:4
	v_dual_mov_b32 v2, s6 :: v_dual_mov_b32 v3, s7
	v_cndmask_b32_e64 v5, s4, v5, s0
	s_xor_b32 s6, s0, -1
	flat_load_b64 v[0:1], v[5:6]
	s_cbranch_vccnz .LBB70_2
; %bb.1:
	v_dual_mov_b32 v2, s4 :: v_dual_mov_b32 v3, s5
	flat_load_b64 v[2:3], v[2:3] offset:8
.LBB70_2:
	s_and_b32 s4, s0, exec_lo
	s_cselect_b32 s1, s1, s9
	v_cndmask_b32_e64 v4, s8, v4, s0
	v_dual_mov_b32 v5, s1 :: v_dual_mov_b32 v6, s10
	v_mov_b32_e32 v7, s11
	s_and_not1_b32 vcc_lo, exec_lo, s6
	flat_load_b64 v[4:5], v[4:5]
	s_cbranch_vccnz .LBB70_4
; %bb.3:
	v_dual_mov_b32 v6, s8 :: v_dual_mov_b32 v7, s9
	flat_load_b64 v[6:7], v[6:7] offset:8
.LBB70_4:
	s_waitcnt vmcnt(1) lgkmcnt(1)
	v_cmp_eq_f64_e32 vcc_lo, 0, v[0:1]
	v_cmp_eq_f64_e64 s0, 0, v[2:3]
	s_delay_alu instid0(VALU_DEP_1)
	s_and_b32 s4, vcc_lo, s0
	s_mov_b32 s0, -1
	s_and_saveexec_b32 s1, s4
	s_cbranch_execz .LBB70_6
; %bb.5:
	s_waitcnt vmcnt(0) lgkmcnt(0)
	v_cmp_neq_f64_e32 vcc_lo, 1.0, v[4:5]
	v_cmp_neq_f64_e64 s0, 0, v[6:7]
	s_delay_alu instid0(VALU_DEP_1) | instskip(NEXT) | instid1(SALU_CYCLE_1)
	s_or_b32 s0, vcc_lo, s0
	s_or_not1_b32 s0, s0, exec_lo
.LBB70_6:
	s_or_b32 exec_lo, exec_lo, s1
	s_and_saveexec_b32 s1, s0
	s_cbranch_execz .LBB70_16
; %bb.7:
	s_load_b64 s[0:1], s[2:3], 0x10
	v_lshrrev_b32_e32 v8, 5, v10
	s_delay_alu instid0(VALU_DEP_1) | instskip(NEXT) | instid1(VALU_DEP_1)
	v_lshl_or_b32 v8, s15, 3, v8
	v_ashrrev_i32_e32 v9, 31, v8
	s_waitcnt lgkmcnt(0)
	s_delay_alu instid0(VALU_DEP_1)
	v_cmp_gt_i64_e32 vcc_lo, s[0:1], v[8:9]
	s_and_b32 exec_lo, exec_lo, vcc_lo
	s_cbranch_execz .LBB70_16
; %bb.8:
	s_clause 0x1
	s_load_b32 s6, s[2:3], 0x28
	s_load_b128 s[8:11], s[2:3], 0x18
	s_mov_b32 s7, 0
	v_and_b32_e32 v22, 31, v10
	s_load_b64 s[4:5], s[2:3], 0x70
	s_waitcnt lgkmcnt(0)
	s_lshl_b64 s[0:1], s[6:7], 2
	s_mov_b32 s6, exec_lo
	s_add_u32 s0, s10, s0
	s_addc_u32 s1, s11, s1
	s_load_b32 s0, s[0:1], 0x0
	s_waitcnt lgkmcnt(0)
	v_add_nc_u32_e32 v8, s0, v8
	s_load_b64 s[0:1], s[2:3], 0x40
	s_delay_alu instid0(VALU_DEP_1) | instskip(NEXT) | instid1(VALU_DEP_1)
	v_ashrrev_i32_e32 v9, 31, v8
	v_lshlrev_b64 v[8:9], 2, v[8:9]
	s_delay_alu instid0(VALU_DEP_1) | instskip(NEXT) | instid1(VALU_DEP_2)
	v_add_co_u32 v8, vcc_lo, s8, v8
	v_add_co_ci_u32_e32 v9, vcc_lo, s9, v9, vcc_lo
	global_load_b32 v8, v[8:9], off
	s_waitcnt vmcnt(0)
	v_ashrrev_i32_e32 v9, 31, v8
	s_delay_alu instid0(VALU_DEP_1) | instskip(SKIP_1) | instid1(VALU_DEP_1)
	v_lshlrev_b64 v[11:12], 3, v[8:9]
	s_waitcnt lgkmcnt(0)
	v_add_co_u32 v11, vcc_lo, s0, v11
	s_delay_alu instid0(VALU_DEP_2)
	v_add_co_ci_u32_e32 v12, vcc_lo, s1, v12, vcc_lo
	v_sub_co_u32 v10, s0, v22, s12
	global_load_b128 v[12:15], v[11:12], off
	v_sub_co_ci_u32_e64 v11, null, 0, 0, s0
	s_waitcnt vmcnt(0)
	v_sub_co_u32 v14, vcc_lo, v14, s12
	v_subrev_co_ci_u32_e32 v15, vcc_lo, 0, v15, vcc_lo
	v_add_co_u32 v16, vcc_lo, v12, v10
	v_add_co_ci_u32_e32 v17, vcc_lo, v13, v11, vcc_lo
	v_mov_b32_e32 v10, 0
	v_mov_b32_e32 v11, 0
	s_delay_alu instid0(VALU_DEP_1) | instskip(NEXT) | instid1(VALU_DEP_4)
	v_dual_mov_b32 v13, v11 :: v_dual_mov_b32 v12, v10
	v_cmpx_lt_i64_e64 v[16:17], v[14:15]
	s_cbranch_execz .LBB70_12
; %bb.9:
	s_clause 0x2
	s_load_b128 s[8:11], s[2:3], 0x48
	s_load_b32 s0, s[2:3], 0x0
	s_load_b64 s[2:3], s[2:3], 0x58
	v_lshlrev_b64 v[12:13], 4, v[16:17]
	v_lshlrev_b64 v[18:19], 2, v[16:17]
	v_mov_b32_e32 v10, 0
	v_mov_b32_e32 v11, 0
	s_waitcnt lgkmcnt(0)
	s_delay_alu instid0(VALU_DEP_4) | instskip(SKIP_3) | instid1(VALU_DEP_4)
	v_add_co_u32 v12, vcc_lo, v12, s10
	v_add_co_ci_u32_e32 v13, vcc_lo, s11, v13, vcc_lo
	v_add_co_u32 v18, vcc_lo, s8, v18
	v_add_co_ci_u32_e32 v19, vcc_lo, s9, v19, vcc_lo
	v_add_co_u32 v20, vcc_lo, v12, 8
	s_delay_alu instid0(VALU_DEP_4)
	v_add_co_ci_u32_e32 v21, vcc_lo, 0, v13, vcc_lo
	v_dual_mov_b32 v13, v11 :: v_dual_mov_b32 v12, v10
	s_bitcmp1_b32 s0, 0
	s_cselect_b32 vcc_lo, -1, 0
.LBB70_10:                              ; =>This Inner Loop Header: Depth=1
	global_load_b32 v27, v[18:19], off
	global_load_b128 v[23:26], v[20:21], off offset:-8
	v_add_co_u32 v18, s1, 0x80, v18
	s_delay_alu instid0(VALU_DEP_1) | instskip(SKIP_4) | instid1(VALU_DEP_2)
	v_add_co_ci_u32_e64 v19, s1, 0, v19, s1
	s_waitcnt vmcnt(1)
	v_subrev_nc_u32_e32 v27, s12, v27
	s_waitcnt vmcnt(0)
	v_xor_b32_e32 v31, 0x80000000, v26
	v_ashrrev_i32_e32 v28, 31, v27
	s_delay_alu instid0(VALU_DEP_2) | instskip(NEXT) | instid1(VALU_DEP_2)
	v_cndmask_b32_e32 v26, v26, v31, vcc_lo
	v_lshlrev_b64 v[27:28], 4, v[27:28]
	s_delay_alu instid0(VALU_DEP_2) | instskip(SKIP_1) | instid1(VALU_DEP_3)
	v_mul_f64 v[31:32], v[25:26], -v[2:3]
	v_mul_f64 v[25:26], v[0:1], v[25:26]
	v_add_co_u32 v27, s0, s2, v27
	s_delay_alu instid0(VALU_DEP_1) | instskip(SKIP_1) | instid1(VALU_DEP_1)
	v_add_co_ci_u32_e64 v28, s0, s3, v28, s0
	v_add_co_u32 v16, s0, v16, 32
	v_add_co_ci_u32_e64 v17, s0, 0, v17, s0
	global_load_b128 v[27:30], v[27:28], off
	v_add_co_u32 v20, s0, 0x200, v20
	s_delay_alu instid0(VALU_DEP_1) | instskip(SKIP_1) | instid1(VALU_DEP_1)
	v_add_co_ci_u32_e64 v21, s0, 0, v21, s0
	v_cmp_ge_i64_e64 s0, v[16:17], v[14:15]
	s_or_b32 s7, s0, s7
	v_fma_f64 v[31:32], v[0:1], v[23:24], v[31:32]
	v_fma_f64 v[23:24], v[2:3], v[23:24], v[25:26]
	s_waitcnt vmcnt(0)
	s_delay_alu instid0(VALU_DEP_2) | instskip(NEXT) | instid1(VALU_DEP_2)
	v_fma_f64 v[12:13], v[31:32], v[27:28], v[12:13]
	v_fma_f64 v[10:11], v[23:24], v[27:28], v[10:11]
	s_delay_alu instid0(VALU_DEP_2) | instskip(NEXT) | instid1(VALU_DEP_2)
	v_fma_f64 v[12:13], -v[23:24], v[29:30], v[12:13]
	v_fma_f64 v[10:11], v[31:32], v[29:30], v[10:11]
	s_and_not1_b32 exec_lo, exec_lo, s7
	s_cbranch_execnz .LBB70_10
; %bb.11:
	s_or_b32 exec_lo, exec_lo, s7
.LBB70_12:
	s_delay_alu instid0(SALU_CYCLE_1) | instskip(SKIP_1) | instid1(VALU_DEP_1)
	s_or_b32 exec_lo, exec_lo, s6
	v_mbcnt_lo_u32_b32 v14, -1, 0
	v_xor_b32_e32 v0, 16, v14
	s_delay_alu instid0(VALU_DEP_1) | instskip(SKIP_1) | instid1(VALU_DEP_1)
	v_cmp_gt_i32_e32 vcc_lo, 32, v0
	v_cndmask_b32_e32 v0, v14, v0, vcc_lo
	v_lshlrev_b32_e32 v3, 2, v0
	ds_bpermute_b32 v0, v3, v12
	ds_bpermute_b32 v1, v3, v13
	;; [unrolled: 1-line block ×4, first 2 shown]
	s_waitcnt lgkmcnt(2)
	v_add_f64 v[0:1], v[12:13], v[0:1]
	s_waitcnt lgkmcnt(0)
	v_add_f64 v[2:3], v[10:11], v[2:3]
	v_xor_b32_e32 v10, 8, v14
	s_delay_alu instid0(VALU_DEP_1) | instskip(SKIP_1) | instid1(VALU_DEP_1)
	v_cmp_gt_i32_e32 vcc_lo, 32, v10
	v_cndmask_b32_e32 v10, v14, v10, vcc_lo
	v_lshlrev_b32_e32 v13, 2, v10
	ds_bpermute_b32 v10, v13, v0
	ds_bpermute_b32 v11, v13, v1
	;; [unrolled: 1-line block ×4, first 2 shown]
	s_waitcnt lgkmcnt(2)
	v_add_f64 v[0:1], v[0:1], v[10:11]
	v_xor_b32_e32 v10, 4, v14
	s_waitcnt lgkmcnt(0)
	v_add_f64 v[2:3], v[2:3], v[12:13]
	s_delay_alu instid0(VALU_DEP_2) | instskip(SKIP_1) | instid1(VALU_DEP_1)
	v_cmp_gt_i32_e32 vcc_lo, 32, v10
	v_cndmask_b32_e32 v10, v14, v10, vcc_lo
	v_lshlrev_b32_e32 v13, 2, v10
	ds_bpermute_b32 v10, v13, v0
	ds_bpermute_b32 v11, v13, v1
	;; [unrolled: 1-line block ×4, first 2 shown]
	s_waitcnt lgkmcnt(2)
	v_add_f64 v[0:1], v[0:1], v[10:11]
	v_xor_b32_e32 v10, 2, v14
	s_waitcnt lgkmcnt(0)
	v_add_f64 v[2:3], v[2:3], v[12:13]
	s_delay_alu instid0(VALU_DEP_2) | instskip(SKIP_1) | instid1(VALU_DEP_1)
	v_cmp_gt_i32_e32 vcc_lo, 32, v10
	v_cndmask_b32_e32 v10, v14, v10, vcc_lo
	v_lshlrev_b32_e32 v13, 2, v10
	ds_bpermute_b32 v10, v13, v0
	ds_bpermute_b32 v11, v13, v1
	;; [unrolled: 1-line block ×4, first 2 shown]
	s_waitcnt lgkmcnt(2)
	v_add_f64 v[0:1], v[0:1], v[10:11]
	v_xor_b32_e32 v10, 1, v14
	s_waitcnt lgkmcnt(0)
	v_add_f64 v[2:3], v[2:3], v[12:13]
	s_delay_alu instid0(VALU_DEP_2) | instskip(SKIP_2) | instid1(VALU_DEP_2)
	v_cmp_gt_i32_e32 vcc_lo, 32, v10
	v_cndmask_b32_e32 v10, v14, v10, vcc_lo
	v_cmp_eq_u32_e32 vcc_lo, 31, v22
	v_lshlrev_b32_e32 v13, 2, v10
	ds_bpermute_b32 v10, v13, v0
	ds_bpermute_b32 v11, v13, v1
	;; [unrolled: 1-line block ×4, first 2 shown]
	s_and_b32 exec_lo, exec_lo, vcc_lo
	s_cbranch_execz .LBB70_16
; %bb.13:
	v_cmp_neq_f64_e32 vcc_lo, 0, v[4:5]
	v_cmp_neq_f64_e64 s0, 0, v[6:7]
	s_waitcnt lgkmcnt(2)
	v_add_f64 v[0:1], v[0:1], v[10:11]
	s_waitcnt lgkmcnt(0)
	v_add_f64 v[2:3], v[2:3], v[12:13]
	v_lshlrev_b64 v[8:9], 4, v[8:9]
	s_delay_alu instid0(VALU_DEP_4) | instskip(NEXT) | instid1(SALU_CYCLE_1)
	s_or_b32 s1, vcc_lo, s0
	s_and_saveexec_b32 s0, s1
	s_cbranch_execz .LBB70_15
; %bb.14:
	s_delay_alu instid0(VALU_DEP_1) | instskip(NEXT) | instid1(VALU_DEP_2)
	v_add_co_u32 v10, vcc_lo, s4, v8
	v_add_co_ci_u32_e32 v11, vcc_lo, s5, v9, vcc_lo
	global_load_b128 v[10:13], v[10:11], off
	s_waitcnt vmcnt(0)
	v_fma_f64 v[0:1], v[4:5], v[10:11], v[0:1]
	v_fma_f64 v[2:3], v[6:7], v[10:11], v[2:3]
	s_delay_alu instid0(VALU_DEP_2) | instskip(NEXT) | instid1(VALU_DEP_2)
	v_fma_f64 v[0:1], -v[6:7], v[12:13], v[0:1]
	v_fma_f64 v[2:3], v[4:5], v[12:13], v[2:3]
.LBB70_15:
	s_or_b32 exec_lo, exec_lo, s0
	s_delay_alu instid0(VALU_DEP_1)
	v_add_co_u32 v4, vcc_lo, s4, v8
	v_add_co_ci_u32_e32 v5, vcc_lo, s5, v9, vcc_lo
	global_store_b128 v[4:5], v[0:3], off
.LBB70_16:
	s_nop 0
	s_sendmsg sendmsg(MSG_DEALLOC_VGPRS)
	s_endpgm
	.section	.rodata,"a",@progbits
	.p2align	6, 0x0
	.amdhsa_kernel _ZN9rocsparseL41csrmvn_lrb_medium_rows_warp_reduce_kernelILj256ELj32Eli21rocsparse_complex_numIdES2_S2_S2_EEvbT1_lPT2_S5_jNS_24const_host_device_scalarIT6_EEPKS3_PKS4_PKT3_PKT4_S8_PT5_21rocsparse_index_base_b
		.amdhsa_group_segment_fixed_size 4096
		.amdhsa_private_segment_fixed_size 0
		.amdhsa_kernarg_size 128
		.amdhsa_user_sgpr_count 15
		.amdhsa_user_sgpr_dispatch_ptr 1
		.amdhsa_user_sgpr_queue_ptr 0
		.amdhsa_user_sgpr_kernarg_segment_ptr 1
		.amdhsa_user_sgpr_dispatch_id 0
		.amdhsa_user_sgpr_private_segment_size 0
		.amdhsa_wavefront_size32 1
		.amdhsa_uses_dynamic_stack 0
		.amdhsa_enable_private_segment 0
		.amdhsa_system_sgpr_workgroup_id_x 1
		.amdhsa_system_sgpr_workgroup_id_y 0
		.amdhsa_system_sgpr_workgroup_id_z 0
		.amdhsa_system_sgpr_workgroup_info 0
		.amdhsa_system_vgpr_workitem_id 2
		.amdhsa_next_free_vgpr 33
		.amdhsa_next_free_sgpr 18
		.amdhsa_reserve_vcc 1
		.amdhsa_float_round_mode_32 0
		.amdhsa_float_round_mode_16_64 0
		.amdhsa_float_denorm_mode_32 3
		.amdhsa_float_denorm_mode_16_64 3
		.amdhsa_dx10_clamp 1
		.amdhsa_ieee_mode 1
		.amdhsa_fp16_overflow 0
		.amdhsa_workgroup_processor_mode 1
		.amdhsa_memory_ordered 1
		.amdhsa_forward_progress 0
		.amdhsa_shared_vgpr_count 0
		.amdhsa_exception_fp_ieee_invalid_op 0
		.amdhsa_exception_fp_denorm_src 0
		.amdhsa_exception_fp_ieee_div_zero 0
		.amdhsa_exception_fp_ieee_overflow 0
		.amdhsa_exception_fp_ieee_underflow 0
		.amdhsa_exception_fp_ieee_inexact 0
		.amdhsa_exception_int_div_zero 0
	.end_amdhsa_kernel
	.section	.text._ZN9rocsparseL41csrmvn_lrb_medium_rows_warp_reduce_kernelILj256ELj32Eli21rocsparse_complex_numIdES2_S2_S2_EEvbT1_lPT2_S5_jNS_24const_host_device_scalarIT6_EEPKS3_PKS4_PKT3_PKT4_S8_PT5_21rocsparse_index_base_b,"axG",@progbits,_ZN9rocsparseL41csrmvn_lrb_medium_rows_warp_reduce_kernelILj256ELj32Eli21rocsparse_complex_numIdES2_S2_S2_EEvbT1_lPT2_S5_jNS_24const_host_device_scalarIT6_EEPKS3_PKS4_PKT3_PKT4_S8_PT5_21rocsparse_index_base_b,comdat
.Lfunc_end70:
	.size	_ZN9rocsparseL41csrmvn_lrb_medium_rows_warp_reduce_kernelILj256ELj32Eli21rocsparse_complex_numIdES2_S2_S2_EEvbT1_lPT2_S5_jNS_24const_host_device_scalarIT6_EEPKS3_PKS4_PKT3_PKT4_S8_PT5_21rocsparse_index_base_b, .Lfunc_end70-_ZN9rocsparseL41csrmvn_lrb_medium_rows_warp_reduce_kernelILj256ELj32Eli21rocsparse_complex_numIdES2_S2_S2_EEvbT1_lPT2_S5_jNS_24const_host_device_scalarIT6_EEPKS3_PKS4_PKT3_PKT4_S8_PT5_21rocsparse_index_base_b
                                        ; -- End function
	.section	.AMDGPU.csdata,"",@progbits
; Kernel info:
; codeLenInByte = 1556
; NumSgprs: 20
; NumVgprs: 33
; ScratchSize: 0
; MemoryBound: 0
; FloatMode: 240
; IeeeMode: 1
; LDSByteSize: 4096 bytes/workgroup (compile time only)
; SGPRBlocks: 2
; VGPRBlocks: 4
; NumSGPRsForWavesPerEU: 20
; NumVGPRsForWavesPerEU: 33
; Occupancy: 16
; WaveLimiterHint : 1
; COMPUTE_PGM_RSRC2:SCRATCH_EN: 0
; COMPUTE_PGM_RSRC2:USER_SGPR: 15
; COMPUTE_PGM_RSRC2:TRAP_HANDLER: 0
; COMPUTE_PGM_RSRC2:TGID_X_EN: 1
; COMPUTE_PGM_RSRC2:TGID_Y_EN: 0
; COMPUTE_PGM_RSRC2:TGID_Z_EN: 0
; COMPUTE_PGM_RSRC2:TIDIG_COMP_CNT: 2
	.section	.text._ZN9rocsparseL41csrmvn_lrb_medium_rows_warp_reduce_kernelILj256ELj64Eli21rocsparse_complex_numIdES2_S2_S2_EEvbT1_lPT2_S5_jNS_24const_host_device_scalarIT6_EEPKS3_PKS4_PKT3_PKT4_S8_PT5_21rocsparse_index_base_b,"axG",@progbits,_ZN9rocsparseL41csrmvn_lrb_medium_rows_warp_reduce_kernelILj256ELj64Eli21rocsparse_complex_numIdES2_S2_S2_EEvbT1_lPT2_S5_jNS_24const_host_device_scalarIT6_EEPKS3_PKS4_PKT3_PKT4_S8_PT5_21rocsparse_index_base_b,comdat
	.globl	_ZN9rocsparseL41csrmvn_lrb_medium_rows_warp_reduce_kernelILj256ELj64Eli21rocsparse_complex_numIdES2_S2_S2_EEvbT1_lPT2_S5_jNS_24const_host_device_scalarIT6_EEPKS3_PKS4_PKT3_PKT4_S8_PT5_21rocsparse_index_base_b ; -- Begin function _ZN9rocsparseL41csrmvn_lrb_medium_rows_warp_reduce_kernelILj256ELj64Eli21rocsparse_complex_numIdES2_S2_S2_EEvbT1_lPT2_S5_jNS_24const_host_device_scalarIT6_EEPKS3_PKS4_PKT3_PKT4_S8_PT5_21rocsparse_index_base_b
	.p2align	8
	.type	_ZN9rocsparseL41csrmvn_lrb_medium_rows_warp_reduce_kernelILj256ELj64Eli21rocsparse_complex_numIdES2_S2_S2_EEvbT1_lPT2_S5_jNS_24const_host_device_scalarIT6_EEPKS3_PKS4_PKT3_PKT4_S8_PT5_21rocsparse_index_base_b,@function
_ZN9rocsparseL41csrmvn_lrb_medium_rows_warp_reduce_kernelILj256ELj64Eli21rocsparse_complex_numIdES2_S2_S2_EEvbT1_lPT2_S5_jNS_24const_host_device_scalarIT6_EEPKS3_PKS4_PKT3_PKT4_S8_PT5_21rocsparse_index_base_b: ; @_ZN9rocsparseL41csrmvn_lrb_medium_rows_warp_reduce_kernelILj256ELj64Eli21rocsparse_complex_numIdES2_S2_S2_EEvbT1_lPT2_S5_jNS_24const_host_device_scalarIT6_EEPKS3_PKS4_PKT3_PKT4_S8_PT5_21rocsparse_index_base_b
; %bb.0:
	s_clause 0x1
	s_load_b64 s[12:13], s[2:3], 0x78
	s_load_b128 s[4:7], s[2:3], 0x30
	s_load_b64 s[16:17], s[0:1], 0x4
	s_mov_b64 s[0:1], src_shared_base
	v_and_b32_e32 v10, 0x3ff, v0
	s_load_b128 s[8:11], s[2:3], 0x60
	v_bfe_u32 v2, v0, 10, 10
	v_bfe_u32 v0, v0, 20, 10
	s_waitcnt lgkmcnt(0)
	s_bitcmp1_b32 s13, 0
	s_cselect_b32 s0, -1, 0
	s_delay_alu instid0(SALU_CYCLE_1) | instskip(SKIP_4) | instid1(SALU_CYCLE_1)
	s_and_b32 vcc_lo, s0, exec_lo
	s_cselect_b32 s13, s1, s5
	s_lshr_b32 s14, s16, 16
	v_mov_b32_e32 v6, s13
	s_mul_i32 s14, s14, s17
	v_mul_lo_u32 v1, s14, v10
	s_delay_alu instid0(VALU_DEP_1) | instskip(SKIP_1) | instid1(VALU_DEP_2)
	v_mad_u32_u24 v1, v2, s17, v1
	v_dual_mov_b32 v2, s8 :: v_dual_mov_b32 v3, s9
	v_add_lshl_u32 v4, v1, v0, 3
	v_dual_mov_b32 v0, s4 :: v_dual_mov_b32 v1, s5
	s_delay_alu instid0(VALU_DEP_2)
	v_add_nc_u32_e32 v5, 0x800, v4
	ds_store_2addr_stride64_b64 v4, v[2:3], v[0:1] offset1:4
	v_dual_mov_b32 v2, s6 :: v_dual_mov_b32 v3, s7
	v_cndmask_b32_e64 v5, s4, v5, s0
	s_xor_b32 s6, s0, -1
	flat_load_b64 v[0:1], v[5:6]
	s_cbranch_vccnz .LBB71_2
; %bb.1:
	v_dual_mov_b32 v2, s4 :: v_dual_mov_b32 v3, s5
	flat_load_b64 v[2:3], v[2:3] offset:8
.LBB71_2:
	s_and_b32 s4, s0, exec_lo
	s_cselect_b32 s1, s1, s9
	v_cndmask_b32_e64 v4, s8, v4, s0
	v_dual_mov_b32 v5, s1 :: v_dual_mov_b32 v6, s10
	v_mov_b32_e32 v7, s11
	s_and_not1_b32 vcc_lo, exec_lo, s6
	flat_load_b64 v[4:5], v[4:5]
	s_cbranch_vccnz .LBB71_4
; %bb.3:
	v_dual_mov_b32 v6, s8 :: v_dual_mov_b32 v7, s9
	flat_load_b64 v[6:7], v[6:7] offset:8
.LBB71_4:
	s_waitcnt vmcnt(1) lgkmcnt(1)
	v_cmp_eq_f64_e32 vcc_lo, 0, v[0:1]
	v_cmp_eq_f64_e64 s0, 0, v[2:3]
	s_delay_alu instid0(VALU_DEP_1)
	s_and_b32 s4, vcc_lo, s0
	s_mov_b32 s0, -1
	s_and_saveexec_b32 s1, s4
	s_cbranch_execz .LBB71_6
; %bb.5:
	s_waitcnt vmcnt(0) lgkmcnt(0)
	v_cmp_neq_f64_e32 vcc_lo, 1.0, v[4:5]
	v_cmp_neq_f64_e64 s0, 0, v[6:7]
	s_delay_alu instid0(VALU_DEP_1) | instskip(NEXT) | instid1(SALU_CYCLE_1)
	s_or_b32 s0, vcc_lo, s0
	s_or_not1_b32 s0, s0, exec_lo
.LBB71_6:
	s_or_b32 exec_lo, exec_lo, s1
	s_and_saveexec_b32 s1, s0
	s_cbranch_execz .LBB71_16
; %bb.7:
	s_load_b64 s[0:1], s[2:3], 0x10
	v_lshrrev_b32_e32 v8, 6, v10
	s_delay_alu instid0(VALU_DEP_1) | instskip(NEXT) | instid1(VALU_DEP_1)
	v_lshl_or_b32 v8, s15, 2, v8
	v_ashrrev_i32_e32 v9, 31, v8
	s_waitcnt lgkmcnt(0)
	s_delay_alu instid0(VALU_DEP_1)
	v_cmp_gt_i64_e32 vcc_lo, s[0:1], v[8:9]
	s_and_b32 exec_lo, exec_lo, vcc_lo
	s_cbranch_execz .LBB71_16
; %bb.8:
	s_clause 0x1
	s_load_b32 s6, s[2:3], 0x28
	s_load_b128 s[8:11], s[2:3], 0x18
	s_mov_b32 s7, 0
	v_and_b32_e32 v22, 63, v10
	s_load_b64 s[4:5], s[2:3], 0x70
	s_waitcnt lgkmcnt(0)
	s_lshl_b64 s[0:1], s[6:7], 2
	s_mov_b32 s6, exec_lo
	s_add_u32 s0, s10, s0
	s_addc_u32 s1, s11, s1
	s_load_b32 s0, s[0:1], 0x0
	s_waitcnt lgkmcnt(0)
	v_add_nc_u32_e32 v8, s0, v8
	s_load_b64 s[0:1], s[2:3], 0x40
	s_delay_alu instid0(VALU_DEP_1) | instskip(NEXT) | instid1(VALU_DEP_1)
	v_ashrrev_i32_e32 v9, 31, v8
	v_lshlrev_b64 v[8:9], 2, v[8:9]
	s_delay_alu instid0(VALU_DEP_1) | instskip(NEXT) | instid1(VALU_DEP_2)
	v_add_co_u32 v8, vcc_lo, s8, v8
	v_add_co_ci_u32_e32 v9, vcc_lo, s9, v9, vcc_lo
	global_load_b32 v8, v[8:9], off
	s_waitcnt vmcnt(0)
	v_ashrrev_i32_e32 v9, 31, v8
	s_delay_alu instid0(VALU_DEP_1) | instskip(SKIP_1) | instid1(VALU_DEP_1)
	v_lshlrev_b64 v[11:12], 3, v[8:9]
	s_waitcnt lgkmcnt(0)
	v_add_co_u32 v11, vcc_lo, s0, v11
	s_delay_alu instid0(VALU_DEP_2)
	v_add_co_ci_u32_e32 v12, vcc_lo, s1, v12, vcc_lo
	v_sub_co_u32 v10, s0, v22, s12
	global_load_b128 v[12:15], v[11:12], off
	v_sub_co_ci_u32_e64 v11, null, 0, 0, s0
	s_waitcnt vmcnt(0)
	v_sub_co_u32 v14, vcc_lo, v14, s12
	v_subrev_co_ci_u32_e32 v15, vcc_lo, 0, v15, vcc_lo
	v_add_co_u32 v16, vcc_lo, v12, v10
	v_add_co_ci_u32_e32 v17, vcc_lo, v13, v11, vcc_lo
	v_mov_b32_e32 v10, 0
	v_mov_b32_e32 v11, 0
	s_delay_alu instid0(VALU_DEP_1) | instskip(NEXT) | instid1(VALU_DEP_4)
	v_dual_mov_b32 v13, v11 :: v_dual_mov_b32 v12, v10
	v_cmpx_lt_i64_e64 v[16:17], v[14:15]
	s_cbranch_execz .LBB71_12
; %bb.9:
	s_clause 0x2
	s_load_b128 s[8:11], s[2:3], 0x48
	s_load_b32 s0, s[2:3], 0x0
	s_load_b64 s[2:3], s[2:3], 0x58
	v_lshlrev_b64 v[12:13], 4, v[16:17]
	v_lshlrev_b64 v[18:19], 2, v[16:17]
	v_mov_b32_e32 v10, 0
	v_mov_b32_e32 v11, 0
	s_waitcnt lgkmcnt(0)
	s_delay_alu instid0(VALU_DEP_4) | instskip(SKIP_3) | instid1(VALU_DEP_4)
	v_add_co_u32 v12, vcc_lo, v12, s10
	v_add_co_ci_u32_e32 v13, vcc_lo, s11, v13, vcc_lo
	v_add_co_u32 v18, vcc_lo, s8, v18
	v_add_co_ci_u32_e32 v19, vcc_lo, s9, v19, vcc_lo
	v_add_co_u32 v20, vcc_lo, v12, 8
	s_delay_alu instid0(VALU_DEP_4)
	v_add_co_ci_u32_e32 v21, vcc_lo, 0, v13, vcc_lo
	v_dual_mov_b32 v13, v11 :: v_dual_mov_b32 v12, v10
	s_bitcmp1_b32 s0, 0
	s_cselect_b32 vcc_lo, -1, 0
.LBB71_10:                              ; =>This Inner Loop Header: Depth=1
	global_load_b32 v27, v[18:19], off
	global_load_b128 v[23:26], v[20:21], off offset:-8
	v_add_co_u32 v18, s1, 0x100, v18
	s_delay_alu instid0(VALU_DEP_1) | instskip(SKIP_4) | instid1(VALU_DEP_2)
	v_add_co_ci_u32_e64 v19, s1, 0, v19, s1
	s_waitcnt vmcnt(1)
	v_subrev_nc_u32_e32 v27, s12, v27
	s_waitcnt vmcnt(0)
	v_xor_b32_e32 v31, 0x80000000, v26
	v_ashrrev_i32_e32 v28, 31, v27
	s_delay_alu instid0(VALU_DEP_2) | instskip(NEXT) | instid1(VALU_DEP_2)
	v_cndmask_b32_e32 v26, v26, v31, vcc_lo
	v_lshlrev_b64 v[27:28], 4, v[27:28]
	s_delay_alu instid0(VALU_DEP_2) | instskip(SKIP_1) | instid1(VALU_DEP_3)
	v_mul_f64 v[31:32], v[25:26], -v[2:3]
	v_mul_f64 v[25:26], v[0:1], v[25:26]
	v_add_co_u32 v27, s0, s2, v27
	s_delay_alu instid0(VALU_DEP_1) | instskip(SKIP_1) | instid1(VALU_DEP_1)
	v_add_co_ci_u32_e64 v28, s0, s3, v28, s0
	v_add_co_u32 v16, s0, v16, 64
	v_add_co_ci_u32_e64 v17, s0, 0, v17, s0
	global_load_b128 v[27:30], v[27:28], off
	v_add_co_u32 v20, s0, 0x400, v20
	s_delay_alu instid0(VALU_DEP_1) | instskip(SKIP_1) | instid1(VALU_DEP_1)
	v_add_co_ci_u32_e64 v21, s0, 0, v21, s0
	v_cmp_ge_i64_e64 s0, v[16:17], v[14:15]
	s_or_b32 s7, s0, s7
	v_fma_f64 v[31:32], v[0:1], v[23:24], v[31:32]
	v_fma_f64 v[23:24], v[2:3], v[23:24], v[25:26]
	s_waitcnt vmcnt(0)
	s_delay_alu instid0(VALU_DEP_2) | instskip(NEXT) | instid1(VALU_DEP_2)
	v_fma_f64 v[12:13], v[31:32], v[27:28], v[12:13]
	v_fma_f64 v[10:11], v[23:24], v[27:28], v[10:11]
	s_delay_alu instid0(VALU_DEP_2) | instskip(NEXT) | instid1(VALU_DEP_2)
	v_fma_f64 v[12:13], -v[23:24], v[29:30], v[12:13]
	v_fma_f64 v[10:11], v[31:32], v[29:30], v[10:11]
	s_and_not1_b32 exec_lo, exec_lo, s7
	s_cbranch_execnz .LBB71_10
; %bb.11:
	s_or_b32 exec_lo, exec_lo, s7
.LBB71_12:
	s_delay_alu instid0(SALU_CYCLE_1) | instskip(SKIP_1) | instid1(VALU_DEP_1)
	s_or_b32 exec_lo, exec_lo, s6
	v_mbcnt_lo_u32_b32 v14, -1, 0
	v_or_b32_e32 v0, 32, v14
	s_delay_alu instid0(VALU_DEP_1) | instskip(SKIP_1) | instid1(VALU_DEP_1)
	v_cmp_gt_i32_e32 vcc_lo, 32, v0
	v_cndmask_b32_e32 v0, v14, v0, vcc_lo
	v_lshlrev_b32_e32 v3, 2, v0
	ds_bpermute_b32 v0, v3, v12
	ds_bpermute_b32 v1, v3, v13
	;; [unrolled: 1-line block ×4, first 2 shown]
	s_waitcnt lgkmcnt(2)
	v_add_f64 v[0:1], v[12:13], v[0:1]
	s_waitcnt lgkmcnt(0)
	v_add_f64 v[2:3], v[10:11], v[2:3]
	v_xor_b32_e32 v10, 16, v14
	s_delay_alu instid0(VALU_DEP_1) | instskip(SKIP_1) | instid1(VALU_DEP_1)
	v_cmp_gt_i32_e32 vcc_lo, 32, v10
	v_cndmask_b32_e32 v10, v14, v10, vcc_lo
	v_lshlrev_b32_e32 v13, 2, v10
	ds_bpermute_b32 v10, v13, v0
	ds_bpermute_b32 v11, v13, v1
	ds_bpermute_b32 v12, v13, v2
	ds_bpermute_b32 v13, v13, v3
	s_waitcnt lgkmcnt(2)
	v_add_f64 v[0:1], v[0:1], v[10:11]
	v_xor_b32_e32 v10, 8, v14
	s_waitcnt lgkmcnt(0)
	v_add_f64 v[2:3], v[2:3], v[12:13]
	s_delay_alu instid0(VALU_DEP_2) | instskip(SKIP_1) | instid1(VALU_DEP_1)
	v_cmp_gt_i32_e32 vcc_lo, 32, v10
	v_cndmask_b32_e32 v10, v14, v10, vcc_lo
	v_lshlrev_b32_e32 v13, 2, v10
	ds_bpermute_b32 v10, v13, v0
	ds_bpermute_b32 v11, v13, v1
	ds_bpermute_b32 v12, v13, v2
	ds_bpermute_b32 v13, v13, v3
	s_waitcnt lgkmcnt(2)
	v_add_f64 v[0:1], v[0:1], v[10:11]
	v_xor_b32_e32 v10, 4, v14
	s_waitcnt lgkmcnt(0)
	v_add_f64 v[2:3], v[2:3], v[12:13]
	s_delay_alu instid0(VALU_DEP_2) | instskip(SKIP_1) | instid1(VALU_DEP_1)
	;; [unrolled: 13-line block ×3, first 2 shown]
	v_cmp_gt_i32_e32 vcc_lo, 32, v10
	v_cndmask_b32_e32 v10, v14, v10, vcc_lo
	v_lshlrev_b32_e32 v13, 2, v10
	ds_bpermute_b32 v10, v13, v0
	ds_bpermute_b32 v11, v13, v1
	ds_bpermute_b32 v12, v13, v2
	ds_bpermute_b32 v13, v13, v3
	s_waitcnt lgkmcnt(2)
	v_add_f64 v[0:1], v[0:1], v[10:11]
	v_xor_b32_e32 v10, 1, v14
	s_waitcnt lgkmcnt(0)
	v_add_f64 v[2:3], v[2:3], v[12:13]
	s_delay_alu instid0(VALU_DEP_2) | instskip(SKIP_2) | instid1(VALU_DEP_2)
	v_cmp_gt_i32_e32 vcc_lo, 32, v10
	v_cndmask_b32_e32 v10, v14, v10, vcc_lo
	v_cmp_eq_u32_e32 vcc_lo, 63, v22
	v_lshlrev_b32_e32 v13, 2, v10
	ds_bpermute_b32 v10, v13, v0
	ds_bpermute_b32 v11, v13, v1
	;; [unrolled: 1-line block ×4, first 2 shown]
	s_and_b32 exec_lo, exec_lo, vcc_lo
	s_cbranch_execz .LBB71_16
; %bb.13:
	v_cmp_neq_f64_e32 vcc_lo, 0, v[4:5]
	v_cmp_neq_f64_e64 s0, 0, v[6:7]
	s_waitcnt lgkmcnt(2)
	v_add_f64 v[0:1], v[0:1], v[10:11]
	s_waitcnt lgkmcnt(0)
	v_add_f64 v[2:3], v[2:3], v[12:13]
	v_lshlrev_b64 v[8:9], 4, v[8:9]
	s_delay_alu instid0(VALU_DEP_4) | instskip(NEXT) | instid1(SALU_CYCLE_1)
	s_or_b32 s1, vcc_lo, s0
	s_and_saveexec_b32 s0, s1
	s_cbranch_execz .LBB71_15
; %bb.14:
	s_delay_alu instid0(VALU_DEP_1) | instskip(NEXT) | instid1(VALU_DEP_2)
	v_add_co_u32 v10, vcc_lo, s4, v8
	v_add_co_ci_u32_e32 v11, vcc_lo, s5, v9, vcc_lo
	global_load_b128 v[10:13], v[10:11], off
	s_waitcnt vmcnt(0)
	v_fma_f64 v[0:1], v[4:5], v[10:11], v[0:1]
	v_fma_f64 v[2:3], v[6:7], v[10:11], v[2:3]
	s_delay_alu instid0(VALU_DEP_2) | instskip(NEXT) | instid1(VALU_DEP_2)
	v_fma_f64 v[0:1], -v[6:7], v[12:13], v[0:1]
	v_fma_f64 v[2:3], v[4:5], v[12:13], v[2:3]
.LBB71_15:
	s_or_b32 exec_lo, exec_lo, s0
	s_delay_alu instid0(VALU_DEP_1)
	v_add_co_u32 v4, vcc_lo, s4, v8
	v_add_co_ci_u32_e32 v5, vcc_lo, s5, v9, vcc_lo
	global_store_b128 v[4:5], v[0:3], off
.LBB71_16:
	s_nop 0
	s_sendmsg sendmsg(MSG_DEALLOC_VGPRS)
	s_endpgm
	.section	.rodata,"a",@progbits
	.p2align	6, 0x0
	.amdhsa_kernel _ZN9rocsparseL41csrmvn_lrb_medium_rows_warp_reduce_kernelILj256ELj64Eli21rocsparse_complex_numIdES2_S2_S2_EEvbT1_lPT2_S5_jNS_24const_host_device_scalarIT6_EEPKS3_PKS4_PKT3_PKT4_S8_PT5_21rocsparse_index_base_b
		.amdhsa_group_segment_fixed_size 4096
		.amdhsa_private_segment_fixed_size 0
		.amdhsa_kernarg_size 128
		.amdhsa_user_sgpr_count 15
		.amdhsa_user_sgpr_dispatch_ptr 1
		.amdhsa_user_sgpr_queue_ptr 0
		.amdhsa_user_sgpr_kernarg_segment_ptr 1
		.amdhsa_user_sgpr_dispatch_id 0
		.amdhsa_user_sgpr_private_segment_size 0
		.amdhsa_wavefront_size32 1
		.amdhsa_uses_dynamic_stack 0
		.amdhsa_enable_private_segment 0
		.amdhsa_system_sgpr_workgroup_id_x 1
		.amdhsa_system_sgpr_workgroup_id_y 0
		.amdhsa_system_sgpr_workgroup_id_z 0
		.amdhsa_system_sgpr_workgroup_info 0
		.amdhsa_system_vgpr_workitem_id 2
		.amdhsa_next_free_vgpr 33
		.amdhsa_next_free_sgpr 18
		.amdhsa_reserve_vcc 1
		.amdhsa_float_round_mode_32 0
		.amdhsa_float_round_mode_16_64 0
		.amdhsa_float_denorm_mode_32 3
		.amdhsa_float_denorm_mode_16_64 3
		.amdhsa_dx10_clamp 1
		.amdhsa_ieee_mode 1
		.amdhsa_fp16_overflow 0
		.amdhsa_workgroup_processor_mode 1
		.amdhsa_memory_ordered 1
		.amdhsa_forward_progress 0
		.amdhsa_shared_vgpr_count 0
		.amdhsa_exception_fp_ieee_invalid_op 0
		.amdhsa_exception_fp_denorm_src 0
		.amdhsa_exception_fp_ieee_div_zero 0
		.amdhsa_exception_fp_ieee_overflow 0
		.amdhsa_exception_fp_ieee_underflow 0
		.amdhsa_exception_fp_ieee_inexact 0
		.amdhsa_exception_int_div_zero 0
	.end_amdhsa_kernel
	.section	.text._ZN9rocsparseL41csrmvn_lrb_medium_rows_warp_reduce_kernelILj256ELj64Eli21rocsparse_complex_numIdES2_S2_S2_EEvbT1_lPT2_S5_jNS_24const_host_device_scalarIT6_EEPKS3_PKS4_PKT3_PKT4_S8_PT5_21rocsparse_index_base_b,"axG",@progbits,_ZN9rocsparseL41csrmvn_lrb_medium_rows_warp_reduce_kernelILj256ELj64Eli21rocsparse_complex_numIdES2_S2_S2_EEvbT1_lPT2_S5_jNS_24const_host_device_scalarIT6_EEPKS3_PKS4_PKT3_PKT4_S8_PT5_21rocsparse_index_base_b,comdat
.Lfunc_end71:
	.size	_ZN9rocsparseL41csrmvn_lrb_medium_rows_warp_reduce_kernelILj256ELj64Eli21rocsparse_complex_numIdES2_S2_S2_EEvbT1_lPT2_S5_jNS_24const_host_device_scalarIT6_EEPKS3_PKS4_PKT3_PKT4_S8_PT5_21rocsparse_index_base_b, .Lfunc_end71-_ZN9rocsparseL41csrmvn_lrb_medium_rows_warp_reduce_kernelILj256ELj64Eli21rocsparse_complex_numIdES2_S2_S2_EEvbT1_lPT2_S5_jNS_24const_host_device_scalarIT6_EEPKS3_PKS4_PKT3_PKT4_S8_PT5_21rocsparse_index_base_b
                                        ; -- End function
	.section	.AMDGPU.csdata,"",@progbits
; Kernel info:
; codeLenInByte = 1632
; NumSgprs: 20
; NumVgprs: 33
; ScratchSize: 0
; MemoryBound: 0
; FloatMode: 240
; IeeeMode: 1
; LDSByteSize: 4096 bytes/workgroup (compile time only)
; SGPRBlocks: 2
; VGPRBlocks: 4
; NumSGPRsForWavesPerEU: 20
; NumVGPRsForWavesPerEU: 33
; Occupancy: 16
; WaveLimiterHint : 1
; COMPUTE_PGM_RSRC2:SCRATCH_EN: 0
; COMPUTE_PGM_RSRC2:USER_SGPR: 15
; COMPUTE_PGM_RSRC2:TRAP_HANDLER: 0
; COMPUTE_PGM_RSRC2:TGID_X_EN: 1
; COMPUTE_PGM_RSRC2:TGID_Y_EN: 0
; COMPUTE_PGM_RSRC2:TGID_Z_EN: 0
; COMPUTE_PGM_RSRC2:TIDIG_COMP_CNT: 2
	.section	.text._ZN9rocsparseL29csrmvn_lrb_medium_rows_kernelILj256Eli21rocsparse_complex_numIdES2_S2_S2_EEvbT0_PT1_S5_jNS_24const_host_device_scalarIT5_EEPKS3_PKS4_PKT2_PKT3_S8_PT4_21rocsparse_index_base_b,"axG",@progbits,_ZN9rocsparseL29csrmvn_lrb_medium_rows_kernelILj256Eli21rocsparse_complex_numIdES2_S2_S2_EEvbT0_PT1_S5_jNS_24const_host_device_scalarIT5_EEPKS3_PKS4_PKT2_PKT3_S8_PT4_21rocsparse_index_base_b,comdat
	.globl	_ZN9rocsparseL29csrmvn_lrb_medium_rows_kernelILj256Eli21rocsparse_complex_numIdES2_S2_S2_EEvbT0_PT1_S5_jNS_24const_host_device_scalarIT5_EEPKS3_PKS4_PKT2_PKT3_S8_PT4_21rocsparse_index_base_b ; -- Begin function _ZN9rocsparseL29csrmvn_lrb_medium_rows_kernelILj256Eli21rocsparse_complex_numIdES2_S2_S2_EEvbT0_PT1_S5_jNS_24const_host_device_scalarIT5_EEPKS3_PKS4_PKT2_PKT3_S8_PT4_21rocsparse_index_base_b
	.p2align	8
	.type	_ZN9rocsparseL29csrmvn_lrb_medium_rows_kernelILj256Eli21rocsparse_complex_numIdES2_S2_S2_EEvbT0_PT1_S5_jNS_24const_host_device_scalarIT5_EEPKS3_PKS4_PKT2_PKT3_S8_PT4_21rocsparse_index_base_b,@function
_ZN9rocsparseL29csrmvn_lrb_medium_rows_kernelILj256Eli21rocsparse_complex_numIdES2_S2_S2_EEvbT0_PT1_S5_jNS_24const_host_device_scalarIT5_EEPKS3_PKS4_PKT2_PKT3_S8_PT4_21rocsparse_index_base_b: ; @_ZN9rocsparseL29csrmvn_lrb_medium_rows_kernelILj256Eli21rocsparse_complex_numIdES2_S2_S2_EEvbT0_PT1_S5_jNS_24const_host_device_scalarIT5_EEPKS3_PKS4_PKT2_PKT3_S8_PT4_21rocsparse_index_base_b
; %bb.0:
	s_clause 0x1
	s_load_b64 s[12:13], s[2:3], 0x70
	s_load_b128 s[4:7], s[2:3], 0x28
	s_load_b64 s[16:17], s[0:1], 0x4
	s_mov_b64 s[0:1], src_shared_base
	v_and_b32_e32 v18, 0x3ff, v0
	s_load_b128 s[8:11], s[2:3], 0x58
	v_bfe_u32 v2, v0, 10, 10
	v_bfe_u32 v0, v0, 20, 10
	s_waitcnt lgkmcnt(0)
	s_bitcmp1_b32 s13, 0
	v_mov_b32_e32 v11, s7
	s_cselect_b32 s0, -1, 0
	v_mov_b32_e32 v10, s6
	s_and_b32 vcc_lo, s0, exec_lo
	s_cselect_b32 s13, s1, s5
	s_lshr_b32 s14, s16, 16
	s_xor_b32 s6, s0, -1
	s_mul_i32 s14, s14, s17
	v_mov_b32_e32 v5, s13
	v_mul_lo_u32 v1, s14, v18
	s_delay_alu instid0(VALU_DEP_1) | instskip(SKIP_1) | instid1(VALU_DEP_2)
	v_mad_u32_u24 v1, v2, s17, v1
	v_dual_mov_b32 v2, s8 :: v_dual_mov_b32 v3, s9
	v_add_lshl_u32 v6, v1, v0, 3
	v_dual_mov_b32 v0, s4 :: v_dual_mov_b32 v1, s5
	s_delay_alu instid0(VALU_DEP_2)
	v_add_nc_u32_e32 v4, 0x1800, v6
	ds_store_2addr_stride64_b64 v6, v[2:3], v[0:1] offset0:8 offset1:12
	v_add_nc_u32_e32 v0, 0x1000, v6
	v_cndmask_b32_e64 v4, s4, v4, s0
	flat_load_b64 v[8:9], v[4:5]
	s_cbranch_vccnz .LBB72_2
; %bb.1:
	v_dual_mov_b32 v1, s4 :: v_dual_mov_b32 v2, s5
	flat_load_b64 v[10:11], v[1:2] offset:8
.LBB72_2:
	s_and_b32 s4, s0, exec_lo
	s_cselect_b32 s1, s1, s9
	v_cndmask_b32_e64 v0, s8, v0, s0
	v_dual_mov_b32 v1, s1 :: v_dual_mov_b32 v6, s10
	v_mov_b32_e32 v7, s11
	s_and_not1_b32 vcc_lo, exec_lo, s6
	flat_load_b64 v[4:5], v[0:1]
	s_cbranch_vccnz .LBB72_4
; %bb.3:
	v_dual_mov_b32 v0, s8 :: v_dual_mov_b32 v1, s9
	flat_load_b64 v[6:7], v[0:1] offset:8
.LBB72_4:
	s_waitcnt vmcnt(1) lgkmcnt(1)
	v_cmp_eq_f64_e32 vcc_lo, 0, v[8:9]
	v_cmp_eq_f64_e64 s0, 0, v[10:11]
	s_delay_alu instid0(VALU_DEP_1)
	s_and_b32 s4, vcc_lo, s0
	s_mov_b32 s0, -1
	s_and_saveexec_b32 s1, s4
	s_cbranch_execz .LBB72_6
; %bb.5:
	s_waitcnt vmcnt(0) lgkmcnt(0)
	v_cmp_neq_f64_e32 vcc_lo, 1.0, v[4:5]
	v_cmp_neq_f64_e64 s0, 0, v[6:7]
	s_delay_alu instid0(VALU_DEP_1) | instskip(NEXT) | instid1(SALU_CYCLE_1)
	s_or_b32 s0, vcc_lo, s0
	s_or_not1_b32 s0, s0, exec_lo
.LBB72_6:
	s_or_b32 exec_lo, exec_lo, s1
	s_and_saveexec_b32 s1, s0
	s_cbranch_execz .LBB72_31
; %bb.7:
	s_clause 0x1
	s_load_b32 s8, s[2:3], 0x20
	s_load_b128 s[4:7], s[2:3], 0x10
	s_mov_b32 s9, 0
	v_mov_b32_e32 v2, 0
	v_mov_b32_e32 v3, 0
	s_waitcnt lgkmcnt(0)
	s_lshl_b64 s[0:1], s[8:9], 2
	s_mov_b32 s8, exec_lo
	s_add_u32 s0, s6, s0
	s_addc_u32 s1, s7, s1
	s_load_b32 s0, s[0:1], 0x0
	s_waitcnt lgkmcnt(0)
	s_add_i32 s0, s0, s15
	s_delay_alu instid0(SALU_CYCLE_1) | instskip(NEXT) | instid1(SALU_CYCLE_1)
	s_ashr_i32 s1, s0, 31
	s_lshl_b64 s[0:1], s[0:1], 2
	s_delay_alu instid0(SALU_CYCLE_1)
	s_add_u32 s0, s4, s0
	s_addc_u32 s1, s5, s1
	s_load_b32 s4, s[0:1], 0x0
	s_load_b64 s[0:1], s[2:3], 0x38
	s_waitcnt lgkmcnt(0)
	s_ashr_i32 s5, s4, 31
	s_delay_alu instid0(SALU_CYCLE_1) | instskip(NEXT) | instid1(SALU_CYCLE_1)
	s_lshl_b64 s[6:7], s[4:5], 3
	s_add_u32 s0, s0, s6
	s_addc_u32 s1, s1, s7
	s_load_b128 s[16:19], s[0:1], 0x0
	s_load_b64 s[6:7], s[2:3], 0x68
	v_sub_co_u32 v0, s0, v18, s12
	s_delay_alu instid0(VALU_DEP_1) | instskip(SKIP_1) | instid1(VALU_DEP_2)
	v_sub_co_ci_u32_e64 v1, null, 0, 0, s0
	s_waitcnt lgkmcnt(0)
	v_add_co_u32 v12, vcc_lo, s16, v0
	s_delay_alu instid0(VALU_DEP_2)
	v_add_co_ci_u32_e32 v13, vcc_lo, s17, v1, vcc_lo
	v_dual_mov_b32 v0, v2 :: v_dual_mov_b32 v1, v3
	s_sub_u32 s10, s18, s12
	s_subb_u32 s11, s19, 0
	s_delay_alu instid0(VALU_DEP_2) | instid1(SALU_CYCLE_1)
	v_cmpx_gt_i64_e64 s[10:11], v[12:13]
	s_cbranch_execz .LBB72_11
; %bb.8:
	s_clause 0x2
	s_load_b128 s[16:19], s[2:3], 0x40
	s_load_b32 s0, s[2:3], 0x0
	s_load_b64 s[2:3], s[2:3], 0x50
	v_lshlrev_b64 v[0:1], 4, v[12:13]
	v_lshlrev_b64 v[14:15], 2, v[12:13]
	v_mov_b32_e32 v2, 0
	v_mov_b32_e32 v3, 0
	s_waitcnt lgkmcnt(0)
	s_delay_alu instid0(VALU_DEP_4) | instskip(SKIP_3) | instid1(VALU_DEP_4)
	v_add_co_u32 v0, vcc_lo, v0, s18
	v_add_co_ci_u32_e32 v1, vcc_lo, s19, v1, vcc_lo
	v_add_co_u32 v14, vcc_lo, s16, v14
	v_add_co_ci_u32_e32 v15, vcc_lo, s17, v15, vcc_lo
	v_add_co_u32 v16, vcc_lo, v0, 8
	s_delay_alu instid0(VALU_DEP_4)
	v_add_co_ci_u32_e32 v17, vcc_lo, 0, v1, vcc_lo
	v_dual_mov_b32 v0, v2 :: v_dual_mov_b32 v1, v3
	s_bitcmp1_b32 s0, 0
	s_cselect_b32 vcc_lo, -1, 0
.LBB72_9:                               ; =>This Inner Loop Header: Depth=1
	global_load_b32 v23, v[14:15], off
	global_load_b128 v[19:22], v[16:17], off offset:-8
	v_add_co_u32 v14, s1, 0x400, v14
	s_delay_alu instid0(VALU_DEP_1) | instskip(SKIP_4) | instid1(VALU_DEP_2)
	v_add_co_ci_u32_e64 v15, s1, 0, v15, s1
	s_waitcnt vmcnt(1)
	v_subrev_nc_u32_e32 v23, s12, v23
	s_waitcnt vmcnt(0)
	v_xor_b32_e32 v27, 0x80000000, v22
	v_ashrrev_i32_e32 v24, 31, v23
	s_delay_alu instid0(VALU_DEP_2) | instskip(NEXT) | instid1(VALU_DEP_2)
	v_cndmask_b32_e32 v22, v22, v27, vcc_lo
	v_lshlrev_b64 v[23:24], 4, v[23:24]
	s_delay_alu instid0(VALU_DEP_2) | instskip(SKIP_1) | instid1(VALU_DEP_3)
	v_mul_f64 v[27:28], v[21:22], -v[10:11]
	v_mul_f64 v[21:22], v[8:9], v[21:22]
	v_add_co_u32 v23, s0, s2, v23
	s_delay_alu instid0(VALU_DEP_1) | instskip(SKIP_1) | instid1(VALU_DEP_1)
	v_add_co_ci_u32_e64 v24, s0, s3, v24, s0
	v_add_co_u32 v12, s0, 0x100, v12
	v_add_co_ci_u32_e64 v13, s0, 0, v13, s0
	global_load_b128 v[23:26], v[23:24], off
	v_add_co_u32 v16, s0, 0x1000, v16
	s_delay_alu instid0(VALU_DEP_1) | instskip(SKIP_1) | instid1(VALU_DEP_1)
	v_add_co_ci_u32_e64 v17, s0, 0, v17, s0
	v_cmp_le_i64_e64 s0, s[10:11], v[12:13]
	s_or_b32 s9, s0, s9
	v_fma_f64 v[27:28], v[8:9], v[19:20], v[27:28]
	v_fma_f64 v[19:20], v[10:11], v[19:20], v[21:22]
	s_waitcnt vmcnt(0)
	s_delay_alu instid0(VALU_DEP_2) | instskip(NEXT) | instid1(VALU_DEP_2)
	v_fma_f64 v[0:1], v[27:28], v[23:24], v[0:1]
	v_fma_f64 v[2:3], v[19:20], v[23:24], v[2:3]
	s_delay_alu instid0(VALU_DEP_2) | instskip(NEXT) | instid1(VALU_DEP_2)
	v_fma_f64 v[0:1], -v[19:20], v[25:26], v[0:1]
	v_fma_f64 v[2:3], v[27:28], v[25:26], v[2:3]
	s_and_not1_b32 exec_lo, exec_lo, s9
	s_cbranch_execnz .LBB72_9
; %bb.10:
	s_or_b32 exec_lo, exec_lo, s9
.LBB72_11:
	s_delay_alu instid0(SALU_CYCLE_1)
	s_or_b32 exec_lo, exec_lo, s8
	v_lshlrev_b32_e32 v8, 4, v18
	s_mov_b32 s0, exec_lo
	ds_store_b128 v8, v[0:3]
	s_waitcnt vmcnt(0) lgkmcnt(0)
	s_barrier
	buffer_gl0_inv
	v_cmpx_gt_u32_e32 0x80, v18
	s_cbranch_execz .LBB72_13
; %bb.12:
	ds_load_b128 v[0:3], v8 offset:2048
	ds_load_b128 v[9:12], v8
	s_waitcnt lgkmcnt(0)
	v_add_f64 v[0:1], v[0:1], v[9:10]
	v_add_f64 v[2:3], v[2:3], v[11:12]
	ds_store_b128 v8, v[0:3]
.LBB72_13:
	s_or_b32 exec_lo, exec_lo, s0
	s_delay_alu instid0(SALU_CYCLE_1)
	s_mov_b32 s0, exec_lo
	s_waitcnt lgkmcnt(0)
	s_barrier
	buffer_gl0_inv
	v_cmpx_gt_u32_e32 64, v18
	s_cbranch_execz .LBB72_15
; %bb.14:
	ds_load_b128 v[0:3], v8 offset:1024
	ds_load_b128 v[9:12], v8
	s_waitcnt lgkmcnt(0)
	v_add_f64 v[0:1], v[0:1], v[9:10]
	v_add_f64 v[2:3], v[2:3], v[11:12]
	ds_store_b128 v8, v[0:3]
.LBB72_15:
	s_or_b32 exec_lo, exec_lo, s0
	s_delay_alu instid0(SALU_CYCLE_1)
	s_mov_b32 s0, exec_lo
	s_waitcnt lgkmcnt(0)
	;; [unrolled: 16-line block ×6, first 2 shown]
	s_barrier
	buffer_gl0_inv
	v_cmpx_gt_u32_e32 2, v18
	s_cbranch_execz .LBB72_25
; %bb.24:
	ds_load_b128 v[0:3], v8
	ds_load_b128 v[9:12], v8 offset:32
	s_waitcnt lgkmcnt(0)
	v_add_f64 v[0:1], v[9:10], v[0:1]
	v_add_f64 v[2:3], v[11:12], v[2:3]
	ds_store_b128 v8, v[0:3]
.LBB72_25:
	s_or_b32 exec_lo, exec_lo, s0
	v_cmp_eq_u32_e32 vcc_lo, 0, v18
	s_waitcnt lgkmcnt(0)
	s_barrier
	buffer_gl0_inv
	s_and_saveexec_b32 s0, vcc_lo
	s_cbranch_execz .LBB72_27
; %bb.26:
	v_mov_b32_e32 v12, 0
	ds_load_b128 v[0:3], v12
	ds_load_b128 v[8:11], v12 offset:16
	s_waitcnt lgkmcnt(0)
	v_add_f64 v[0:1], v[8:9], v[0:1]
	v_add_f64 v[2:3], v[10:11], v[2:3]
	ds_store_b128 v12, v[0:3]
.LBB72_27:
	s_or_b32 exec_lo, exec_lo, s0
	s_waitcnt lgkmcnt(0)
	s_barrier
	buffer_gl0_inv
	s_and_b32 exec_lo, exec_lo, vcc_lo
	s_cbranch_execz .LBB72_31
; %bb.28:
	v_cmp_neq_f64_e32 vcc_lo, 0, v[4:5]
	v_cmp_neq_f64_e64 s0, 0, v[6:7]
	v_mov_b32_e32 v8, 0
	ds_load_b128 v[0:3], v8
	s_or_b32 s1, vcc_lo, s0
	s_delay_alu instid0(SALU_CYCLE_1)
	s_and_saveexec_b32 s0, s1
	s_cbranch_execz .LBB72_30
; %bb.29:
	s_lshl_b64 s[2:3], s[4:5], 4
	s_delay_alu instid0(SALU_CYCLE_1)
	s_add_u32 s2, s6, s2
	s_addc_u32 s3, s7, s3
	s_load_b128 s[8:11], s[2:3], 0x0
	s_waitcnt lgkmcnt(0)
	v_fma_f64 v[0:1], v[4:5], s[8:9], v[0:1]
	v_fma_f64 v[2:3], v[6:7], s[8:9], v[2:3]
	s_delay_alu instid0(VALU_DEP_2) | instskip(NEXT) | instid1(VALU_DEP_2)
	v_fma_f64 v[0:1], -v[6:7], s[10:11], v[0:1]
	v_fma_f64 v[2:3], v[4:5], s[10:11], v[2:3]
.LBB72_30:
	s_or_b32 exec_lo, exec_lo, s0
	s_lshl_b64 s[0:1], s[4:5], 4
	s_delay_alu instid0(SALU_CYCLE_1)
	s_add_u32 s0, s6, s0
	s_addc_u32 s1, s7, s1
	s_waitcnt lgkmcnt(0)
	global_store_b128 v8, v[0:3], s[0:1]
.LBB72_31:
	s_nop 0
	s_sendmsg sendmsg(MSG_DEALLOC_VGPRS)
	s_endpgm
	.section	.rodata,"a",@progbits
	.p2align	6, 0x0
	.amdhsa_kernel _ZN9rocsparseL29csrmvn_lrb_medium_rows_kernelILj256Eli21rocsparse_complex_numIdES2_S2_S2_EEvbT0_PT1_S5_jNS_24const_host_device_scalarIT5_EEPKS3_PKS4_PKT2_PKT3_S8_PT4_21rocsparse_index_base_b
		.amdhsa_group_segment_fixed_size 8192
		.amdhsa_private_segment_fixed_size 0
		.amdhsa_kernarg_size 120
		.amdhsa_user_sgpr_count 15
		.amdhsa_user_sgpr_dispatch_ptr 1
		.amdhsa_user_sgpr_queue_ptr 0
		.amdhsa_user_sgpr_kernarg_segment_ptr 1
		.amdhsa_user_sgpr_dispatch_id 0
		.amdhsa_user_sgpr_private_segment_size 0
		.amdhsa_wavefront_size32 1
		.amdhsa_uses_dynamic_stack 0
		.amdhsa_enable_private_segment 0
		.amdhsa_system_sgpr_workgroup_id_x 1
		.amdhsa_system_sgpr_workgroup_id_y 0
		.amdhsa_system_sgpr_workgroup_id_z 0
		.amdhsa_system_sgpr_workgroup_info 0
		.amdhsa_system_vgpr_workitem_id 2
		.amdhsa_next_free_vgpr 29
		.amdhsa_next_free_sgpr 20
		.amdhsa_reserve_vcc 1
		.amdhsa_float_round_mode_32 0
		.amdhsa_float_round_mode_16_64 0
		.amdhsa_float_denorm_mode_32 3
		.amdhsa_float_denorm_mode_16_64 3
		.amdhsa_dx10_clamp 1
		.amdhsa_ieee_mode 1
		.amdhsa_fp16_overflow 0
		.amdhsa_workgroup_processor_mode 1
		.amdhsa_memory_ordered 1
		.amdhsa_forward_progress 0
		.amdhsa_shared_vgpr_count 0
		.amdhsa_exception_fp_ieee_invalid_op 0
		.amdhsa_exception_fp_denorm_src 0
		.amdhsa_exception_fp_ieee_div_zero 0
		.amdhsa_exception_fp_ieee_overflow 0
		.amdhsa_exception_fp_ieee_underflow 0
		.amdhsa_exception_fp_ieee_inexact 0
		.amdhsa_exception_int_div_zero 0
	.end_amdhsa_kernel
	.section	.text._ZN9rocsparseL29csrmvn_lrb_medium_rows_kernelILj256Eli21rocsparse_complex_numIdES2_S2_S2_EEvbT0_PT1_S5_jNS_24const_host_device_scalarIT5_EEPKS3_PKS4_PKT2_PKT3_S8_PT4_21rocsparse_index_base_b,"axG",@progbits,_ZN9rocsparseL29csrmvn_lrb_medium_rows_kernelILj256Eli21rocsparse_complex_numIdES2_S2_S2_EEvbT0_PT1_S5_jNS_24const_host_device_scalarIT5_EEPKS3_PKS4_PKT2_PKT3_S8_PT4_21rocsparse_index_base_b,comdat
.Lfunc_end72:
	.size	_ZN9rocsparseL29csrmvn_lrb_medium_rows_kernelILj256Eli21rocsparse_complex_numIdES2_S2_S2_EEvbT0_PT1_S5_jNS_24const_host_device_scalarIT5_EEPKS3_PKS4_PKT2_PKT3_S8_PT4_21rocsparse_index_base_b, .Lfunc_end72-_ZN9rocsparseL29csrmvn_lrb_medium_rows_kernelILj256Eli21rocsparse_complex_numIdES2_S2_S2_EEvbT0_PT1_S5_jNS_24const_host_device_scalarIT5_EEPKS3_PKS4_PKT2_PKT3_S8_PT4_21rocsparse_index_base_b
                                        ; -- End function
	.section	.AMDGPU.csdata,"",@progbits
; Kernel info:
; codeLenInByte = 1776
; NumSgprs: 22
; NumVgprs: 29
; ScratchSize: 0
; MemoryBound: 0
; FloatMode: 240
; IeeeMode: 1
; LDSByteSize: 8192 bytes/workgroup (compile time only)
; SGPRBlocks: 2
; VGPRBlocks: 3
; NumSGPRsForWavesPerEU: 22
; NumVGPRsForWavesPerEU: 29
; Occupancy: 16
; WaveLimiterHint : 1
; COMPUTE_PGM_RSRC2:SCRATCH_EN: 0
; COMPUTE_PGM_RSRC2:USER_SGPR: 15
; COMPUTE_PGM_RSRC2:TRAP_HANDLER: 0
; COMPUTE_PGM_RSRC2:TGID_X_EN: 1
; COMPUTE_PGM_RSRC2:TGID_Y_EN: 0
; COMPUTE_PGM_RSRC2:TGID_Z_EN: 0
; COMPUTE_PGM_RSRC2:TIDIG_COMP_CNT: 2
	.section	.text._ZN9rocsparseL27csrmvn_lrb_long_rows_kernelIli21rocsparse_complex_numIdES2_S2_S2_EEvbT_PjPT0_S6_jNS_24const_host_device_scalarIT4_EEPKS3_PKS5_PKT1_PKT2_S9_PT3_21rocsparse_index_base_b,"axG",@progbits,_ZN9rocsparseL27csrmvn_lrb_long_rows_kernelIli21rocsparse_complex_numIdES2_S2_S2_EEvbT_PjPT0_S6_jNS_24const_host_device_scalarIT4_EEPKS3_PKS5_PKT1_PKT2_S9_PT3_21rocsparse_index_base_b,comdat
	.globl	_ZN9rocsparseL27csrmvn_lrb_long_rows_kernelIli21rocsparse_complex_numIdES2_S2_S2_EEvbT_PjPT0_S6_jNS_24const_host_device_scalarIT4_EEPKS3_PKS5_PKT1_PKT2_S9_PT3_21rocsparse_index_base_b ; -- Begin function _ZN9rocsparseL27csrmvn_lrb_long_rows_kernelIli21rocsparse_complex_numIdES2_S2_S2_EEvbT_PjPT0_S6_jNS_24const_host_device_scalarIT4_EEPKS3_PKS5_PKT1_PKT2_S9_PT3_21rocsparse_index_base_b
	.p2align	8
	.type	_ZN9rocsparseL27csrmvn_lrb_long_rows_kernelIli21rocsparse_complex_numIdES2_S2_S2_EEvbT_PjPT0_S6_jNS_24const_host_device_scalarIT4_EEPKS3_PKS5_PKT1_PKT2_S9_PT3_21rocsparse_index_base_b,@function
_ZN9rocsparseL27csrmvn_lrb_long_rows_kernelIli21rocsparse_complex_numIdES2_S2_S2_EEvbT_PjPT0_S6_jNS_24const_host_device_scalarIT4_EEPKS3_PKS5_PKT1_PKT2_S9_PT3_21rocsparse_index_base_b: ; @_ZN9rocsparseL27csrmvn_lrb_long_rows_kernelIli21rocsparse_complex_numIdES2_S2_S2_EEvbT_PjPT0_S6_jNS_24const_host_device_scalarIT4_EEPKS3_PKS5_PKT1_PKT2_S9_PT3_21rocsparse_index_base_b
; %bb.0:
	s_mov_b32 s12, s15
	s_clause 0x1
	s_load_b64 s[22:23], s[2:3], 0x78
	s_load_b128 s[4:7], s[2:3], 0x30
	s_load_b64 s[14:15], s[0:1], 0x4
	s_mov_b64 s[0:1], src_shared_base
	v_and_b32_e32 v14, 0x3ff, v0
	s_load_b128 s[8:11], s[2:3], 0x60
	v_bfe_u32 v2, v0, 10, 10
	v_bfe_u32 v0, v0, 20, 10
	s_waitcnt lgkmcnt(0)
	s_bitcmp1_b32 s23, 0
	s_cselect_b32 s0, -1, 0
	s_delay_alu instid0(SALU_CYCLE_1) | instskip(SKIP_4) | instid1(SALU_CYCLE_1)
	s_and_b32 vcc_lo, s0, exec_lo
	s_cselect_b32 s13, s1, s5
	s_lshr_b32 s14, s14, 16
	v_mov_b32_e32 v5, s13
	s_mul_i32 s14, s14, s15
	v_mul_lo_u32 v1, s14, v14
	s_delay_alu instid0(VALU_DEP_1) | instskip(SKIP_1) | instid1(VALU_DEP_2)
	v_mad_u32_u24 v1, v2, s15, v1
	v_dual_mov_b32 v2, s8 :: v_dual_mov_b32 v3, s9
	v_add_lshl_u32 v6, v1, v0, 3
	v_dual_mov_b32 v0, s4 :: v_dual_mov_b32 v1, s5
	s_delay_alu instid0(VALU_DEP_2)
	v_add_nc_u32_e32 v4, 0x1800, v6
	ds_store_2addr_stride64_b64 v6, v[2:3], v[0:1] offset0:8 offset1:12
	v_add_nc_u32_e32 v0, 0x1000, v6
	v_mov_b32_e32 v6, s6
	v_cndmask_b32_e64 v4, s4, v4, s0
	v_mov_b32_e32 v7, s7
	s_xor_b32 s6, s0, -1
	flat_load_b64 v[4:5], v[4:5]
	s_cbranch_vccnz .LBB73_2
; %bb.1:
	v_dual_mov_b32 v1, s4 :: v_dual_mov_b32 v2, s5
	flat_load_b64 v[6:7], v[1:2] offset:8
.LBB73_2:
	s_and_b32 s4, s0, exec_lo
	s_cselect_b32 s1, s1, s9
	v_cndmask_b32_e64 v0, s8, v0, s0
	v_dual_mov_b32 v1, s1 :: v_dual_mov_b32 v8, s10
	v_mov_b32_e32 v9, s11
	s_and_not1_b32 vcc_lo, exec_lo, s6
	flat_load_b64 v[10:11], v[0:1]
	s_cbranch_vccnz .LBB73_4
; %bb.3:
	v_dual_mov_b32 v0, s8 :: v_dual_mov_b32 v1, s9
	flat_load_b64 v[8:9], v[0:1] offset:8
.LBB73_4:
	s_waitcnt vmcnt(1) lgkmcnt(1)
	v_cmp_eq_f64_e32 vcc_lo, 0, v[4:5]
	v_cmp_eq_f64_e64 s0, 0, v[6:7]
	s_delay_alu instid0(VALU_DEP_1)
	s_and_b32 s4, vcc_lo, s0
	s_mov_b32 s0, -1
	s_and_saveexec_b32 s1, s4
	s_cbranch_execz .LBB73_6
; %bb.5:
	s_waitcnt vmcnt(0) lgkmcnt(0)
	v_cmp_neq_f64_e32 vcc_lo, 1.0, v[10:11]
	v_cmp_neq_f64_e64 s0, 0, v[8:9]
	s_delay_alu instid0(VALU_DEP_1) | instskip(NEXT) | instid1(SALU_CYCLE_1)
	s_or_b32 s0, vcc_lo, s0
	s_or_not1_b32 s0, s0, exec_lo
.LBB73_6:
	s_or_b32 exec_lo, exec_lo, s1
	s_and_saveexec_b32 s1, s0
	s_cbranch_execz .LBB73_44
; %bb.7:
	s_clause 0x1
	s_load_b32 s0, s[2:3], 0x28
	s_load_b64 s[4:5], s[2:3], 0x20
	s_mov_b32 s1, 0
	s_load_b64 s[16:17], s[2:3], 0x70
	s_waitcnt lgkmcnt(0)
	s_lshl_b64 s[6:7], s[0:1], 2
	s_delay_alu instid0(SALU_CYCLE_1) | instskip(SKIP_4) | instid1(SALU_CYCLE_1)
	s_add_u32 s4, s4, s6
	s_addc_u32 s5, s5, s7
	s_lshl_b32 s0, -1, s0
	s_load_b32 s8, s[4:5], 0x0
	s_not_b32 s0, s0
	s_mul_hi_u32 s0, s0, 0x2aaaaaab
	s_delay_alu instid0(SALU_CYCLE_1) | instskip(NEXT) | instid1(SALU_CYCLE_1)
	s_lshr_b32 s0, s0, 7
	s_add_i32 s10, s0, 1
	s_not_b32 s0, s0
	v_cvt_f32_u32_e32 v0, s10
	s_delay_alu instid0(VALU_DEP_1) | instskip(SKIP_2) | instid1(VALU_DEP_1)
	v_rcp_iflag_f32_e32 v0, v0
	s_waitcnt_depctr 0xfff
	v_mul_f32_e32 v0, 0x4f7ffffe, v0
	v_cvt_u32_f32_e32 v0, v0
	s_delay_alu instid0(VALU_DEP_1) | instskip(SKIP_2) | instid1(VALU_DEP_3)
	v_readfirstlane_b32 s6, v0
	v_mov_b32_e32 v0, 0
	v_mov_b32_e32 v1, 0
	s_mul_i32 s0, s0, s6
	s_delay_alu instid0(SALU_CYCLE_1) | instskip(NEXT) | instid1(SALU_CYCLE_1)
	s_mul_hi_u32 s0, s6, s0
	s_add_i32 s6, s6, s0
	s_delay_alu instid0(SALU_CYCLE_1) | instskip(SKIP_4) | instid1(SALU_CYCLE_1)
	s_mul_hi_u32 s0, s12, s6
	s_load_b128 s[4:7], s[2:3], 0x10
	s_mul_i32 s9, s0, s10
	s_add_i32 s11, s0, 1
	s_sub_i32 s9, s12, s9
	s_sub_i32 s13, s9, s10
	s_cmp_ge_u32 s9, s10
	s_cselect_b32 s0, s11, s0
	s_cselect_b32 s9, s13, s9
	s_add_i32 s11, s0, 1
	s_cmp_ge_u32 s9, s10
	s_cselect_b32 s0, s11, s0
	s_waitcnt lgkmcnt(0)
	s_add_i32 s8, s0, s8
	s_mul_i32 s20, s0, s10
	s_ashr_i32 s9, s8, 31
	s_sub_i32 s24, s12, s20
	s_lshl_b64 s[8:9], s[8:9], 2
	v_or_b32_e32 v2, s24, v14
	s_add_u32 s6, s6, s8
	s_addc_u32 s7, s7, s9
	s_load_b32 s6, s[6:7], 0x0
	s_load_b64 s[8:9], s[2:3], 0x40
	v_cmp_eq_u32_e32 vcc_lo, 0, v2
	v_dual_mov_b32 v3, v1 :: v_dual_mov_b32 v2, v0
	s_waitcnt lgkmcnt(0)
	s_ashr_i32 s7, s6, 31
	s_delay_alu instid0(SALU_CYCLE_1) | instskip(NEXT) | instid1(SALU_CYCLE_1)
	s_lshl_b64 s[10:11], s[6:7], 3
	s_add_u32 s8, s8, s10
	s_addc_u32 s9, s9, s11
	s_ashr_i32 s13, s12, 31
	s_delay_alu instid0(SALU_CYCLE_1) | instskip(NEXT) | instid1(SALU_CYCLE_1)
	s_lshl_b64 s[10:11], s[12:13], 2
	s_add_u32 s18, s4, s10
	s_addc_u32 s19, s5, s11
	s_load_b128 s[8:11], s[8:9], 0x0
	s_load_b32 s23, s[18:19], 0x0
	s_and_saveexec_b32 s0, vcc_lo
	s_cbranch_execz .LBB73_11
; %bb.8:
	s_waitcnt vmcnt(0)
	v_add_f64 v[0:1], v[10:11], -1.0
	s_lshl_b64 s[12:13], s[6:7], 4
	s_mov_b32 s25, exec_lo
	s_add_u32 s12, s16, s12
	s_addc_u32 s13, s17, s13
	v_mbcnt_lo_u32_b32 v12, s25, 0
	s_load_b128 s[12:15], s[12:13], 0x0
	s_waitcnt vmcnt(0) expcnt(0) lgkmcnt(0)
	v_mul_f64 v[2:3], s[14:15], -v[8:9]
	s_delay_alu instid0(VALU_DEP_3)
	v_mul_f64 v[10:11], v[0:1], s[14:15]
	s_mov_b32 s14, exec_lo
	v_cmpx_eq_u32_e32 0, v12
	s_cbranch_execz .LBB73_10
; %bb.9:
	s_ashr_i32 s21, s20, 31
	s_delay_alu instid0(SALU_CYCLE_1) | instskip(NEXT) | instid1(SALU_CYCLE_1)
	s_lshl_b64 s[26:27], s[20:21], 2
	s_add_u32 s26, s4, s26
	s_addc_u32 s27, s5, s27
	s_bcnt1_i32_b32 s15, s25
	s_delay_alu instid0(SALU_CYCLE_1) | instskip(NEXT) | instid1(SALU_CYCLE_1)
	s_and_b32 s15, s15, 1
	v_dual_mov_b32 v12, 0 :: v_dual_mov_b32 v13, s15
	global_atomic_xor_b32 v12, v13, s[26:27]
.LBB73_10:
	s_or_b32 exec_lo, exec_lo, s14
	s_delay_alu instid0(VALU_DEP_3) | instskip(NEXT) | instid1(VALU_DEP_3)
	v_fma_f64 v[0:1], v[0:1], s[12:13], v[2:3]
	v_fma_f64 v[2:3], v[8:9], s[12:13], v[10:11]
.LBB73_11:
	s_or_b32 exec_lo, exec_lo, s0
	s_mul_i32 s0, s24, 3
	s_delay_alu instid0(SALU_CYCLE_1)
	s_lshl_b64 s[0:1], s[0:1], 8
	s_waitcnt lgkmcnt(0)
	s_sub_u32 s8, s8, s22
	s_subb_u32 s9, s9, 0
	s_add_u32 s12, s8, s0
	s_addc_u32 s13, s9, s1
	s_sub_u32 s0, s10, s22
	s_subb_u32 s1, s11, 0
	s_add_u32 s8, s12, 0x300
	s_addc_u32 s9, s13, 0
	s_waitcnt vmcnt(0)
	v_add_co_u32 v8, s11, s12, v14
	v_cmp_lt_i64_e64 s10, s[8:9], s[0:1]
	v_add_co_ci_u32_e64 v9, null, s13, 0, s11
	s_delay_alu instid0(VALU_DEP_2)
	s_and_b32 s10, s10, exec_lo
	s_cselect_b32 s9, s9, s1
	s_cselect_b32 s8, s8, s0
	s_mov_b32 s10, exec_lo
	v_cmpx_gt_i64_e64 s[8:9], v[8:9]
	s_cbranch_execz .LBB73_15
; %bb.12:
	s_clause 0x1
	s_load_b128 s[12:15], s[2:3], 0x48
	s_load_b32 s0, s[2:3], 0x0
	v_lshlrev_b64 v[10:11], 4, v[8:9]
	s_load_b64 s[2:3], s[2:3], 0x58
	v_lshlrev_b64 v[12:13], 2, v[8:9]
	s_mov_b32 s11, 0
	s_waitcnt lgkmcnt(0)
	s_delay_alu instid0(VALU_DEP_2) | instskip(SKIP_2) | instid1(VALU_DEP_2)
	v_add_co_u32 v10, vcc_lo, v10, s14
	v_add_co_ci_u32_e32 v11, vcc_lo, s15, v11, vcc_lo
	s_bitcmp1_b32 s0, 0
	v_add_co_u32 v10, vcc_lo, v10, 8
	s_delay_alu instid0(VALU_DEP_2)
	v_add_co_ci_u32_e32 v11, vcc_lo, 0, v11, vcc_lo
	v_add_co_u32 v12, vcc_lo, s12, v12
	v_add_co_ci_u32_e32 v13, vcc_lo, s13, v13, vcc_lo
	s_cselect_b32 vcc_lo, -1, 0
.LBB73_13:                              ; =>This Inner Loop Header: Depth=1
	global_load_b32 v19, v[12:13], off
	global_load_b128 v[15:18], v[10:11], off offset:-8
	v_add_co_u32 v12, s1, 0x400, v12
	s_delay_alu instid0(VALU_DEP_1) | instskip(SKIP_4) | instid1(VALU_DEP_2)
	v_add_co_ci_u32_e64 v13, s1, 0, v13, s1
	s_waitcnt vmcnt(1)
	v_subrev_nc_u32_e32 v19, s22, v19
	s_waitcnt vmcnt(0)
	v_xor_b32_e32 v23, 0x80000000, v18
	v_ashrrev_i32_e32 v20, 31, v19
	s_delay_alu instid0(VALU_DEP_2) | instskip(NEXT) | instid1(VALU_DEP_2)
	v_cndmask_b32_e32 v18, v18, v23, vcc_lo
	v_lshlrev_b64 v[19:20], 4, v[19:20]
	s_delay_alu instid0(VALU_DEP_2) | instskip(SKIP_1) | instid1(VALU_DEP_3)
	v_mul_f64 v[23:24], v[17:18], -v[6:7]
	v_mul_f64 v[17:18], v[4:5], v[17:18]
	v_add_co_u32 v19, s0, s2, v19
	s_delay_alu instid0(VALU_DEP_1) | instskip(SKIP_1) | instid1(VALU_DEP_1)
	v_add_co_ci_u32_e64 v20, s0, s3, v20, s0
	v_add_co_u32 v8, s0, 0x100, v8
	v_add_co_ci_u32_e64 v9, s0, 0, v9, s0
	global_load_b128 v[19:22], v[19:20], off
	v_add_co_u32 v10, s0, 0x1000, v10
	s_delay_alu instid0(VALU_DEP_1) | instskip(SKIP_1) | instid1(VALU_DEP_1)
	v_add_co_ci_u32_e64 v11, s0, 0, v11, s0
	v_cmp_le_i64_e64 s0, s[8:9], v[8:9]
	s_or_b32 s11, s0, s11
	v_fma_f64 v[23:24], v[4:5], v[15:16], v[23:24]
	v_fma_f64 v[15:16], v[6:7], v[15:16], v[17:18]
	s_waitcnt vmcnt(0)
	s_delay_alu instid0(VALU_DEP_2) | instskip(NEXT) | instid1(VALU_DEP_2)
	v_fma_f64 v[0:1], v[23:24], v[19:20], v[0:1]
	v_fma_f64 v[2:3], v[15:16], v[19:20], v[2:3]
	s_delay_alu instid0(VALU_DEP_2) | instskip(NEXT) | instid1(VALU_DEP_2)
	v_fma_f64 v[0:1], -v[15:16], v[21:22], v[0:1]
	v_fma_f64 v[2:3], v[23:24], v[21:22], v[2:3]
	s_and_not1_b32 exec_lo, exec_lo, s11
	s_cbranch_execnz .LBB73_13
; %bb.14:
	s_or_b32 exec_lo, exec_lo, s11
.LBB73_15:
	s_delay_alu instid0(SALU_CYCLE_1)
	s_or_b32 exec_lo, exec_lo, s10
	v_lshlrev_b32_e32 v4, 4, v14
	s_mov_b32 s0, exec_lo
	ds_store_b128 v4, v[0:3]
	s_waitcnt lgkmcnt(0)
	s_waitcnt_vscnt null, 0x0
	s_barrier
	buffer_gl0_inv
	v_cmpx_gt_u32_e32 0x80, v14
	s_cbranch_execz .LBB73_17
; %bb.16:
	ds_load_b128 v[0:3], v4 offset:2048
	ds_load_b128 v[5:8], v4
	s_waitcnt lgkmcnt(0)
	v_add_f64 v[0:1], v[0:1], v[5:6]
	v_add_f64 v[2:3], v[2:3], v[7:8]
	ds_store_b128 v4, v[0:3]
.LBB73_17:
	s_or_b32 exec_lo, exec_lo, s0
	s_delay_alu instid0(SALU_CYCLE_1)
	s_mov_b32 s0, exec_lo
	s_waitcnt lgkmcnt(0)
	s_barrier
	buffer_gl0_inv
	v_cmpx_gt_u32_e32 64, v14
	s_cbranch_execz .LBB73_19
; %bb.18:
	ds_load_b128 v[0:3], v4 offset:1024
	ds_load_b128 v[5:8], v4
	s_waitcnt lgkmcnt(0)
	v_add_f64 v[0:1], v[0:1], v[5:6]
	v_add_f64 v[2:3], v[2:3], v[7:8]
	ds_store_b128 v4, v[0:3]
.LBB73_19:
	s_or_b32 exec_lo, exec_lo, s0
	s_delay_alu instid0(SALU_CYCLE_1)
	s_mov_b32 s0, exec_lo
	s_waitcnt lgkmcnt(0)
	;; [unrolled: 16-line block ×6, first 2 shown]
	s_barrier
	buffer_gl0_inv
	v_cmpx_gt_u32_e32 2, v14
	s_cbranch_execz .LBB73_29
; %bb.28:
	ds_load_b128 v[0:3], v4
	ds_load_b128 v[5:8], v4 offset:32
	s_waitcnt lgkmcnt(0)
	v_add_f64 v[0:1], v[5:6], v[0:1]
	v_add_f64 v[2:3], v[7:8], v[2:3]
	ds_store_b128 v4, v[0:3]
.LBB73_29:
	s_or_b32 exec_lo, exec_lo, s0
	v_cmp_eq_u32_e32 vcc_lo, 0, v14
	s_waitcnt lgkmcnt(0)
	s_barrier
	buffer_gl0_inv
	s_and_saveexec_b32 s0, vcc_lo
	s_cbranch_execz .LBB73_31
; %bb.30:
	v_mov_b32_e32 v8, 0
	ds_load_b128 v[0:3], v8
	ds_load_b128 v[4:7], v8 offset:16
	s_waitcnt lgkmcnt(0)
	v_add_f64 v[0:1], v[4:5], v[0:1]
	v_add_f64 v[2:3], v[6:7], v[2:3]
	ds_store_b128 v8, v[0:3]
.LBB73_31:
	s_or_b32 exec_lo, exec_lo, s0
	s_waitcnt lgkmcnt(0)
	s_barrier
	buffer_gl0_inv
	s_and_b32 exec_lo, exec_lo, vcc_lo
	s_cbranch_execz .LBB73_44
; %bb.32:
	s_cmp_eq_u32 s24, 0
	s_cbranch_scc1 .LBB73_38
; %bb.33:
	s_ashr_i32 s21, s20, 31
	v_mov_b32_e32 v0, 0
	s_lshl_b64 s[0:1], s[20:21], 2
	s_delay_alu instid0(SALU_CYCLE_1)
	s_add_u32 s0, s4, s0
	s_addc_u32 s1, s5, s1
	s_branch .LBB73_35
.LBB73_34:                              ;   in Loop: Header=BB73_35 Depth=1
	s_or_b32 exec_lo, exec_lo, s2
	s_waitcnt vmcnt(0)
	v_readfirstlane_b32 s2, v1
	s_delay_alu instid0(VALU_DEP_1)
	s_cmp_eq_u32 s2, s23
	s_cbranch_scc0 .LBB73_37
.LBB73_35:                              ; =>This Inner Loop Header: Depth=1
	v_mbcnt_lo_u32_b32 v1, exec_lo, 0
	s_delay_alu instid0(VALU_DEP_1)
	v_cmp_eq_u32_e32 vcc_lo, 0, v1
                                        ; implicit-def: $vgpr1
	s_and_saveexec_b32 s2, vcc_lo
	s_cbranch_execz .LBB73_34
; %bb.36:                               ;   in Loop: Header=BB73_35 Depth=1
	global_load_b32 v1, v0, s[0:1] glc
	s_branch .LBB73_34
.LBB73_37:
	v_mov_b32_e32 v0, 0
	global_load_b32 v1, v0, s[18:19]
	s_waitcnt vmcnt(0)
	v_xor_b32_e32 v1, 1, v1
	global_store_b32 v0, v1, s[18:19]
.LBB73_38:
	v_mov_b32_e32 v8, 0
	s_mov_b32 s3, exec_lo
	s_lshl_b64 s[0:1], s[6:7], 4
	v_mbcnt_lo_u32_b32 v4, s3, 0
	s_add_u32 s0, s16, s0
	ds_load_b128 v[0:3], v8
	s_addc_u32 s1, s17, s1
	s_mov_b32 s2, exec_lo
	v_cmpx_eq_u32_e32 0, v4
	s_cbranch_execz .LBB73_41
; %bb.39:
	global_load_b64 v[6:7], v8, s[0:1]
	s_bcnt1_i32_b32 s3, s3
	s_delay_alu instid0(SALU_CYCLE_1) | instskip(SKIP_2) | instid1(VALU_DEP_1)
	v_cvt_f64_u32_e32 v[4:5], s3
	s_mov_b32 s3, 0
	s_waitcnt lgkmcnt(0)
	v_mul_f64 v[0:1], v[0:1], v[4:5]
.LBB73_40:                              ; =>This Inner Loop Header: Depth=1
	s_waitcnt vmcnt(0)
	s_delay_alu instid0(VALU_DEP_1)
	v_add_f64 v[4:5], v[6:7], v[0:1]
	global_atomic_cmpswap_b64 v[4:5], v8, v[4:7], s[0:1] glc
	s_waitcnt vmcnt(0)
	v_cmp_eq_u64_e32 vcc_lo, v[4:5], v[6:7]
	v_dual_mov_b32 v7, v5 :: v_dual_mov_b32 v6, v4
	s_or_b32 s3, vcc_lo, s3
	s_delay_alu instid0(SALU_CYCLE_1)
	s_and_not1_b32 exec_lo, exec_lo, s3
	s_cbranch_execnz .LBB73_40
.LBB73_41:
	s_or_b32 exec_lo, exec_lo, s2
	s_delay_alu instid0(SALU_CYCLE_1) | instskip(SKIP_3) | instid1(VALU_DEP_1)
	s_mov_b32 s3, exec_lo
	s_mov_b32 s2, 0
	s_waitcnt lgkmcnt(0)
	v_mbcnt_lo_u32_b32 v0, s3, 0
	v_cmp_eq_u32_e32 vcc_lo, 0, v0
	s_and_b32 s4, exec_lo, vcc_lo
	s_delay_alu instid0(SALU_CYCLE_1)
	s_mov_b32 exec_lo, s4
	s_cbranch_execz .LBB73_44
; %bb.42:
	v_mov_b32_e32 v6, 0
	s_bcnt1_i32_b32 s3, s3
	s_delay_alu instid0(SALU_CYCLE_1)
	v_cvt_f64_u32_e32 v[0:1], s3
	global_load_b64 v[4:5], v6, s[0:1] offset:8
	v_mul_f64 v[0:1], v[2:3], v[0:1]
.LBB73_43:                              ; =>This Inner Loop Header: Depth=1
	s_waitcnt vmcnt(0)
	s_delay_alu instid0(VALU_DEP_1)
	v_add_f64 v[2:3], v[4:5], v[0:1]
	global_atomic_cmpswap_b64 v[2:3], v6, v[2:5], s[0:1] offset:8 glc
	s_waitcnt vmcnt(0)
	v_cmp_eq_u64_e32 vcc_lo, v[2:3], v[4:5]
	v_dual_mov_b32 v5, v3 :: v_dual_mov_b32 v4, v2
	s_or_b32 s2, vcc_lo, s2
	s_delay_alu instid0(SALU_CYCLE_1)
	s_and_not1_b32 exec_lo, exec_lo, s2
	s_cbranch_execnz .LBB73_43
.LBB73_44:
	s_nop 0
	s_sendmsg sendmsg(MSG_DEALLOC_VGPRS)
	s_endpgm
	.section	.rodata,"a",@progbits
	.p2align	6, 0x0
	.amdhsa_kernel _ZN9rocsparseL27csrmvn_lrb_long_rows_kernelIli21rocsparse_complex_numIdES2_S2_S2_EEvbT_PjPT0_S6_jNS_24const_host_device_scalarIT4_EEPKS3_PKS5_PKT1_PKT2_S9_PT3_21rocsparse_index_base_b
		.amdhsa_group_segment_fixed_size 8192
		.amdhsa_private_segment_fixed_size 0
		.amdhsa_kernarg_size 128
		.amdhsa_user_sgpr_count 15
		.amdhsa_user_sgpr_dispatch_ptr 1
		.amdhsa_user_sgpr_queue_ptr 0
		.amdhsa_user_sgpr_kernarg_segment_ptr 1
		.amdhsa_user_sgpr_dispatch_id 0
		.amdhsa_user_sgpr_private_segment_size 0
		.amdhsa_wavefront_size32 1
		.amdhsa_uses_dynamic_stack 0
		.amdhsa_enable_private_segment 0
		.amdhsa_system_sgpr_workgroup_id_x 1
		.amdhsa_system_sgpr_workgroup_id_y 0
		.amdhsa_system_sgpr_workgroup_id_z 0
		.amdhsa_system_sgpr_workgroup_info 0
		.amdhsa_system_vgpr_workitem_id 2
		.amdhsa_next_free_vgpr 25
		.amdhsa_next_free_sgpr 28
		.amdhsa_reserve_vcc 1
		.amdhsa_float_round_mode_32 0
		.amdhsa_float_round_mode_16_64 0
		.amdhsa_float_denorm_mode_32 3
		.amdhsa_float_denorm_mode_16_64 3
		.amdhsa_dx10_clamp 1
		.amdhsa_ieee_mode 1
		.amdhsa_fp16_overflow 0
		.amdhsa_workgroup_processor_mode 1
		.amdhsa_memory_ordered 1
		.amdhsa_forward_progress 0
		.amdhsa_shared_vgpr_count 0
		.amdhsa_exception_fp_ieee_invalid_op 0
		.amdhsa_exception_fp_denorm_src 0
		.amdhsa_exception_fp_ieee_div_zero 0
		.amdhsa_exception_fp_ieee_overflow 0
		.amdhsa_exception_fp_ieee_underflow 0
		.amdhsa_exception_fp_ieee_inexact 0
		.amdhsa_exception_int_div_zero 0
	.end_amdhsa_kernel
	.section	.text._ZN9rocsparseL27csrmvn_lrb_long_rows_kernelIli21rocsparse_complex_numIdES2_S2_S2_EEvbT_PjPT0_S6_jNS_24const_host_device_scalarIT4_EEPKS3_PKS5_PKT1_PKT2_S9_PT3_21rocsparse_index_base_b,"axG",@progbits,_ZN9rocsparseL27csrmvn_lrb_long_rows_kernelIli21rocsparse_complex_numIdES2_S2_S2_EEvbT_PjPT0_S6_jNS_24const_host_device_scalarIT4_EEPKS3_PKS5_PKT1_PKT2_S9_PT3_21rocsparse_index_base_b,comdat
.Lfunc_end73:
	.size	_ZN9rocsparseL27csrmvn_lrb_long_rows_kernelIli21rocsparse_complex_numIdES2_S2_S2_EEvbT_PjPT0_S6_jNS_24const_host_device_scalarIT4_EEPKS3_PKS5_PKT1_PKT2_S9_PT3_21rocsparse_index_base_b, .Lfunc_end73-_ZN9rocsparseL27csrmvn_lrb_long_rows_kernelIli21rocsparse_complex_numIdES2_S2_S2_EEvbT_PjPT0_S6_jNS_24const_host_device_scalarIT4_EEPKS3_PKS5_PKT1_PKT2_S9_PT3_21rocsparse_index_base_b
                                        ; -- End function
	.section	.AMDGPU.csdata,"",@progbits
; Kernel info:
; codeLenInByte = 2428
; NumSgprs: 30
; NumVgprs: 25
; ScratchSize: 0
; MemoryBound: 0
; FloatMode: 240
; IeeeMode: 1
; LDSByteSize: 8192 bytes/workgroup (compile time only)
; SGPRBlocks: 3
; VGPRBlocks: 3
; NumSGPRsForWavesPerEU: 30
; NumVGPRsForWavesPerEU: 25
; Occupancy: 16
; WaveLimiterHint : 1
; COMPUTE_PGM_RSRC2:SCRATCH_EN: 0
; COMPUTE_PGM_RSRC2:USER_SGPR: 15
; COMPUTE_PGM_RSRC2:TRAP_HANDLER: 0
; COMPUTE_PGM_RSRC2:TGID_X_EN: 1
; COMPUTE_PGM_RSRC2:TGID_Y_EN: 0
; COMPUTE_PGM_RSRC2:TGID_Z_EN: 0
; COMPUTE_PGM_RSRC2:TIDIG_COMP_CNT: 2
	.section	.text._ZN9rocsparseL28csrmvn_lrb_short_rows_kernelIll21rocsparse_complex_numIdES2_S2_S2_EEvbT_PT0_S5_jNS_24const_host_device_scalarIT4_EEPKS3_PKS4_PKT1_PKT2_S8_PT3_21rocsparse_index_base_b,"axG",@progbits,_ZN9rocsparseL28csrmvn_lrb_short_rows_kernelIll21rocsparse_complex_numIdES2_S2_S2_EEvbT_PT0_S5_jNS_24const_host_device_scalarIT4_EEPKS3_PKS4_PKT1_PKT2_S8_PT3_21rocsparse_index_base_b,comdat
	.globl	_ZN9rocsparseL28csrmvn_lrb_short_rows_kernelIll21rocsparse_complex_numIdES2_S2_S2_EEvbT_PT0_S5_jNS_24const_host_device_scalarIT4_EEPKS3_PKS4_PKT1_PKT2_S8_PT3_21rocsparse_index_base_b ; -- Begin function _ZN9rocsparseL28csrmvn_lrb_short_rows_kernelIll21rocsparse_complex_numIdES2_S2_S2_EEvbT_PT0_S5_jNS_24const_host_device_scalarIT4_EEPKS3_PKS4_PKT1_PKT2_S8_PT3_21rocsparse_index_base_b
	.p2align	8
	.type	_ZN9rocsparseL28csrmvn_lrb_short_rows_kernelIll21rocsparse_complex_numIdES2_S2_S2_EEvbT_PT0_S5_jNS_24const_host_device_scalarIT4_EEPKS3_PKS4_PKT1_PKT2_S8_PT3_21rocsparse_index_base_b,@function
_ZN9rocsparseL28csrmvn_lrb_short_rows_kernelIll21rocsparse_complex_numIdES2_S2_S2_EEvbT_PT0_S5_jNS_24const_host_device_scalarIT4_EEPKS3_PKS4_PKT1_PKT2_S8_PT3_21rocsparse_index_base_b: ; @_ZN9rocsparseL28csrmvn_lrb_short_rows_kernelIll21rocsparse_complex_numIdES2_S2_S2_EEvbT_PT0_S5_jNS_24const_host_device_scalarIT4_EEPKS3_PKS4_PKT1_PKT2_S8_PT3_21rocsparse_index_base_b
; %bb.0:
	s_clause 0x2
	s_load_b64 s[12:13], s[0:1], 0x70
	s_load_b128 s[8:11], s[0:1], 0x28
	s_load_b128 s[4:7], s[0:1], 0x58
	s_mov_b64 s[2:3], src_private_base
	v_mov_b32_e32 v1, 0
	s_waitcnt lgkmcnt(0)
	s_bitcmp1_b32 s13, 0
	v_dual_mov_b32 v3, s8 :: v_dual_mov_b32 v6, s5
	s_cselect_b32 s2, -1, 0
	v_mov_b32_e32 v4, s9
	s_and_b32 vcc_lo, s2, exec_lo
	s_cselect_b32 s13, s3, s9
	v_cndmask_b32_e64 v1, s8, v1, s2
	v_dual_mov_b32 v5, s4 :: v_dual_mov_b32 v2, s13
	s_clause 0x1
	scratch_store_b64 off, v[3:4], off
	scratch_store_b64 off, v[5:6], off offset:8
	v_dual_mov_b32 v12, s11 :: v_dual_mov_b32 v11, s10
	flat_load_b64 v[9:10], v[1:2]
	s_xor_b32 s10, s2, -1
	s_cbranch_vccnz .LBB74_2
; %bb.1:
	v_dual_mov_b32 v1, s8 :: v_dual_mov_b32 v2, s9
	flat_load_b64 v[11:12], v[1:2] offset:8
.LBB74_2:
	s_and_b32 s8, s2, exec_lo
	s_cselect_b32 s3, s3, s5
	s_delay_alu instid0(SALU_CYCLE_1) | instskip(SKIP_2) | instid1(VALU_DEP_2)
	v_dual_mov_b32 v1, 8 :: v_dual_mov_b32 v2, s3
	v_dual_mov_b32 v8, s7 :: v_dual_mov_b32 v7, s6
	s_and_not1_b32 vcc_lo, exec_lo, s10
	v_cndmask_b32_e64 v1, s4, v1, s2
	flat_load_b64 v[5:6], v[1:2]
	s_cbranch_vccnz .LBB74_4
; %bb.3:
	v_dual_mov_b32 v1, s4 :: v_dual_mov_b32 v2, s5
	flat_load_b64 v[7:8], v[1:2] offset:8
.LBB74_4:
	s_waitcnt vmcnt(1) lgkmcnt(1)
	v_cmp_eq_f64_e32 vcc_lo, 0, v[9:10]
	v_cmp_eq_f64_e64 s2, 0, v[11:12]
	s_delay_alu instid0(VALU_DEP_1)
	s_and_b32 s4, vcc_lo, s2
	s_mov_b32 s2, -1
	s_and_saveexec_b32 s3, s4
	s_cbranch_execz .LBB74_6
; %bb.5:
	s_waitcnt vmcnt(0) lgkmcnt(0)
	v_cmp_neq_f64_e32 vcc_lo, 1.0, v[5:6]
	v_cmp_neq_f64_e64 s2, 0, v[7:8]
	s_delay_alu instid0(VALU_DEP_1) | instskip(NEXT) | instid1(SALU_CYCLE_1)
	s_or_b32 s2, vcc_lo, s2
	s_or_not1_b32 s2, s2, exec_lo
.LBB74_6:
	s_or_b32 exec_lo, exec_lo, s3
	s_and_saveexec_b32 s3, s2
	s_cbranch_execz .LBB74_20
; %bb.7:
	s_clause 0x1
	s_load_b32 s20, s[0:1], 0x20
	s_load_b128 s[16:19], s[0:1], 0x10
	s_mov_b32 s21, 0
	s_delay_alu instid0(SALU_CYCLE_1) | instskip(SKIP_2) | instid1(SALU_CYCLE_1)
	s_mov_b32 s5, s21
	s_waitcnt lgkmcnt(0)
	s_lshl_b64 s[2:3], s[20:21], 3
	s_add_u32 s2, s18, s2
	s_addc_u32 s3, s19, s3
	s_add_i32 s4, s20, 1
	s_delay_alu instid0(SALU_CYCLE_1) | instskip(NEXT) | instid1(SALU_CYCLE_1)
	s_lshl_b64 s[4:5], s[4:5], 3
	s_add_u32 s4, s18, s4
	s_addc_u32 s5, s19, s5
	s_clause 0x1
	s_load_b64 s[18:19], s[2:3], 0x0
	s_load_b32 s2, s[4:5], 0x0
	s_lshl_b32 s14, s15, 8
	s_delay_alu instid0(SALU_CYCLE_1) | instskip(SKIP_2) | instid1(SALU_CYCLE_1)
	s_add_i32 s3, s14, 0x100
	s_waitcnt lgkmcnt(0)
	s_sub_i32 s2, s2, s18
	s_min_u32 s3, s2, s3
	s_cmp_gt_u32 s20, 23
	s_cbranch_scc1 .LBB74_14
; %bb.8:
	s_clause 0x1
	s_load_b32 s2, s[0:1], 0x0
	s_load_b256 s[4:11], s[0:1], 0x38
	v_mov_b32_e32 v14, 0
	s_lshl_b32 s13, 0x100, s20
	v_bfe_u32 v15, v0, 0, s20
	v_lshl_add_u32 v19, v0, 4, 0
	s_delay_alu instid0(VALU_DEP_3) | instskip(SKIP_4) | instid1(SALU_CYCLE_1)
	v_mov_b32_e32 v16, v14
	s_waitcnt lgkmcnt(0)
	s_bitcmp1_b32 s2, 0
	s_cselect_b32 vcc_lo, -1, 0
	s_lshl_b64 s[22:23], s[18:19], 3
	s_add_u32 s15, s16, s22
	s_addc_u32 s22, s17, s23
	s_branch .LBB74_11
.LBB74_9:                               ;   in Loop: Header=BB74_11 Depth=1
	s_or_b32 exec_lo, exec_lo, s24
	ds_store_2addr_b64 v19, v[3:4], v[17:18] offset1:1
.LBB74_10:                              ;   in Loop: Header=BB74_11 Depth=1
	s_or_b32 exec_lo, exec_lo, s23
	v_add_nc_u32_e32 v19, 0x1000, v19
	s_addk_i32 s21, 0x100
	s_delay_alu instid0(SALU_CYCLE_1)
	s_cmp_ge_u32 s21, s13
	s_cbranch_scc1 .LBB74_14
.LBB74_11:                              ; =>This Inner Loop Header: Depth=1
	v_add_nc_u32_e32 v1, s21, v0
	s_mov_b32 s23, exec_lo
	s_delay_alu instid0(VALU_DEP_1) | instskip(NEXT) | instid1(VALU_DEP_1)
	v_lshrrev_b32_e32 v1, s20, v1
	v_add_nc_u32_e32 v13, s14, v1
	s_delay_alu instid0(VALU_DEP_1)
	v_cmpx_gt_u32_e64 s3, v13
	s_cbranch_execz .LBB74_10
; %bb.12:                               ;   in Loop: Header=BB74_11 Depth=1
	v_lshlrev_b64 v[1:2], 3, v[13:14]
	s_delay_alu instid0(VALU_DEP_1) | instskip(NEXT) | instid1(VALU_DEP_1)
	v_add_co_u32 v1, s2, s15, v1
	v_add_co_ci_u32_e64 v2, s2, s22, v2, s2
	global_load_b64 v[1:2], v[1:2], off
	s_waitcnt vmcnt(0)
	v_lshlrev_b64 v[1:2], 3, v[1:2]
	s_delay_alu instid0(VALU_DEP_1) | instskip(NEXT) | instid1(VALU_DEP_1)
	v_add_co_u32 v1, s2, s4, v1
	v_add_co_ci_u32_e64 v2, s2, s5, v2, s2
	global_load_b128 v[1:4], v[1:2], off
	s_waitcnt vmcnt(0)
	v_sub_co_u32 v17, s2, v3, v1
	s_delay_alu instid0(VALU_DEP_1) | instskip(SKIP_2) | instid1(VALU_DEP_3)
	v_sub_co_ci_u32_e64 v18, s2, v4, v2, s2
	v_mov_b32_e32 v3, 0
	v_mov_b32_e32 v4, 0
	v_cmp_gt_i64_e64 s2, v[17:18], v[15:16]
	s_delay_alu instid0(VALU_DEP_2) | instskip(NEXT) | instid1(VALU_DEP_2)
	v_dual_mov_b32 v18, v4 :: v_dual_mov_b32 v17, v3
	s_and_saveexec_b32 s24, s2
	s_cbranch_execz .LBB74_9
; %bb.13:                               ;   in Loop: Header=BB74_11 Depth=1
	v_sub_co_u32 v1, s2, v1, s12
	s_delay_alu instid0(VALU_DEP_1) | instskip(NEXT) | instid1(VALU_DEP_2)
	v_subrev_co_ci_u32_e64 v2, s2, 0, v2, s2
	v_add_co_u32 v1, s2, v1, v15
	s_delay_alu instid0(VALU_DEP_1) | instskip(NEXT) | instid1(VALU_DEP_1)
	v_add_co_ci_u32_e64 v2, s2, 0, v2, s2
	v_lshlrev_b64 v[3:4], 3, v[1:2]
	v_lshlrev_b64 v[1:2], 4, v[1:2]
	s_delay_alu instid0(VALU_DEP_2) | instskip(NEXT) | instid1(VALU_DEP_1)
	v_add_co_u32 v3, s2, s6, v3
	v_add_co_ci_u32_e64 v4, s2, s7, v4, s2
	s_delay_alu instid0(VALU_DEP_3) | instskip(NEXT) | instid1(VALU_DEP_1)
	v_add_co_u32 v1, s2, s8, v1
	v_add_co_ci_u32_e64 v2, s2, s9, v2, s2
	global_load_b64 v[17:18], v[3:4], off
	global_load_b128 v[1:4], v[1:2], off
	s_waitcnt vmcnt(1)
	v_sub_co_u32 v17, s2, v17, s12
	s_delay_alu instid0(VALU_DEP_1) | instskip(SKIP_2) | instid1(VALU_DEP_2)
	v_subrev_co_ci_u32_e64 v18, s2, 0, v18, s2
	s_waitcnt vmcnt(0)
	v_xor_b32_e32 v13, 0x80000000, v4
	v_lshlrev_b64 v[17:18], 4, v[17:18]
	s_delay_alu instid0(VALU_DEP_2) | instskip(NEXT) | instid1(VALU_DEP_2)
	v_cndmask_b32_e32 v4, v4, v13, vcc_lo
	v_add_co_u32 v17, s2, s10, v17
	s_delay_alu instid0(VALU_DEP_1) | instskip(SKIP_3) | instid1(VALU_DEP_2)
	v_add_co_ci_u32_e64 v18, s2, s11, v18, s2
	global_load_b128 v[20:23], v[17:18], off
	v_mul_f64 v[17:18], v[9:10], v[3:4]
	v_mul_f64 v[3:4], v[3:4], -v[11:12]
	v_fma_f64 v[17:18], v[11:12], v[1:2], v[17:18]
	s_delay_alu instid0(VALU_DEP_2) | instskip(SKIP_1) | instid1(VALU_DEP_2)
	v_fma_f64 v[1:2], v[9:10], v[1:2], v[3:4]
	s_waitcnt vmcnt(0)
	v_mul_f64 v[3:4], v[22:23], -v[17:18]
	s_delay_alu instid0(VALU_DEP_2) | instskip(NEXT) | instid1(VALU_DEP_2)
	v_mul_f64 v[22:23], v[1:2], v[22:23]
	v_fma_f64 v[3:4], v[1:2], v[20:21], v[3:4]
	s_delay_alu instid0(VALU_DEP_2)
	v_fma_f64 v[17:18], v[17:18], v[20:21], v[22:23]
	s_branch .LBB74_9
.LBB74_14:
	s_sub_i32 s2, s3, s14
	s_waitcnt vmcnt(0) lgkmcnt(0)
	s_waitcnt_vscnt null, 0x0
	v_cmp_gt_u32_e32 vcc_lo, s2, v0
	s_barrier
	buffer_gl0_inv
	s_and_b32 exec_lo, exec_lo, vcc_lo
	s_cbranch_execz .LBB74_20
; %bb.15:
	s_lshl_b64 s[2:3], s[18:19], 3
	s_mov_b32 s15, 0
	s_add_u32 s4, s16, s2
	s_addc_u32 s5, s17, s3
	s_lshl_b64 s[2:3], s[14:15], 3
	v_dual_mov_b32 v2, 0 :: v_dual_lshlrev_b32 v1, 3, v0
	s_add_u32 s2, s4, s2
	s_addc_u32 s3, s5, s3
	v_dual_mov_b32 v3, 0 :: v_dual_lshlrev_b32 v0, s20, v0
	global_load_b64 v[9:10], v1, s[2:3]
	s_load_b64 s[2:3], s[0:1], 0x68
	s_mov_b32 s0, 1
	v_lshl_add_u32 v4, v0, 4, 0
	v_dual_mov_b32 v0, v2 :: v_dual_mov_b32 v1, v3
.LBB74_16:                              ; =>This Inner Loop Header: Depth=1
	ds_load_2addr_b64 v[11:14], v4 offset1:1
	v_add_nc_u32_e32 v4, 16, v4
	s_lshr_b32 s1, s0, s20
	s_add_i32 s0, s0, 1
	s_cmp_lg_u32 s1, 0
	s_waitcnt lgkmcnt(0)
	v_add_f64 v[0:1], v[0:1], v[11:12]
	v_add_f64 v[2:3], v[2:3], v[13:14]
	s_cbranch_scc0 .LBB74_16
; %bb.17:
	v_cmp_neq_f64_e32 vcc_lo, 0, v[5:6]
	v_cmp_neq_f64_e64 s0, 0, v[7:8]
	s_waitcnt vmcnt(0)
	v_lshlrev_b64 v[9:10], 4, v[9:10]
	s_delay_alu instid0(VALU_DEP_2) | instskip(NEXT) | instid1(SALU_CYCLE_1)
	s_or_b32 s1, vcc_lo, s0
	s_and_saveexec_b32 s0, s1
	s_cbranch_execz .LBB74_19
; %bb.18:
	s_delay_alu instid0(VALU_DEP_1) | instskip(NEXT) | instid1(VALU_DEP_2)
	v_add_co_u32 v11, vcc_lo, s2, v9
	v_add_co_ci_u32_e32 v12, vcc_lo, s3, v10, vcc_lo
	global_load_b128 v[11:14], v[11:12], off
	s_waitcnt vmcnt(0)
	v_fma_f64 v[0:1], v[5:6], v[11:12], v[0:1]
	v_fma_f64 v[2:3], v[7:8], v[11:12], v[2:3]
	s_delay_alu instid0(VALU_DEP_2) | instskip(NEXT) | instid1(VALU_DEP_2)
	v_fma_f64 v[0:1], -v[7:8], v[13:14], v[0:1]
	v_fma_f64 v[2:3], v[5:6], v[13:14], v[2:3]
.LBB74_19:
	s_or_b32 exec_lo, exec_lo, s0
	s_delay_alu instid0(VALU_DEP_1)
	v_add_co_u32 v4, vcc_lo, s2, v9
	v_add_co_ci_u32_e32 v5, vcc_lo, s3, v10, vcc_lo
	global_store_b128 v[4:5], v[0:3], off
.LBB74_20:
	s_endpgm
	.section	.rodata,"a",@progbits
	.p2align	6, 0x0
	.amdhsa_kernel _ZN9rocsparseL28csrmvn_lrb_short_rows_kernelIll21rocsparse_complex_numIdES2_S2_S2_EEvbT_PT0_S5_jNS_24const_host_device_scalarIT4_EEPKS3_PKS4_PKT1_PKT2_S8_PT3_21rocsparse_index_base_b
		.amdhsa_group_segment_fixed_size 0
		.amdhsa_private_segment_fixed_size 24
		.amdhsa_kernarg_size 120
		.amdhsa_user_sgpr_count 15
		.amdhsa_user_sgpr_dispatch_ptr 0
		.amdhsa_user_sgpr_queue_ptr 0
		.amdhsa_user_sgpr_kernarg_segment_ptr 1
		.amdhsa_user_sgpr_dispatch_id 0
		.amdhsa_user_sgpr_private_segment_size 0
		.amdhsa_wavefront_size32 1
		.amdhsa_uses_dynamic_stack 0
		.amdhsa_enable_private_segment 1
		.amdhsa_system_sgpr_workgroup_id_x 1
		.amdhsa_system_sgpr_workgroup_id_y 0
		.amdhsa_system_sgpr_workgroup_id_z 0
		.amdhsa_system_sgpr_workgroup_info 0
		.amdhsa_system_vgpr_workitem_id 0
		.amdhsa_next_free_vgpr 24
		.amdhsa_next_free_sgpr 25
		.amdhsa_reserve_vcc 1
		.amdhsa_float_round_mode_32 0
		.amdhsa_float_round_mode_16_64 0
		.amdhsa_float_denorm_mode_32 3
		.amdhsa_float_denorm_mode_16_64 3
		.amdhsa_dx10_clamp 1
		.amdhsa_ieee_mode 1
		.amdhsa_fp16_overflow 0
		.amdhsa_workgroup_processor_mode 1
		.amdhsa_memory_ordered 1
		.amdhsa_forward_progress 0
		.amdhsa_shared_vgpr_count 0
		.amdhsa_exception_fp_ieee_invalid_op 0
		.amdhsa_exception_fp_denorm_src 0
		.amdhsa_exception_fp_ieee_div_zero 0
		.amdhsa_exception_fp_ieee_overflow 0
		.amdhsa_exception_fp_ieee_underflow 0
		.amdhsa_exception_fp_ieee_inexact 0
		.amdhsa_exception_int_div_zero 0
	.end_amdhsa_kernel
	.section	.text._ZN9rocsparseL28csrmvn_lrb_short_rows_kernelIll21rocsparse_complex_numIdES2_S2_S2_EEvbT_PT0_S5_jNS_24const_host_device_scalarIT4_EEPKS3_PKS4_PKT1_PKT2_S8_PT3_21rocsparse_index_base_b,"axG",@progbits,_ZN9rocsparseL28csrmvn_lrb_short_rows_kernelIll21rocsparse_complex_numIdES2_S2_S2_EEvbT_PT0_S5_jNS_24const_host_device_scalarIT4_EEPKS3_PKS4_PKT1_PKT2_S8_PT3_21rocsparse_index_base_b,comdat
.Lfunc_end74:
	.size	_ZN9rocsparseL28csrmvn_lrb_short_rows_kernelIll21rocsparse_complex_numIdES2_S2_S2_EEvbT_PT0_S5_jNS_24const_host_device_scalarIT4_EEPKS3_PKS4_PKT1_PKT2_S8_PT3_21rocsparse_index_base_b, .Lfunc_end74-_ZN9rocsparseL28csrmvn_lrb_short_rows_kernelIll21rocsparse_complex_numIdES2_S2_S2_EEvbT_PT0_S5_jNS_24const_host_device_scalarIT4_EEPKS3_PKS4_PKT1_PKT2_S8_PT3_21rocsparse_index_base_b
                                        ; -- End function
	.section	.AMDGPU.csdata,"",@progbits
; Kernel info:
; codeLenInByte = 1284
; NumSgprs: 27
; NumVgprs: 24
; ScratchSize: 24
; MemoryBound: 0
; FloatMode: 240
; IeeeMode: 1
; LDSByteSize: 0 bytes/workgroup (compile time only)
; SGPRBlocks: 3
; VGPRBlocks: 2
; NumSGPRsForWavesPerEU: 27
; NumVGPRsForWavesPerEU: 24
; Occupancy: 16
; WaveLimiterHint : 1
; COMPUTE_PGM_RSRC2:SCRATCH_EN: 1
; COMPUTE_PGM_RSRC2:USER_SGPR: 15
; COMPUTE_PGM_RSRC2:TRAP_HANDLER: 0
; COMPUTE_PGM_RSRC2:TGID_X_EN: 1
; COMPUTE_PGM_RSRC2:TGID_Y_EN: 0
; COMPUTE_PGM_RSRC2:TGID_Z_EN: 0
; COMPUTE_PGM_RSRC2:TIDIG_COMP_CNT: 0
	.section	.text._ZN9rocsparseL30csrmvn_lrb_short_rows_2_kernelIll21rocsparse_complex_numIdES2_S2_S2_EEvbT_PT0_S5_jNS_24const_host_device_scalarIT4_EEPKS3_PKS4_PKT1_PKT2_S8_PT3_21rocsparse_index_base_b,"axG",@progbits,_ZN9rocsparseL30csrmvn_lrb_short_rows_2_kernelIll21rocsparse_complex_numIdES2_S2_S2_EEvbT_PT0_S5_jNS_24const_host_device_scalarIT4_EEPKS3_PKS4_PKT1_PKT2_S8_PT3_21rocsparse_index_base_b,comdat
	.globl	_ZN9rocsparseL30csrmvn_lrb_short_rows_2_kernelIll21rocsparse_complex_numIdES2_S2_S2_EEvbT_PT0_S5_jNS_24const_host_device_scalarIT4_EEPKS3_PKS4_PKT1_PKT2_S8_PT3_21rocsparse_index_base_b ; -- Begin function _ZN9rocsparseL30csrmvn_lrb_short_rows_2_kernelIll21rocsparse_complex_numIdES2_S2_S2_EEvbT_PT0_S5_jNS_24const_host_device_scalarIT4_EEPKS3_PKS4_PKT1_PKT2_S8_PT3_21rocsparse_index_base_b
	.p2align	8
	.type	_ZN9rocsparseL30csrmvn_lrb_short_rows_2_kernelIll21rocsparse_complex_numIdES2_S2_S2_EEvbT_PT0_S5_jNS_24const_host_device_scalarIT4_EEPKS3_PKS4_PKT1_PKT2_S8_PT3_21rocsparse_index_base_b,@function
_ZN9rocsparseL30csrmvn_lrb_short_rows_2_kernelIll21rocsparse_complex_numIdES2_S2_S2_EEvbT_PT0_S5_jNS_24const_host_device_scalarIT4_EEPKS3_PKS4_PKT1_PKT2_S8_PT3_21rocsparse_index_base_b: ; @_ZN9rocsparseL30csrmvn_lrb_short_rows_2_kernelIll21rocsparse_complex_numIdES2_S2_S2_EEvbT_PT0_S5_jNS_24const_host_device_scalarIT4_EEPKS3_PKS4_PKT1_PKT2_S8_PT3_21rocsparse_index_base_b
; %bb.0:
	s_clause 0x2
	s_load_b64 s[20:21], s[0:1], 0x70
	s_load_b128 s[8:11], s[0:1], 0x28
	s_load_b128 s[4:7], s[0:1], 0x58
	s_mov_b64 s[2:3], src_private_base
	v_mov_b32_e32 v1, 0
	s_waitcnt lgkmcnt(0)
	s_bitcmp1_b32 s21, 0
	v_dual_mov_b32 v3, s8 :: v_dual_mov_b32 v6, s5
	s_cselect_b32 s2, -1, 0
	v_mov_b32_e32 v4, s9
	s_and_b32 vcc_lo, s2, exec_lo
	s_cselect_b32 s12, s3, s9
	v_cndmask_b32_e64 v1, s8, v1, s2
	v_dual_mov_b32 v5, s4 :: v_dual_mov_b32 v2, s12
	s_clause 0x1
	scratch_store_b64 off, v[3:4], off
	scratch_store_b64 off, v[5:6], off offset:8
	v_dual_mov_b32 v16, s11 :: v_dual_mov_b32 v15, s10
	flat_load_b64 v[13:14], v[1:2]
	s_xor_b32 s10, s2, -1
	s_cbranch_vccnz .LBB75_2
; %bb.1:
	v_dual_mov_b32 v1, s8 :: v_dual_mov_b32 v2, s9
	flat_load_b64 v[15:16], v[1:2] offset:8
.LBB75_2:
	s_and_b32 s8, s2, exec_lo
	s_cselect_b32 s3, s3, s5
	s_delay_alu instid0(SALU_CYCLE_1) | instskip(SKIP_2) | instid1(VALU_DEP_2)
	v_dual_mov_b32 v1, 8 :: v_dual_mov_b32 v2, s3
	v_dual_mov_b32 v12, s7 :: v_dual_mov_b32 v11, s6
	s_and_not1_b32 vcc_lo, exec_lo, s10
	v_cndmask_b32_e64 v1, s4, v1, s2
	flat_load_b64 v[9:10], v[1:2]
	s_cbranch_vccnz .LBB75_4
; %bb.3:
	v_dual_mov_b32 v1, s4 :: v_dual_mov_b32 v2, s5
	flat_load_b64 v[11:12], v[1:2] offset:8
.LBB75_4:
	s_waitcnt vmcnt(1) lgkmcnt(1)
	v_cmp_eq_f64_e32 vcc_lo, 0, v[13:14]
	v_cmp_eq_f64_e64 s2, 0, v[15:16]
	s_delay_alu instid0(VALU_DEP_1)
	s_and_b32 s4, vcc_lo, s2
	s_mov_b32 s2, -1
	s_and_saveexec_b32 s3, s4
	s_cbranch_execz .LBB75_6
; %bb.5:
	s_waitcnt vmcnt(0) lgkmcnt(0)
	v_cmp_neq_f64_e32 vcc_lo, 1.0, v[9:10]
	v_cmp_neq_f64_e64 s2, 0, v[11:12]
	s_delay_alu instid0(VALU_DEP_1) | instskip(NEXT) | instid1(SALU_CYCLE_1)
	s_or_b32 s2, vcc_lo, s2
	s_or_not1_b32 s2, s2, exec_lo
.LBB75_6:
	s_or_b32 exec_lo, exec_lo, s3
	s_and_saveexec_b32 s3, s2
	s_cbranch_execz .LBB75_32
; %bb.7:
	s_clause 0x2
	s_load_b32 s2, s[0:1], 0x20
	s_load_b32 s3, s[0:1], 0x0
	s_load_b128 s[16:19], s[0:1], 0x10
	v_mov_b32_e32 v18, 0
	s_waitcnt lgkmcnt(0)
	v_lshrrev_b32_e32 v1, s2, v0
	s_bitcmp1_b32 s3, 0
	s_mov_b32 s3, 0
	s_cselect_b32 vcc_lo, -1, 0
	s_lshl_b64 s[4:5], s[2:3], 3
	s_mov_b32 s7, s3
	s_add_u32 s4, s18, s4
	s_addc_u32 s5, s19, s5
	s_add_i32 s6, s2, 1
	v_bfe_u32 v17, v0, 0, s2
	s_lshl_b64 s[6:7], s[6:7], 3
	s_delay_alu instid0(SALU_CYCLE_1)
	s_add_u32 s6, s18, s6
	s_addc_u32 s7, s19, s7
	s_clause 0x1
	s_load_b64 s[18:19], s[4:5], 0x0
	s_load_b32 s3, s[6:7], 0x0
	s_clause 0x1
	s_load_b64 s[12:13], s[0:1], 0x68
	s_load_b256 s[4:11], s[0:1], 0x38
	s_lshr_b32 s1, 0x400, s2
	s_delay_alu instid0(SALU_CYCLE_1)
	s_mul_i32 s14, s1, s15
	s_mov_b32 s15, exec_lo
	s_add_i32 s0, s14, s1
	v_add_nc_u32_e32 v1, s14, v1
	s_waitcnt lgkmcnt(0)
	s_sub_i32 s3, s3, s18
	s_lshl_b64 s[18:19], s[18:19], 3
	s_min_u32 s3, s3, s0
	s_add_u32 s16, s16, s18
	s_addc_u32 s17, s17, s19
	v_cmpx_gt_u32_e64 s3, v1
	s_cbranch_execz .LBB75_11
; %bb.8:
	v_mov_b32_e32 v2, v18
	s_delay_alu instid0(VALU_DEP_1) | instskip(NEXT) | instid1(VALU_DEP_1)
	v_lshlrev_b64 v[1:2], 3, v[1:2]
	v_add_co_u32 v1, s0, s16, v1
	s_delay_alu instid0(VALU_DEP_1) | instskip(SKIP_3) | instid1(VALU_DEP_1)
	v_add_co_ci_u32_e64 v2, s0, s17, v2, s0
	global_load_b64 v[1:2], v[1:2], off
	s_waitcnt vmcnt(0)
	v_lshlrev_b64 v[1:2], 3, v[1:2]
	v_add_co_u32 v1, s0, s4, v1
	s_delay_alu instid0(VALU_DEP_1)
	v_add_co_ci_u32_e64 v2, s0, s5, v2, s0
	global_load_b128 v[5:8], v[1:2], off
	v_mov_b32_e32 v1, 0
	v_mov_b32_e32 v2, 0
	s_waitcnt vmcnt(0)
	v_sub_co_u32 v3, s0, v7, v5
	s_delay_alu instid0(VALU_DEP_1) | instskip(NEXT) | instid1(VALU_DEP_1)
	v_sub_co_ci_u32_e64 v4, s0, v8, v6, s0
	v_cmp_gt_i64_e64 s0, v[3:4], v[17:18]
	v_dual_mov_b32 v4, v2 :: v_dual_mov_b32 v3, v1
	s_delay_alu instid0(VALU_DEP_2)
	s_and_saveexec_b32 s18, s0
	s_cbranch_execz .LBB75_10
; %bb.9:
	v_sub_co_u32 v1, s0, v5, s20
	s_delay_alu instid0(VALU_DEP_1) | instskip(NEXT) | instid1(VALU_DEP_2)
	v_subrev_co_ci_u32_e64 v2, s0, 0, v6, s0
	v_add_co_u32 v1, s0, v1, v17
	s_delay_alu instid0(VALU_DEP_1) | instskip(NEXT) | instid1(VALU_DEP_1)
	v_add_co_ci_u32_e64 v2, s0, 0, v2, s0
	v_lshlrev_b64 v[3:4], 3, v[1:2]
	v_lshlrev_b64 v[1:2], 4, v[1:2]
	s_delay_alu instid0(VALU_DEP_2) | instskip(NEXT) | instid1(VALU_DEP_1)
	v_add_co_u32 v3, s0, s6, v3
	v_add_co_ci_u32_e64 v4, s0, s7, v4, s0
	s_delay_alu instid0(VALU_DEP_3) | instskip(NEXT) | instid1(VALU_DEP_1)
	v_add_co_u32 v1, s0, s8, v1
	v_add_co_ci_u32_e64 v2, s0, s9, v2, s0
	global_load_b64 v[5:6], v[3:4], off
	global_load_b128 v[1:4], v[1:2], off
	s_waitcnt vmcnt(1)
	v_sub_co_u32 v5, s0, v5, s20
	s_delay_alu instid0(VALU_DEP_1) | instskip(SKIP_2) | instid1(VALU_DEP_2)
	v_subrev_co_ci_u32_e64 v6, s0, 0, v6, s0
	s_waitcnt vmcnt(0)
	v_xor_b32_e32 v19, 0x80000000, v4
	v_lshlrev_b64 v[5:6], 4, v[5:6]
	s_delay_alu instid0(VALU_DEP_2) | instskip(NEXT) | instid1(VALU_DEP_2)
	v_cndmask_b32_e32 v4, v4, v19, vcc_lo
	v_add_co_u32 v5, s0, s10, v5
	s_delay_alu instid0(VALU_DEP_1) | instskip(NEXT) | instid1(VALU_DEP_3)
	v_add_co_ci_u32_e64 v6, s0, s11, v6, s0
	v_mul_f64 v[19:20], v[13:14], v[3:4]
	v_mul_f64 v[3:4], v[3:4], -v[15:16]
	global_load_b128 v[5:8], v[5:6], off
	v_fma_f64 v[19:20], v[15:16], v[1:2], v[19:20]
	v_fma_f64 v[1:2], v[13:14], v[1:2], v[3:4]
	s_waitcnt vmcnt(0)
	s_delay_alu instid0(VALU_DEP_2) | instskip(NEXT) | instid1(VALU_DEP_2)
	v_mul_f64 v[3:4], v[7:8], -v[19:20]
	v_mul_f64 v[7:8], v[1:2], v[7:8]
	s_delay_alu instid0(VALU_DEP_2) | instskip(NEXT) | instid1(VALU_DEP_2)
	v_fma_f64 v[1:2], v[1:2], v[5:6], v[3:4]
	v_fma_f64 v[3:4], v[19:20], v[5:6], v[7:8]
.LBB75_10:
	s_or_b32 exec_lo, exec_lo, s18
	v_lshlrev_b32_e32 v5, 4, v0
	ds_store_b128 v5, v[1:4]
.LBB75_11:
	s_or_b32 exec_lo, exec_lo, s15
	v_or_b32_e32 v1, 0x100, v0
	s_mov_b32 s15, exec_lo
	s_delay_alu instid0(VALU_DEP_1) | instskip(NEXT) | instid1(VALU_DEP_1)
	v_lshrrev_b32_e32 v1, s2, v1
	v_add_nc_u32_e32 v1, s14, v1
	s_delay_alu instid0(VALU_DEP_1)
	v_cmpx_gt_u32_e64 s3, v1
	s_cbranch_execz .LBB75_15
; %bb.12:
	v_mov_b32_e32 v2, 0
	s_delay_alu instid0(VALU_DEP_1) | instskip(NEXT) | instid1(VALU_DEP_1)
	v_lshlrev_b64 v[1:2], 3, v[1:2]
	v_add_co_u32 v1, s0, s16, v1
	s_delay_alu instid0(VALU_DEP_1) | instskip(SKIP_3) | instid1(VALU_DEP_1)
	v_add_co_ci_u32_e64 v2, s0, s17, v2, s0
	global_load_b64 v[1:2], v[1:2], off
	s_waitcnt vmcnt(0)
	v_lshlrev_b64 v[1:2], 3, v[1:2]
	v_add_co_u32 v1, s0, s4, v1
	s_delay_alu instid0(VALU_DEP_1)
	v_add_co_ci_u32_e64 v2, s0, s5, v2, s0
	global_load_b128 v[5:8], v[1:2], off
	v_mov_b32_e32 v1, 0
	v_mov_b32_e32 v2, 0
	s_waitcnt vmcnt(0)
	v_sub_co_u32 v3, s0, v7, v5
	s_delay_alu instid0(VALU_DEP_1) | instskip(NEXT) | instid1(VALU_DEP_1)
	v_sub_co_ci_u32_e64 v4, s0, v8, v6, s0
	v_cmp_gt_i64_e64 s0, v[3:4], v[17:18]
	v_dual_mov_b32 v4, v2 :: v_dual_mov_b32 v3, v1
	s_delay_alu instid0(VALU_DEP_2)
	s_and_saveexec_b32 s18, s0
	s_cbranch_execz .LBB75_14
; %bb.13:
	v_sub_co_u32 v1, s0, v5, s20
	s_delay_alu instid0(VALU_DEP_1) | instskip(NEXT) | instid1(VALU_DEP_2)
	v_subrev_co_ci_u32_e64 v2, s0, 0, v6, s0
	v_add_co_u32 v1, s0, v1, v17
	s_delay_alu instid0(VALU_DEP_1) | instskip(NEXT) | instid1(VALU_DEP_1)
	v_add_co_ci_u32_e64 v2, s0, 0, v2, s0
	v_lshlrev_b64 v[3:4], 3, v[1:2]
	v_lshlrev_b64 v[1:2], 4, v[1:2]
	s_delay_alu instid0(VALU_DEP_2) | instskip(NEXT) | instid1(VALU_DEP_1)
	v_add_co_u32 v3, s0, s6, v3
	v_add_co_ci_u32_e64 v4, s0, s7, v4, s0
	s_delay_alu instid0(VALU_DEP_3) | instskip(NEXT) | instid1(VALU_DEP_1)
	v_add_co_u32 v1, s0, s8, v1
	v_add_co_ci_u32_e64 v2, s0, s9, v2, s0
	global_load_b64 v[5:6], v[3:4], off
	global_load_b128 v[1:4], v[1:2], off
	s_waitcnt vmcnt(1)
	v_sub_co_u32 v5, s0, v5, s20
	s_delay_alu instid0(VALU_DEP_1) | instskip(SKIP_2) | instid1(VALU_DEP_2)
	v_subrev_co_ci_u32_e64 v6, s0, 0, v6, s0
	s_waitcnt vmcnt(0)
	v_xor_b32_e32 v19, 0x80000000, v4
	v_lshlrev_b64 v[5:6], 4, v[5:6]
	s_delay_alu instid0(VALU_DEP_2) | instskip(NEXT) | instid1(VALU_DEP_2)
	v_cndmask_b32_e32 v4, v4, v19, vcc_lo
	v_add_co_u32 v5, s0, s10, v5
	s_delay_alu instid0(VALU_DEP_1) | instskip(NEXT) | instid1(VALU_DEP_3)
	v_add_co_ci_u32_e64 v6, s0, s11, v6, s0
	v_mul_f64 v[19:20], v[13:14], v[3:4]
	v_mul_f64 v[3:4], v[3:4], -v[15:16]
	global_load_b128 v[5:8], v[5:6], off
	v_fma_f64 v[19:20], v[15:16], v[1:2], v[19:20]
	v_fma_f64 v[1:2], v[13:14], v[1:2], v[3:4]
	s_waitcnt vmcnt(0)
	s_delay_alu instid0(VALU_DEP_2) | instskip(NEXT) | instid1(VALU_DEP_2)
	v_mul_f64 v[3:4], v[7:8], -v[19:20]
	v_mul_f64 v[7:8], v[1:2], v[7:8]
	s_delay_alu instid0(VALU_DEP_2) | instskip(NEXT) | instid1(VALU_DEP_2)
	v_fma_f64 v[1:2], v[1:2], v[5:6], v[3:4]
	v_fma_f64 v[3:4], v[19:20], v[5:6], v[7:8]
.LBB75_14:
	s_or_b32 exec_lo, exec_lo, s18
	v_lshlrev_b32_e32 v5, 4, v0
	ds_store_b128 v5, v[1:4] offset:4096
.LBB75_15:
	s_or_b32 exec_lo, exec_lo, s15
	v_or_b32_e32 v1, 0x200, v0
	s_mov_b32 s15, exec_lo
	s_delay_alu instid0(VALU_DEP_1) | instskip(NEXT) | instid1(VALU_DEP_1)
	v_lshrrev_b32_e32 v1, s2, v1
	v_add_nc_u32_e32 v1, s14, v1
	s_delay_alu instid0(VALU_DEP_1)
	v_cmpx_gt_u32_e64 s3, v1
	s_cbranch_execz .LBB75_19
; %bb.16:
	v_mov_b32_e32 v2, 0
	s_delay_alu instid0(VALU_DEP_1) | instskip(NEXT) | instid1(VALU_DEP_1)
	v_lshlrev_b64 v[1:2], 3, v[1:2]
	v_add_co_u32 v1, s0, s16, v1
	s_delay_alu instid0(VALU_DEP_1) | instskip(SKIP_3) | instid1(VALU_DEP_1)
	v_add_co_ci_u32_e64 v2, s0, s17, v2, s0
	global_load_b64 v[1:2], v[1:2], off
	s_waitcnt vmcnt(0)
	v_lshlrev_b64 v[1:2], 3, v[1:2]
	v_add_co_u32 v1, s0, s4, v1
	s_delay_alu instid0(VALU_DEP_1)
	v_add_co_ci_u32_e64 v2, s0, s5, v2, s0
	global_load_b128 v[5:8], v[1:2], off
	v_mov_b32_e32 v1, 0
	v_mov_b32_e32 v2, 0
	s_waitcnt vmcnt(0)
	v_sub_co_u32 v3, s0, v7, v5
	s_delay_alu instid0(VALU_DEP_1) | instskip(NEXT) | instid1(VALU_DEP_1)
	v_sub_co_ci_u32_e64 v4, s0, v8, v6, s0
	v_cmp_gt_i64_e64 s0, v[3:4], v[17:18]
	v_dual_mov_b32 v4, v2 :: v_dual_mov_b32 v3, v1
	s_delay_alu instid0(VALU_DEP_2)
	s_and_saveexec_b32 s18, s0
	s_cbranch_execz .LBB75_18
; %bb.17:
	v_sub_co_u32 v1, s0, v5, s20
	s_delay_alu instid0(VALU_DEP_1) | instskip(NEXT) | instid1(VALU_DEP_2)
	v_subrev_co_ci_u32_e64 v2, s0, 0, v6, s0
	v_add_co_u32 v1, s0, v1, v17
	s_delay_alu instid0(VALU_DEP_1) | instskip(NEXT) | instid1(VALU_DEP_1)
	v_add_co_ci_u32_e64 v2, s0, 0, v2, s0
	v_lshlrev_b64 v[3:4], 3, v[1:2]
	v_lshlrev_b64 v[1:2], 4, v[1:2]
	s_delay_alu instid0(VALU_DEP_2) | instskip(NEXT) | instid1(VALU_DEP_1)
	v_add_co_u32 v3, s0, s6, v3
	v_add_co_ci_u32_e64 v4, s0, s7, v4, s0
	s_delay_alu instid0(VALU_DEP_3) | instskip(NEXT) | instid1(VALU_DEP_1)
	v_add_co_u32 v1, s0, s8, v1
	v_add_co_ci_u32_e64 v2, s0, s9, v2, s0
	global_load_b64 v[5:6], v[3:4], off
	global_load_b128 v[1:4], v[1:2], off
	s_waitcnt vmcnt(1)
	v_sub_co_u32 v5, s0, v5, s20
	s_delay_alu instid0(VALU_DEP_1) | instskip(SKIP_2) | instid1(VALU_DEP_2)
	v_subrev_co_ci_u32_e64 v6, s0, 0, v6, s0
	s_waitcnt vmcnt(0)
	v_xor_b32_e32 v19, 0x80000000, v4
	v_lshlrev_b64 v[5:6], 4, v[5:6]
	s_delay_alu instid0(VALU_DEP_2) | instskip(NEXT) | instid1(VALU_DEP_2)
	v_cndmask_b32_e32 v4, v4, v19, vcc_lo
	v_add_co_u32 v5, s0, s10, v5
	s_delay_alu instid0(VALU_DEP_1) | instskip(NEXT) | instid1(VALU_DEP_3)
	v_add_co_ci_u32_e64 v6, s0, s11, v6, s0
	v_mul_f64 v[19:20], v[13:14], v[3:4]
	v_mul_f64 v[3:4], v[3:4], -v[15:16]
	global_load_b128 v[5:8], v[5:6], off
	v_fma_f64 v[19:20], v[15:16], v[1:2], v[19:20]
	v_fma_f64 v[1:2], v[13:14], v[1:2], v[3:4]
	s_waitcnt vmcnt(0)
	s_delay_alu instid0(VALU_DEP_2) | instskip(NEXT) | instid1(VALU_DEP_2)
	v_mul_f64 v[3:4], v[7:8], -v[19:20]
	v_mul_f64 v[7:8], v[1:2], v[7:8]
	s_delay_alu instid0(VALU_DEP_2) | instskip(NEXT) | instid1(VALU_DEP_2)
	v_fma_f64 v[1:2], v[1:2], v[5:6], v[3:4]
	v_fma_f64 v[3:4], v[19:20], v[5:6], v[7:8]
.LBB75_18:
	s_or_b32 exec_lo, exec_lo, s18
	v_lshlrev_b32_e32 v5, 4, v0
	ds_store_b128 v5, v[1:4] offset:8192
.LBB75_19:
	s_or_b32 exec_lo, exec_lo, s15
	v_or_b32_e32 v1, 0x300, v0
	s_mov_b32 s15, exec_lo
	s_delay_alu instid0(VALU_DEP_1) | instskip(NEXT) | instid1(VALU_DEP_1)
	v_lshrrev_b32_e32 v1, s2, v1
	v_add_nc_u32_e32 v1, s14, v1
	s_delay_alu instid0(VALU_DEP_1)
	v_cmpx_gt_u32_e64 s3, v1
	s_cbranch_execz .LBB75_23
; %bb.20:
	v_mov_b32_e32 v2, 0
	s_delay_alu instid0(VALU_DEP_1) | instskip(NEXT) | instid1(VALU_DEP_1)
	v_lshlrev_b64 v[1:2], 3, v[1:2]
	v_add_co_u32 v1, s0, s16, v1
	s_delay_alu instid0(VALU_DEP_1) | instskip(SKIP_3) | instid1(VALU_DEP_1)
	v_add_co_ci_u32_e64 v2, s0, s17, v2, s0
	global_load_b64 v[1:2], v[1:2], off
	s_waitcnt vmcnt(0)
	v_lshlrev_b64 v[1:2], 3, v[1:2]
	v_add_co_u32 v1, s0, s4, v1
	s_delay_alu instid0(VALU_DEP_1)
	v_add_co_ci_u32_e64 v2, s0, s5, v2, s0
	global_load_b128 v[5:8], v[1:2], off
	v_mov_b32_e32 v1, 0
	v_mov_b32_e32 v2, 0
	s_waitcnt vmcnt(0)
	v_sub_co_u32 v3, s0, v7, v5
	s_delay_alu instid0(VALU_DEP_1) | instskip(NEXT) | instid1(VALU_DEP_1)
	v_sub_co_ci_u32_e64 v4, s0, v8, v6, s0
	v_cmp_gt_i64_e64 s0, v[3:4], v[17:18]
	v_dual_mov_b32 v4, v2 :: v_dual_mov_b32 v3, v1
	s_delay_alu instid0(VALU_DEP_2)
	s_and_saveexec_b32 s4, s0
	s_cbranch_execz .LBB75_22
; %bb.21:
	v_sub_co_u32 v1, s0, v5, s20
	s_delay_alu instid0(VALU_DEP_1) | instskip(NEXT) | instid1(VALU_DEP_2)
	v_subrev_co_ci_u32_e64 v2, s0, 0, v6, s0
	v_add_co_u32 v1, s0, v1, v17
	s_delay_alu instid0(VALU_DEP_1) | instskip(NEXT) | instid1(VALU_DEP_1)
	v_add_co_ci_u32_e64 v2, s0, 0, v2, s0
	v_lshlrev_b64 v[3:4], 3, v[1:2]
	v_lshlrev_b64 v[1:2], 4, v[1:2]
	s_delay_alu instid0(VALU_DEP_2) | instskip(NEXT) | instid1(VALU_DEP_1)
	v_add_co_u32 v3, s0, s6, v3
	v_add_co_ci_u32_e64 v4, s0, s7, v4, s0
	s_delay_alu instid0(VALU_DEP_3) | instskip(NEXT) | instid1(VALU_DEP_1)
	v_add_co_u32 v1, s0, s8, v1
	v_add_co_ci_u32_e64 v2, s0, s9, v2, s0
	global_load_b64 v[5:6], v[3:4], off
	global_load_b128 v[1:4], v[1:2], off
	s_waitcnt vmcnt(1)
	v_sub_co_u32 v5, s0, v5, s20
	s_delay_alu instid0(VALU_DEP_1) | instskip(SKIP_2) | instid1(VALU_DEP_2)
	v_subrev_co_ci_u32_e64 v6, s0, 0, v6, s0
	s_waitcnt vmcnt(0)
	v_xor_b32_e32 v17, 0x80000000, v4
	v_lshlrev_b64 v[5:6], 4, v[5:6]
	s_delay_alu instid0(VALU_DEP_2) | instskip(NEXT) | instid1(VALU_DEP_2)
	v_cndmask_b32_e32 v4, v4, v17, vcc_lo
	v_add_co_u32 v5, s0, s10, v5
	s_delay_alu instid0(VALU_DEP_1) | instskip(NEXT) | instid1(VALU_DEP_3)
	v_add_co_ci_u32_e64 v6, s0, s11, v6, s0
	v_mul_f64 v[17:18], v[13:14], v[3:4]
	v_mul_f64 v[3:4], v[3:4], -v[15:16]
	global_load_b128 v[5:8], v[5:6], off
	v_fma_f64 v[15:16], v[15:16], v[1:2], v[17:18]
	v_fma_f64 v[1:2], v[13:14], v[1:2], v[3:4]
	s_waitcnt vmcnt(0)
	s_delay_alu instid0(VALU_DEP_2) | instskip(NEXT) | instid1(VALU_DEP_2)
	v_mul_f64 v[3:4], v[7:8], -v[15:16]
	v_mul_f64 v[7:8], v[1:2], v[7:8]
	s_delay_alu instid0(VALU_DEP_2) | instskip(NEXT) | instid1(VALU_DEP_2)
	v_fma_f64 v[1:2], v[1:2], v[5:6], v[3:4]
	v_fma_f64 v[3:4], v[15:16], v[5:6], v[7:8]
.LBB75_22:
	s_or_b32 exec_lo, exec_lo, s4
	v_lshlrev_b32_e32 v5, 4, v0
	ds_store_b128 v5, v[1:4] offset:12288
.LBB75_23:
	s_or_b32 exec_lo, exec_lo, s15
	s_cmp_lt_u32 s2, 11
	s_waitcnt vmcnt(0) lgkmcnt(0)
	s_waitcnt_vscnt null, 0x0
	s_barrier
	buffer_gl0_inv
	s_cbranch_scc0 .LBB75_32
; %bb.24:
	v_cmp_neq_f64_e32 vcc_lo, 0, v[9:10]
	v_cmp_neq_f64_e64 s0, 0, v[11:12]
	s_mov_b32 s15, 0
	v_mov_b32_e32 v5, 0
	s_lshl_b64 s[4:5], s[14:15], 3
	s_sub_i32 s3, s3, s14
	s_add_u32 s4, s16, s4
	s_addc_u32 s5, s17, s5
	s_delay_alu instid0(VALU_DEP_2)
	s_or_b32 s0, vcc_lo, s0
	s_branch .LBB75_27
.LBB75_25:                              ;   in Loop: Header=BB75_27 Depth=1
	s_or_b32 exec_lo, exec_lo, s7
	s_delay_alu instid0(VALU_DEP_1) | instskip(NEXT) | instid1(VALU_DEP_2)
	v_add_co_u32 v6, vcc_lo, s12, v6
	v_add_co_ci_u32_e32 v7, vcc_lo, s13, v7, vcc_lo
	global_store_b128 v[6:7], v[1:4], off
.LBB75_26:                              ;   in Loop: Header=BB75_27 Depth=1
	s_or_b32 exec_lo, exec_lo, s6
	s_addk_i32 s15, 0x100
	s_delay_alu instid0(SALU_CYCLE_1)
	s_cmp_lt_u32 s15, s1
	s_cbranch_scc0 .LBB75_32
.LBB75_27:                              ; =>This Loop Header: Depth=1
                                        ;     Child Loop BB75_29 Depth 2
	v_add_nc_u32_e32 v4, s15, v0
	s_mov_b32 s6, exec_lo
	s_delay_alu instid0(VALU_DEP_1)
	v_cmpx_gt_u32_e64 s3, v4
	s_cbranch_execz .LBB75_26
; %bb.28:                               ;   in Loop: Header=BB75_27 Depth=1
	v_lshlrev_b64 v[1:2], 3, v[4:5]
	s_mov_b32 s7, 1
	s_delay_alu instid0(VALU_DEP_1) | instskip(NEXT) | instid1(VALU_DEP_2)
	v_add_co_u32 v1, vcc_lo, s4, v1
	v_add_co_ci_u32_e32 v2, vcc_lo, s5, v2, vcc_lo
	global_load_b64 v[6:7], v[1:2], off
	v_lshlrev_b32_e32 v1, s2, v4
	v_mov_b32_e32 v3, 0
	v_mov_b32_e32 v4, 0
	s_delay_alu instid0(VALU_DEP_2) | instskip(NEXT) | instid1(VALU_DEP_2)
	v_dual_mov_b32 v1, v3 :: v_dual_lshlrev_b32 v8, 4, v1
	v_mov_b32_e32 v2, v4
.LBB75_29:                              ;   Parent Loop BB75_27 Depth=1
                                        ; =>  This Inner Loop Header: Depth=2
	ds_load_b128 v[13:16], v8
	v_add_nc_u32_e32 v8, 16, v8
	s_lshr_b32 s8, s7, s2
	s_add_i32 s7, s7, 1
	s_cmp_lg_u32 s8, 0
	s_waitcnt lgkmcnt(0)
	v_add_f64 v[1:2], v[1:2], v[13:14]
	v_add_f64 v[3:4], v[3:4], v[15:16]
	s_cbranch_scc0 .LBB75_29
; %bb.30:                               ;   in Loop: Header=BB75_27 Depth=1
	s_waitcnt vmcnt(0)
	v_lshlrev_b64 v[6:7], 4, v[6:7]
	s_and_saveexec_b32 s7, s0
	s_cbranch_execz .LBB75_25
; %bb.31:                               ;   in Loop: Header=BB75_27 Depth=1
	s_delay_alu instid0(VALU_DEP_1) | instskip(NEXT) | instid1(VALU_DEP_2)
	v_add_co_u32 v13, vcc_lo, s12, v6
	v_add_co_ci_u32_e32 v14, vcc_lo, s13, v7, vcc_lo
	global_load_b128 v[13:16], v[13:14], off
	s_waitcnt vmcnt(0)
	v_fma_f64 v[1:2], v[9:10], v[13:14], v[1:2]
	v_fma_f64 v[3:4], v[11:12], v[13:14], v[3:4]
	s_delay_alu instid0(VALU_DEP_2) | instskip(NEXT) | instid1(VALU_DEP_2)
	v_fma_f64 v[1:2], -v[11:12], v[15:16], v[1:2]
	v_fma_f64 v[3:4], v[9:10], v[15:16], v[3:4]
	s_branch .LBB75_25
.LBB75_32:
	s_endpgm
	.section	.rodata,"a",@progbits
	.p2align	6, 0x0
	.amdhsa_kernel _ZN9rocsparseL30csrmvn_lrb_short_rows_2_kernelIll21rocsparse_complex_numIdES2_S2_S2_EEvbT_PT0_S5_jNS_24const_host_device_scalarIT4_EEPKS3_PKS4_PKT1_PKT2_S8_PT3_21rocsparse_index_base_b
		.amdhsa_group_segment_fixed_size 16384
		.amdhsa_private_segment_fixed_size 24
		.amdhsa_kernarg_size 120
		.amdhsa_user_sgpr_count 15
		.amdhsa_user_sgpr_dispatch_ptr 0
		.amdhsa_user_sgpr_queue_ptr 0
		.amdhsa_user_sgpr_kernarg_segment_ptr 1
		.amdhsa_user_sgpr_dispatch_id 0
		.amdhsa_user_sgpr_private_segment_size 0
		.amdhsa_wavefront_size32 1
		.amdhsa_uses_dynamic_stack 0
		.amdhsa_enable_private_segment 1
		.amdhsa_system_sgpr_workgroup_id_x 1
		.amdhsa_system_sgpr_workgroup_id_y 0
		.amdhsa_system_sgpr_workgroup_id_z 0
		.amdhsa_system_sgpr_workgroup_info 0
		.amdhsa_system_vgpr_workitem_id 0
		.amdhsa_next_free_vgpr 21
		.amdhsa_next_free_sgpr 22
		.amdhsa_reserve_vcc 1
		.amdhsa_float_round_mode_32 0
		.amdhsa_float_round_mode_16_64 0
		.amdhsa_float_denorm_mode_32 3
		.amdhsa_float_denorm_mode_16_64 3
		.amdhsa_dx10_clamp 1
		.amdhsa_ieee_mode 1
		.amdhsa_fp16_overflow 0
		.amdhsa_workgroup_processor_mode 1
		.amdhsa_memory_ordered 1
		.amdhsa_forward_progress 0
		.amdhsa_shared_vgpr_count 0
		.amdhsa_exception_fp_ieee_invalid_op 0
		.amdhsa_exception_fp_denorm_src 0
		.amdhsa_exception_fp_ieee_div_zero 0
		.amdhsa_exception_fp_ieee_overflow 0
		.amdhsa_exception_fp_ieee_underflow 0
		.amdhsa_exception_fp_ieee_inexact 0
		.amdhsa_exception_int_div_zero 0
	.end_amdhsa_kernel
	.section	.text._ZN9rocsparseL30csrmvn_lrb_short_rows_2_kernelIll21rocsparse_complex_numIdES2_S2_S2_EEvbT_PT0_S5_jNS_24const_host_device_scalarIT4_EEPKS3_PKS4_PKT1_PKT2_S8_PT3_21rocsparse_index_base_b,"axG",@progbits,_ZN9rocsparseL30csrmvn_lrb_short_rows_2_kernelIll21rocsparse_complex_numIdES2_S2_S2_EEvbT_PT0_S5_jNS_24const_host_device_scalarIT4_EEPKS3_PKS4_PKT1_PKT2_S8_PT3_21rocsparse_index_base_b,comdat
.Lfunc_end75:
	.size	_ZN9rocsparseL30csrmvn_lrb_short_rows_2_kernelIll21rocsparse_complex_numIdES2_S2_S2_EEvbT_PT0_S5_jNS_24const_host_device_scalarIT4_EEPKS3_PKS4_PKT1_PKT2_S8_PT3_21rocsparse_index_base_b, .Lfunc_end75-_ZN9rocsparseL30csrmvn_lrb_short_rows_2_kernelIll21rocsparse_complex_numIdES2_S2_S2_EEvbT_PT0_S5_jNS_24const_host_device_scalarIT4_EEPKS3_PKS4_PKT1_PKT2_S8_PT3_21rocsparse_index_base_b
                                        ; -- End function
	.section	.AMDGPU.csdata,"",@progbits
; Kernel info:
; codeLenInByte = 2688
; NumSgprs: 24
; NumVgprs: 21
; ScratchSize: 24
; MemoryBound: 0
; FloatMode: 240
; IeeeMode: 1
; LDSByteSize: 16384 bytes/workgroup (compile time only)
; SGPRBlocks: 2
; VGPRBlocks: 2
; NumSGPRsForWavesPerEU: 24
; NumVGPRsForWavesPerEU: 21
; Occupancy: 16
; WaveLimiterHint : 1
; COMPUTE_PGM_RSRC2:SCRATCH_EN: 1
; COMPUTE_PGM_RSRC2:USER_SGPR: 15
; COMPUTE_PGM_RSRC2:TRAP_HANDLER: 0
; COMPUTE_PGM_RSRC2:TGID_X_EN: 1
; COMPUTE_PGM_RSRC2:TGID_Y_EN: 0
; COMPUTE_PGM_RSRC2:TGID_Z_EN: 0
; COMPUTE_PGM_RSRC2:TIDIG_COMP_CNT: 0
	.section	.text._ZN9rocsparseL41csrmvn_lrb_medium_rows_warp_reduce_kernelILj256ELj32Ell21rocsparse_complex_numIdES2_S2_S2_EEvbT1_lPT2_S5_jNS_24const_host_device_scalarIT6_EEPKS3_PKS4_PKT3_PKT4_S8_PT5_21rocsparse_index_base_b,"axG",@progbits,_ZN9rocsparseL41csrmvn_lrb_medium_rows_warp_reduce_kernelILj256ELj32Ell21rocsparse_complex_numIdES2_S2_S2_EEvbT1_lPT2_S5_jNS_24const_host_device_scalarIT6_EEPKS3_PKS4_PKT3_PKT4_S8_PT5_21rocsparse_index_base_b,comdat
	.globl	_ZN9rocsparseL41csrmvn_lrb_medium_rows_warp_reduce_kernelILj256ELj32Ell21rocsparse_complex_numIdES2_S2_S2_EEvbT1_lPT2_S5_jNS_24const_host_device_scalarIT6_EEPKS3_PKS4_PKT3_PKT4_S8_PT5_21rocsparse_index_base_b ; -- Begin function _ZN9rocsparseL41csrmvn_lrb_medium_rows_warp_reduce_kernelILj256ELj32Ell21rocsparse_complex_numIdES2_S2_S2_EEvbT1_lPT2_S5_jNS_24const_host_device_scalarIT6_EEPKS3_PKS4_PKT3_PKT4_S8_PT5_21rocsparse_index_base_b
	.p2align	8
	.type	_ZN9rocsparseL41csrmvn_lrb_medium_rows_warp_reduce_kernelILj256ELj32Ell21rocsparse_complex_numIdES2_S2_S2_EEvbT1_lPT2_S5_jNS_24const_host_device_scalarIT6_EEPKS3_PKS4_PKT3_PKT4_S8_PT5_21rocsparse_index_base_b,@function
_ZN9rocsparseL41csrmvn_lrb_medium_rows_warp_reduce_kernelILj256ELj32Ell21rocsparse_complex_numIdES2_S2_S2_EEvbT1_lPT2_S5_jNS_24const_host_device_scalarIT6_EEPKS3_PKS4_PKT3_PKT4_S8_PT5_21rocsparse_index_base_b: ; @_ZN9rocsparseL41csrmvn_lrb_medium_rows_warp_reduce_kernelILj256ELj32Ell21rocsparse_complex_numIdES2_S2_S2_EEvbT1_lPT2_S5_jNS_24const_host_device_scalarIT6_EEPKS3_PKS4_PKT3_PKT4_S8_PT5_21rocsparse_index_base_b
; %bb.0:
	s_clause 0x1
	s_load_b64 s[12:13], s[2:3], 0x78
	s_load_b128 s[4:7], s[2:3], 0x30
	s_load_b64 s[16:17], s[0:1], 0x4
	s_mov_b64 s[0:1], src_shared_base
	v_and_b32_e32 v10, 0x3ff, v0
	s_load_b128 s[8:11], s[2:3], 0x60
	v_bfe_u32 v2, v0, 10, 10
	v_bfe_u32 v0, v0, 20, 10
	s_waitcnt lgkmcnt(0)
	s_bitcmp1_b32 s13, 0
	s_cselect_b32 s0, -1, 0
	s_delay_alu instid0(SALU_CYCLE_1) | instskip(SKIP_4) | instid1(SALU_CYCLE_1)
	s_and_b32 vcc_lo, s0, exec_lo
	s_cselect_b32 s13, s1, s5
	s_lshr_b32 s14, s16, 16
	v_mov_b32_e32 v6, s13
	s_mul_i32 s14, s14, s17
	v_mul_lo_u32 v1, s14, v10
	s_delay_alu instid0(VALU_DEP_1) | instskip(SKIP_1) | instid1(VALU_DEP_2)
	v_mad_u32_u24 v1, v2, s17, v1
	v_dual_mov_b32 v2, s8 :: v_dual_mov_b32 v3, s9
	v_add_lshl_u32 v4, v1, v0, 3
	v_dual_mov_b32 v0, s4 :: v_dual_mov_b32 v1, s5
	s_delay_alu instid0(VALU_DEP_2)
	v_add_nc_u32_e32 v5, 0x800, v4
	ds_store_2addr_stride64_b64 v4, v[2:3], v[0:1] offset1:4
	v_dual_mov_b32 v2, s6 :: v_dual_mov_b32 v3, s7
	v_cndmask_b32_e64 v5, s4, v5, s0
	s_xor_b32 s6, s0, -1
	flat_load_b64 v[0:1], v[5:6]
	s_cbranch_vccnz .LBB76_2
; %bb.1:
	v_dual_mov_b32 v2, s4 :: v_dual_mov_b32 v3, s5
	flat_load_b64 v[2:3], v[2:3] offset:8
.LBB76_2:
	s_and_b32 s4, s0, exec_lo
	s_cselect_b32 s1, s1, s9
	v_cndmask_b32_e64 v4, s8, v4, s0
	v_dual_mov_b32 v5, s1 :: v_dual_mov_b32 v6, s10
	v_mov_b32_e32 v7, s11
	s_and_not1_b32 vcc_lo, exec_lo, s6
	flat_load_b64 v[4:5], v[4:5]
	s_cbranch_vccnz .LBB76_4
; %bb.3:
	v_dual_mov_b32 v6, s8 :: v_dual_mov_b32 v7, s9
	flat_load_b64 v[6:7], v[6:7] offset:8
.LBB76_4:
	s_waitcnt vmcnt(1) lgkmcnt(1)
	v_cmp_eq_f64_e32 vcc_lo, 0, v[0:1]
	v_cmp_eq_f64_e64 s0, 0, v[2:3]
	s_delay_alu instid0(VALU_DEP_1)
	s_and_b32 s4, vcc_lo, s0
	s_mov_b32 s0, -1
	s_and_saveexec_b32 s1, s4
	s_cbranch_execz .LBB76_6
; %bb.5:
	s_waitcnt vmcnt(0) lgkmcnt(0)
	v_cmp_neq_f64_e32 vcc_lo, 1.0, v[4:5]
	v_cmp_neq_f64_e64 s0, 0, v[6:7]
	s_delay_alu instid0(VALU_DEP_1) | instskip(NEXT) | instid1(SALU_CYCLE_1)
	s_or_b32 s0, vcc_lo, s0
	s_or_not1_b32 s0, s0, exec_lo
.LBB76_6:
	s_or_b32 exec_lo, exec_lo, s1
	s_and_saveexec_b32 s1, s0
	s_cbranch_execz .LBB76_16
; %bb.7:
	s_load_b64 s[0:1], s[2:3], 0x10
	v_lshrrev_b32_e32 v8, 5, v10
	s_delay_alu instid0(VALU_DEP_1) | instskip(NEXT) | instid1(VALU_DEP_1)
	v_lshl_or_b32 v8, s15, 3, v8
	v_ashrrev_i32_e32 v9, 31, v8
	s_waitcnt lgkmcnt(0)
	s_delay_alu instid0(VALU_DEP_1)
	v_cmp_gt_i64_e32 vcc_lo, s[0:1], v[8:9]
	s_and_b32 exec_lo, exec_lo, vcc_lo
	s_cbranch_execz .LBB76_16
; %bb.8:
	s_clause 0x1
	s_load_b32 s6, s[2:3], 0x28
	s_load_b128 s[8:11], s[2:3], 0x18
	s_mov_b32 s7, 0
	v_lshlrev_b64 v[8:9], 3, v[8:9]
	v_and_b32_e32 v22, 31, v10
	s_load_b64 s[4:5], s[2:3], 0x70
	s_waitcnt lgkmcnt(0)
	s_lshl_b64 s[0:1], s[6:7], 3
	s_mov_b32 s6, exec_lo
	s_add_u32 s0, s10, s0
	s_addc_u32 s1, s11, s1
	s_load_b64 s[0:1], s[0:1], 0x0
	s_waitcnt lgkmcnt(0)
	s_lshl_b64 s[0:1], s[0:1], 3
	s_delay_alu instid0(SALU_CYCLE_1)
	s_add_u32 s0, s8, s0
	s_addc_u32 s1, s9, s1
	v_add_co_u32 v8, vcc_lo, s0, v8
	v_add_co_ci_u32_e32 v9, vcc_lo, s1, v9, vcc_lo
	s_load_b64 s[0:1], s[2:3], 0x40
	global_load_b64 v[8:9], v[8:9], off
	s_waitcnt vmcnt(0)
	v_lshlrev_b64 v[11:12], 3, v[8:9]
	s_waitcnt lgkmcnt(0)
	s_delay_alu instid0(VALU_DEP_1) | instskip(NEXT) | instid1(VALU_DEP_2)
	v_add_co_u32 v11, vcc_lo, s0, v11
	v_add_co_ci_u32_e32 v12, vcc_lo, s1, v12, vcc_lo
	v_sub_co_u32 v10, s0, v22, s12
	global_load_b128 v[12:15], v[11:12], off
	v_sub_co_ci_u32_e64 v11, null, 0, 0, s0
	s_waitcnt vmcnt(0)
	v_sub_co_u32 v14, vcc_lo, v14, s12
	v_subrev_co_ci_u32_e32 v15, vcc_lo, 0, v15, vcc_lo
	v_add_co_u32 v16, vcc_lo, v12, v10
	v_add_co_ci_u32_e32 v17, vcc_lo, v13, v11, vcc_lo
	v_mov_b32_e32 v10, 0
	v_mov_b32_e32 v11, 0
	s_delay_alu instid0(VALU_DEP_1) | instskip(NEXT) | instid1(VALU_DEP_4)
	v_dual_mov_b32 v13, v11 :: v_dual_mov_b32 v12, v10
	v_cmpx_lt_i64_e64 v[16:17], v[14:15]
	s_cbranch_execz .LBB76_12
; %bb.9:
	s_clause 0x2
	s_load_b128 s[8:11], s[2:3], 0x48
	s_load_b32 s0, s[2:3], 0x0
	s_load_b64 s[2:3], s[2:3], 0x58
	v_lshlrev_b64 v[12:13], 4, v[16:17]
	v_lshlrev_b64 v[18:19], 3, v[16:17]
	v_mov_b32_e32 v10, 0
	v_mov_b32_e32 v11, 0
	s_waitcnt lgkmcnt(0)
	s_delay_alu instid0(VALU_DEP_4) | instskip(SKIP_3) | instid1(VALU_DEP_4)
	v_add_co_u32 v12, vcc_lo, v12, s10
	v_add_co_ci_u32_e32 v13, vcc_lo, s11, v13, vcc_lo
	v_add_co_u32 v18, vcc_lo, s8, v18
	v_add_co_ci_u32_e32 v19, vcc_lo, s9, v19, vcc_lo
	v_add_co_u32 v20, vcc_lo, v12, 8
	s_delay_alu instid0(VALU_DEP_4)
	v_add_co_ci_u32_e32 v21, vcc_lo, 0, v13, vcc_lo
	v_dual_mov_b32 v13, v11 :: v_dual_mov_b32 v12, v10
	s_bitcmp1_b32 s0, 0
	s_cselect_b32 vcc_lo, -1, 0
.LBB76_10:                              ; =>This Inner Loop Header: Depth=1
	global_load_b64 v[27:28], v[18:19], off
	global_load_b128 v[23:26], v[20:21], off offset:-8
	v_add_co_u32 v18, s1, 0x100, v18
	s_delay_alu instid0(VALU_DEP_1) | instskip(SKIP_2) | instid1(VALU_DEP_1)
	v_add_co_ci_u32_e64 v19, s1, 0, v19, s1
	s_waitcnt vmcnt(1)
	v_sub_co_u32 v27, s0, v27, s12
	v_subrev_co_ci_u32_e64 v28, s0, 0, v28, s0
	s_waitcnt vmcnt(0)
	v_xor_b32_e32 v31, 0x80000000, v26
	s_delay_alu instid0(VALU_DEP_2) | instskip(NEXT) | instid1(VALU_DEP_2)
	v_lshlrev_b64 v[27:28], 4, v[27:28]
	v_cndmask_b32_e32 v26, v26, v31, vcc_lo
	s_delay_alu instid0(VALU_DEP_2) | instskip(NEXT) | instid1(VALU_DEP_1)
	v_add_co_u32 v27, s0, s2, v27
	v_add_co_ci_u32_e64 v28, s0, s3, v28, s0
	s_delay_alu instid0(VALU_DEP_3)
	v_mul_f64 v[31:32], v[25:26], -v[2:3]
	v_mul_f64 v[25:26], v[0:1], v[25:26]
	v_add_co_u32 v16, s0, v16, 32
	global_load_b128 v[27:30], v[27:28], off
	v_add_co_ci_u32_e64 v17, s0, 0, v17, s0
	v_add_co_u32 v20, s0, 0x200, v20
	s_delay_alu instid0(VALU_DEP_1) | instskip(NEXT) | instid1(VALU_DEP_3)
	v_add_co_ci_u32_e64 v21, s0, 0, v21, s0
	v_cmp_ge_i64_e64 s0, v[16:17], v[14:15]
	s_delay_alu instid0(VALU_DEP_1) | instskip(SKIP_3) | instid1(VALU_DEP_2)
	s_or_b32 s7, s0, s7
	v_fma_f64 v[31:32], v[0:1], v[23:24], v[31:32]
	v_fma_f64 v[23:24], v[2:3], v[23:24], v[25:26]
	s_waitcnt vmcnt(0)
	v_fma_f64 v[12:13], v[31:32], v[27:28], v[12:13]
	s_delay_alu instid0(VALU_DEP_2) | instskip(NEXT) | instid1(VALU_DEP_2)
	v_fma_f64 v[10:11], v[23:24], v[27:28], v[10:11]
	v_fma_f64 v[12:13], -v[23:24], v[29:30], v[12:13]
	s_delay_alu instid0(VALU_DEP_2)
	v_fma_f64 v[10:11], v[31:32], v[29:30], v[10:11]
	s_and_not1_b32 exec_lo, exec_lo, s7
	s_cbranch_execnz .LBB76_10
; %bb.11:
	s_or_b32 exec_lo, exec_lo, s7
.LBB76_12:
	s_delay_alu instid0(SALU_CYCLE_1) | instskip(SKIP_1) | instid1(VALU_DEP_1)
	s_or_b32 exec_lo, exec_lo, s6
	v_mbcnt_lo_u32_b32 v14, -1, 0
	v_xor_b32_e32 v0, 16, v14
	s_delay_alu instid0(VALU_DEP_1) | instskip(SKIP_1) | instid1(VALU_DEP_1)
	v_cmp_gt_i32_e32 vcc_lo, 32, v0
	v_cndmask_b32_e32 v0, v14, v0, vcc_lo
	v_lshlrev_b32_e32 v3, 2, v0
	ds_bpermute_b32 v0, v3, v12
	ds_bpermute_b32 v1, v3, v13
	;; [unrolled: 1-line block ×4, first 2 shown]
	s_waitcnt lgkmcnt(2)
	v_add_f64 v[0:1], v[12:13], v[0:1]
	s_waitcnt lgkmcnt(0)
	v_add_f64 v[2:3], v[10:11], v[2:3]
	v_xor_b32_e32 v10, 8, v14
	s_delay_alu instid0(VALU_DEP_1) | instskip(SKIP_1) | instid1(VALU_DEP_1)
	v_cmp_gt_i32_e32 vcc_lo, 32, v10
	v_cndmask_b32_e32 v10, v14, v10, vcc_lo
	v_lshlrev_b32_e32 v13, 2, v10
	ds_bpermute_b32 v10, v13, v0
	ds_bpermute_b32 v11, v13, v1
	;; [unrolled: 1-line block ×4, first 2 shown]
	s_waitcnt lgkmcnt(2)
	v_add_f64 v[0:1], v[0:1], v[10:11]
	v_xor_b32_e32 v10, 4, v14
	s_waitcnt lgkmcnt(0)
	v_add_f64 v[2:3], v[2:3], v[12:13]
	s_delay_alu instid0(VALU_DEP_2) | instskip(SKIP_1) | instid1(VALU_DEP_1)
	v_cmp_gt_i32_e32 vcc_lo, 32, v10
	v_cndmask_b32_e32 v10, v14, v10, vcc_lo
	v_lshlrev_b32_e32 v13, 2, v10
	ds_bpermute_b32 v10, v13, v0
	ds_bpermute_b32 v11, v13, v1
	;; [unrolled: 1-line block ×4, first 2 shown]
	s_waitcnt lgkmcnt(2)
	v_add_f64 v[0:1], v[0:1], v[10:11]
	v_xor_b32_e32 v10, 2, v14
	s_waitcnt lgkmcnt(0)
	v_add_f64 v[2:3], v[2:3], v[12:13]
	s_delay_alu instid0(VALU_DEP_2) | instskip(SKIP_1) | instid1(VALU_DEP_1)
	v_cmp_gt_i32_e32 vcc_lo, 32, v10
	v_cndmask_b32_e32 v10, v14, v10, vcc_lo
	v_lshlrev_b32_e32 v13, 2, v10
	ds_bpermute_b32 v10, v13, v0
	ds_bpermute_b32 v11, v13, v1
	;; [unrolled: 1-line block ×4, first 2 shown]
	s_waitcnt lgkmcnt(2)
	v_add_f64 v[0:1], v[0:1], v[10:11]
	v_xor_b32_e32 v10, 1, v14
	s_waitcnt lgkmcnt(0)
	v_add_f64 v[2:3], v[2:3], v[12:13]
	s_delay_alu instid0(VALU_DEP_2) | instskip(SKIP_2) | instid1(VALU_DEP_2)
	v_cmp_gt_i32_e32 vcc_lo, 32, v10
	v_cndmask_b32_e32 v10, v14, v10, vcc_lo
	v_cmp_eq_u32_e32 vcc_lo, 31, v22
	v_lshlrev_b32_e32 v13, 2, v10
	ds_bpermute_b32 v10, v13, v0
	ds_bpermute_b32 v11, v13, v1
	ds_bpermute_b32 v12, v13, v2
	ds_bpermute_b32 v13, v13, v3
	s_and_b32 exec_lo, exec_lo, vcc_lo
	s_cbranch_execz .LBB76_16
; %bb.13:
	v_cmp_neq_f64_e32 vcc_lo, 0, v[4:5]
	v_cmp_neq_f64_e64 s0, 0, v[6:7]
	s_waitcnt lgkmcnt(2)
	v_add_f64 v[0:1], v[0:1], v[10:11]
	s_waitcnt lgkmcnt(0)
	v_add_f64 v[2:3], v[2:3], v[12:13]
	v_lshlrev_b64 v[8:9], 4, v[8:9]
	s_delay_alu instid0(VALU_DEP_4) | instskip(NEXT) | instid1(SALU_CYCLE_1)
	s_or_b32 s1, vcc_lo, s0
	s_and_saveexec_b32 s0, s1
	s_cbranch_execz .LBB76_15
; %bb.14:
	s_delay_alu instid0(VALU_DEP_1) | instskip(NEXT) | instid1(VALU_DEP_2)
	v_add_co_u32 v10, vcc_lo, s4, v8
	v_add_co_ci_u32_e32 v11, vcc_lo, s5, v9, vcc_lo
	global_load_b128 v[10:13], v[10:11], off
	s_waitcnt vmcnt(0)
	v_fma_f64 v[0:1], v[4:5], v[10:11], v[0:1]
	v_fma_f64 v[2:3], v[6:7], v[10:11], v[2:3]
	s_delay_alu instid0(VALU_DEP_2) | instskip(NEXT) | instid1(VALU_DEP_2)
	v_fma_f64 v[0:1], -v[6:7], v[12:13], v[0:1]
	v_fma_f64 v[2:3], v[4:5], v[12:13], v[2:3]
.LBB76_15:
	s_or_b32 exec_lo, exec_lo, s0
	s_delay_alu instid0(VALU_DEP_1)
	v_add_co_u32 v4, vcc_lo, s4, v8
	v_add_co_ci_u32_e32 v5, vcc_lo, s5, v9, vcc_lo
	global_store_b128 v[4:5], v[0:3], off
.LBB76_16:
	s_nop 0
	s_sendmsg sendmsg(MSG_DEALLOC_VGPRS)
	s_endpgm
	.section	.rodata,"a",@progbits
	.p2align	6, 0x0
	.amdhsa_kernel _ZN9rocsparseL41csrmvn_lrb_medium_rows_warp_reduce_kernelILj256ELj32Ell21rocsparse_complex_numIdES2_S2_S2_EEvbT1_lPT2_S5_jNS_24const_host_device_scalarIT6_EEPKS3_PKS4_PKT3_PKT4_S8_PT5_21rocsparse_index_base_b
		.amdhsa_group_segment_fixed_size 4096
		.amdhsa_private_segment_fixed_size 0
		.amdhsa_kernarg_size 128
		.amdhsa_user_sgpr_count 15
		.amdhsa_user_sgpr_dispatch_ptr 1
		.amdhsa_user_sgpr_queue_ptr 0
		.amdhsa_user_sgpr_kernarg_segment_ptr 1
		.amdhsa_user_sgpr_dispatch_id 0
		.amdhsa_user_sgpr_private_segment_size 0
		.amdhsa_wavefront_size32 1
		.amdhsa_uses_dynamic_stack 0
		.amdhsa_enable_private_segment 0
		.amdhsa_system_sgpr_workgroup_id_x 1
		.amdhsa_system_sgpr_workgroup_id_y 0
		.amdhsa_system_sgpr_workgroup_id_z 0
		.amdhsa_system_sgpr_workgroup_info 0
		.amdhsa_system_vgpr_workitem_id 2
		.amdhsa_next_free_vgpr 33
		.amdhsa_next_free_sgpr 18
		.amdhsa_reserve_vcc 1
		.amdhsa_float_round_mode_32 0
		.amdhsa_float_round_mode_16_64 0
		.amdhsa_float_denorm_mode_32 3
		.amdhsa_float_denorm_mode_16_64 3
		.amdhsa_dx10_clamp 1
		.amdhsa_ieee_mode 1
		.amdhsa_fp16_overflow 0
		.amdhsa_workgroup_processor_mode 1
		.amdhsa_memory_ordered 1
		.amdhsa_forward_progress 0
		.amdhsa_shared_vgpr_count 0
		.amdhsa_exception_fp_ieee_invalid_op 0
		.amdhsa_exception_fp_denorm_src 0
		.amdhsa_exception_fp_ieee_div_zero 0
		.amdhsa_exception_fp_ieee_overflow 0
		.amdhsa_exception_fp_ieee_underflow 0
		.amdhsa_exception_fp_ieee_inexact 0
		.amdhsa_exception_int_div_zero 0
	.end_amdhsa_kernel
	.section	.text._ZN9rocsparseL41csrmvn_lrb_medium_rows_warp_reduce_kernelILj256ELj32Ell21rocsparse_complex_numIdES2_S2_S2_EEvbT1_lPT2_S5_jNS_24const_host_device_scalarIT6_EEPKS3_PKS4_PKT3_PKT4_S8_PT5_21rocsparse_index_base_b,"axG",@progbits,_ZN9rocsparseL41csrmvn_lrb_medium_rows_warp_reduce_kernelILj256ELj32Ell21rocsparse_complex_numIdES2_S2_S2_EEvbT1_lPT2_S5_jNS_24const_host_device_scalarIT6_EEPKS3_PKS4_PKT3_PKT4_S8_PT5_21rocsparse_index_base_b,comdat
.Lfunc_end76:
	.size	_ZN9rocsparseL41csrmvn_lrb_medium_rows_warp_reduce_kernelILj256ELj32Ell21rocsparse_complex_numIdES2_S2_S2_EEvbT1_lPT2_S5_jNS_24const_host_device_scalarIT6_EEPKS3_PKS4_PKT3_PKT4_S8_PT5_21rocsparse_index_base_b, .Lfunc_end76-_ZN9rocsparseL41csrmvn_lrb_medium_rows_warp_reduce_kernelILj256ELj32Ell21rocsparse_complex_numIdES2_S2_S2_EEvbT1_lPT2_S5_jNS_24const_host_device_scalarIT6_EEPKS3_PKS4_PKT3_PKT4_S8_PT5_21rocsparse_index_base_b
                                        ; -- End function
	.section	.AMDGPU.csdata,"",@progbits
; Kernel info:
; codeLenInByte = 1560
; NumSgprs: 20
; NumVgprs: 33
; ScratchSize: 0
; MemoryBound: 0
; FloatMode: 240
; IeeeMode: 1
; LDSByteSize: 4096 bytes/workgroup (compile time only)
; SGPRBlocks: 2
; VGPRBlocks: 4
; NumSGPRsForWavesPerEU: 20
; NumVGPRsForWavesPerEU: 33
; Occupancy: 16
; WaveLimiterHint : 1
; COMPUTE_PGM_RSRC2:SCRATCH_EN: 0
; COMPUTE_PGM_RSRC2:USER_SGPR: 15
; COMPUTE_PGM_RSRC2:TRAP_HANDLER: 0
; COMPUTE_PGM_RSRC2:TGID_X_EN: 1
; COMPUTE_PGM_RSRC2:TGID_Y_EN: 0
; COMPUTE_PGM_RSRC2:TGID_Z_EN: 0
; COMPUTE_PGM_RSRC2:TIDIG_COMP_CNT: 2
	.section	.text._ZN9rocsparseL41csrmvn_lrb_medium_rows_warp_reduce_kernelILj256ELj64Ell21rocsparse_complex_numIdES2_S2_S2_EEvbT1_lPT2_S5_jNS_24const_host_device_scalarIT6_EEPKS3_PKS4_PKT3_PKT4_S8_PT5_21rocsparse_index_base_b,"axG",@progbits,_ZN9rocsparseL41csrmvn_lrb_medium_rows_warp_reduce_kernelILj256ELj64Ell21rocsparse_complex_numIdES2_S2_S2_EEvbT1_lPT2_S5_jNS_24const_host_device_scalarIT6_EEPKS3_PKS4_PKT3_PKT4_S8_PT5_21rocsparse_index_base_b,comdat
	.globl	_ZN9rocsparseL41csrmvn_lrb_medium_rows_warp_reduce_kernelILj256ELj64Ell21rocsparse_complex_numIdES2_S2_S2_EEvbT1_lPT2_S5_jNS_24const_host_device_scalarIT6_EEPKS3_PKS4_PKT3_PKT4_S8_PT5_21rocsparse_index_base_b ; -- Begin function _ZN9rocsparseL41csrmvn_lrb_medium_rows_warp_reduce_kernelILj256ELj64Ell21rocsparse_complex_numIdES2_S2_S2_EEvbT1_lPT2_S5_jNS_24const_host_device_scalarIT6_EEPKS3_PKS4_PKT3_PKT4_S8_PT5_21rocsparse_index_base_b
	.p2align	8
	.type	_ZN9rocsparseL41csrmvn_lrb_medium_rows_warp_reduce_kernelILj256ELj64Ell21rocsparse_complex_numIdES2_S2_S2_EEvbT1_lPT2_S5_jNS_24const_host_device_scalarIT6_EEPKS3_PKS4_PKT3_PKT4_S8_PT5_21rocsparse_index_base_b,@function
_ZN9rocsparseL41csrmvn_lrb_medium_rows_warp_reduce_kernelILj256ELj64Ell21rocsparse_complex_numIdES2_S2_S2_EEvbT1_lPT2_S5_jNS_24const_host_device_scalarIT6_EEPKS3_PKS4_PKT3_PKT4_S8_PT5_21rocsparse_index_base_b: ; @_ZN9rocsparseL41csrmvn_lrb_medium_rows_warp_reduce_kernelILj256ELj64Ell21rocsparse_complex_numIdES2_S2_S2_EEvbT1_lPT2_S5_jNS_24const_host_device_scalarIT6_EEPKS3_PKS4_PKT3_PKT4_S8_PT5_21rocsparse_index_base_b
; %bb.0:
	s_clause 0x1
	s_load_b64 s[12:13], s[2:3], 0x78
	s_load_b128 s[4:7], s[2:3], 0x30
	s_load_b64 s[16:17], s[0:1], 0x4
	s_mov_b64 s[0:1], src_shared_base
	v_and_b32_e32 v10, 0x3ff, v0
	s_load_b128 s[8:11], s[2:3], 0x60
	v_bfe_u32 v2, v0, 10, 10
	v_bfe_u32 v0, v0, 20, 10
	s_waitcnt lgkmcnt(0)
	s_bitcmp1_b32 s13, 0
	s_cselect_b32 s0, -1, 0
	s_delay_alu instid0(SALU_CYCLE_1) | instskip(SKIP_4) | instid1(SALU_CYCLE_1)
	s_and_b32 vcc_lo, s0, exec_lo
	s_cselect_b32 s13, s1, s5
	s_lshr_b32 s14, s16, 16
	v_mov_b32_e32 v6, s13
	s_mul_i32 s14, s14, s17
	v_mul_lo_u32 v1, s14, v10
	s_delay_alu instid0(VALU_DEP_1) | instskip(SKIP_1) | instid1(VALU_DEP_2)
	v_mad_u32_u24 v1, v2, s17, v1
	v_dual_mov_b32 v2, s8 :: v_dual_mov_b32 v3, s9
	v_add_lshl_u32 v4, v1, v0, 3
	v_dual_mov_b32 v0, s4 :: v_dual_mov_b32 v1, s5
	s_delay_alu instid0(VALU_DEP_2)
	v_add_nc_u32_e32 v5, 0x800, v4
	ds_store_2addr_stride64_b64 v4, v[2:3], v[0:1] offset1:4
	v_dual_mov_b32 v2, s6 :: v_dual_mov_b32 v3, s7
	v_cndmask_b32_e64 v5, s4, v5, s0
	s_xor_b32 s6, s0, -1
	flat_load_b64 v[0:1], v[5:6]
	s_cbranch_vccnz .LBB77_2
; %bb.1:
	v_dual_mov_b32 v2, s4 :: v_dual_mov_b32 v3, s5
	flat_load_b64 v[2:3], v[2:3] offset:8
.LBB77_2:
	s_and_b32 s4, s0, exec_lo
	s_cselect_b32 s1, s1, s9
	v_cndmask_b32_e64 v4, s8, v4, s0
	v_dual_mov_b32 v5, s1 :: v_dual_mov_b32 v6, s10
	v_mov_b32_e32 v7, s11
	s_and_not1_b32 vcc_lo, exec_lo, s6
	flat_load_b64 v[4:5], v[4:5]
	s_cbranch_vccnz .LBB77_4
; %bb.3:
	v_dual_mov_b32 v6, s8 :: v_dual_mov_b32 v7, s9
	flat_load_b64 v[6:7], v[6:7] offset:8
.LBB77_4:
	s_waitcnt vmcnt(1) lgkmcnt(1)
	v_cmp_eq_f64_e32 vcc_lo, 0, v[0:1]
	v_cmp_eq_f64_e64 s0, 0, v[2:3]
	s_delay_alu instid0(VALU_DEP_1)
	s_and_b32 s4, vcc_lo, s0
	s_mov_b32 s0, -1
	s_and_saveexec_b32 s1, s4
	s_cbranch_execz .LBB77_6
; %bb.5:
	s_waitcnt vmcnt(0) lgkmcnt(0)
	v_cmp_neq_f64_e32 vcc_lo, 1.0, v[4:5]
	v_cmp_neq_f64_e64 s0, 0, v[6:7]
	s_delay_alu instid0(VALU_DEP_1) | instskip(NEXT) | instid1(SALU_CYCLE_1)
	s_or_b32 s0, vcc_lo, s0
	s_or_not1_b32 s0, s0, exec_lo
.LBB77_6:
	s_or_b32 exec_lo, exec_lo, s1
	s_and_saveexec_b32 s1, s0
	s_cbranch_execz .LBB77_16
; %bb.7:
	s_load_b64 s[0:1], s[2:3], 0x10
	v_lshrrev_b32_e32 v8, 6, v10
	s_delay_alu instid0(VALU_DEP_1) | instskip(NEXT) | instid1(VALU_DEP_1)
	v_lshl_or_b32 v8, s15, 2, v8
	v_ashrrev_i32_e32 v9, 31, v8
	s_waitcnt lgkmcnt(0)
	s_delay_alu instid0(VALU_DEP_1)
	v_cmp_gt_i64_e32 vcc_lo, s[0:1], v[8:9]
	s_and_b32 exec_lo, exec_lo, vcc_lo
	s_cbranch_execz .LBB77_16
; %bb.8:
	s_clause 0x1
	s_load_b32 s6, s[2:3], 0x28
	s_load_b128 s[8:11], s[2:3], 0x18
	s_mov_b32 s7, 0
	v_lshlrev_b64 v[8:9], 3, v[8:9]
	v_and_b32_e32 v22, 63, v10
	s_load_b64 s[4:5], s[2:3], 0x70
	s_waitcnt lgkmcnt(0)
	s_lshl_b64 s[0:1], s[6:7], 3
	s_mov_b32 s6, exec_lo
	s_add_u32 s0, s10, s0
	s_addc_u32 s1, s11, s1
	s_load_b64 s[0:1], s[0:1], 0x0
	s_waitcnt lgkmcnt(0)
	s_lshl_b64 s[0:1], s[0:1], 3
	s_delay_alu instid0(SALU_CYCLE_1)
	s_add_u32 s0, s8, s0
	s_addc_u32 s1, s9, s1
	v_add_co_u32 v8, vcc_lo, s0, v8
	v_add_co_ci_u32_e32 v9, vcc_lo, s1, v9, vcc_lo
	s_load_b64 s[0:1], s[2:3], 0x40
	global_load_b64 v[8:9], v[8:9], off
	s_waitcnt vmcnt(0)
	v_lshlrev_b64 v[11:12], 3, v[8:9]
	s_waitcnt lgkmcnt(0)
	s_delay_alu instid0(VALU_DEP_1) | instskip(NEXT) | instid1(VALU_DEP_2)
	v_add_co_u32 v11, vcc_lo, s0, v11
	v_add_co_ci_u32_e32 v12, vcc_lo, s1, v12, vcc_lo
	v_sub_co_u32 v10, s0, v22, s12
	global_load_b128 v[12:15], v[11:12], off
	v_sub_co_ci_u32_e64 v11, null, 0, 0, s0
	s_waitcnt vmcnt(0)
	v_sub_co_u32 v14, vcc_lo, v14, s12
	v_subrev_co_ci_u32_e32 v15, vcc_lo, 0, v15, vcc_lo
	v_add_co_u32 v16, vcc_lo, v12, v10
	v_add_co_ci_u32_e32 v17, vcc_lo, v13, v11, vcc_lo
	v_mov_b32_e32 v10, 0
	v_mov_b32_e32 v11, 0
	s_delay_alu instid0(VALU_DEP_1) | instskip(NEXT) | instid1(VALU_DEP_4)
	v_dual_mov_b32 v13, v11 :: v_dual_mov_b32 v12, v10
	v_cmpx_lt_i64_e64 v[16:17], v[14:15]
	s_cbranch_execz .LBB77_12
; %bb.9:
	s_clause 0x2
	s_load_b128 s[8:11], s[2:3], 0x48
	s_load_b32 s0, s[2:3], 0x0
	s_load_b64 s[2:3], s[2:3], 0x58
	v_lshlrev_b64 v[12:13], 4, v[16:17]
	v_lshlrev_b64 v[18:19], 3, v[16:17]
	v_mov_b32_e32 v10, 0
	v_mov_b32_e32 v11, 0
	s_waitcnt lgkmcnt(0)
	s_delay_alu instid0(VALU_DEP_4) | instskip(SKIP_3) | instid1(VALU_DEP_4)
	v_add_co_u32 v12, vcc_lo, v12, s10
	v_add_co_ci_u32_e32 v13, vcc_lo, s11, v13, vcc_lo
	v_add_co_u32 v18, vcc_lo, s8, v18
	v_add_co_ci_u32_e32 v19, vcc_lo, s9, v19, vcc_lo
	v_add_co_u32 v20, vcc_lo, v12, 8
	s_delay_alu instid0(VALU_DEP_4)
	v_add_co_ci_u32_e32 v21, vcc_lo, 0, v13, vcc_lo
	v_dual_mov_b32 v13, v11 :: v_dual_mov_b32 v12, v10
	s_bitcmp1_b32 s0, 0
	s_cselect_b32 vcc_lo, -1, 0
.LBB77_10:                              ; =>This Inner Loop Header: Depth=1
	global_load_b64 v[27:28], v[18:19], off
	global_load_b128 v[23:26], v[20:21], off offset:-8
	v_add_co_u32 v18, s1, 0x200, v18
	s_delay_alu instid0(VALU_DEP_1) | instskip(SKIP_2) | instid1(VALU_DEP_1)
	v_add_co_ci_u32_e64 v19, s1, 0, v19, s1
	s_waitcnt vmcnt(1)
	v_sub_co_u32 v27, s0, v27, s12
	v_subrev_co_ci_u32_e64 v28, s0, 0, v28, s0
	s_waitcnt vmcnt(0)
	v_xor_b32_e32 v31, 0x80000000, v26
	s_delay_alu instid0(VALU_DEP_2) | instskip(NEXT) | instid1(VALU_DEP_2)
	v_lshlrev_b64 v[27:28], 4, v[27:28]
	v_cndmask_b32_e32 v26, v26, v31, vcc_lo
	s_delay_alu instid0(VALU_DEP_2) | instskip(NEXT) | instid1(VALU_DEP_1)
	v_add_co_u32 v27, s0, s2, v27
	v_add_co_ci_u32_e64 v28, s0, s3, v28, s0
	s_delay_alu instid0(VALU_DEP_3)
	v_mul_f64 v[31:32], v[25:26], -v[2:3]
	v_mul_f64 v[25:26], v[0:1], v[25:26]
	v_add_co_u32 v16, s0, v16, 64
	global_load_b128 v[27:30], v[27:28], off
	v_add_co_ci_u32_e64 v17, s0, 0, v17, s0
	v_add_co_u32 v20, s0, 0x400, v20
	s_delay_alu instid0(VALU_DEP_1) | instskip(NEXT) | instid1(VALU_DEP_3)
	v_add_co_ci_u32_e64 v21, s0, 0, v21, s0
	v_cmp_ge_i64_e64 s0, v[16:17], v[14:15]
	s_delay_alu instid0(VALU_DEP_1) | instskip(SKIP_3) | instid1(VALU_DEP_2)
	s_or_b32 s7, s0, s7
	v_fma_f64 v[31:32], v[0:1], v[23:24], v[31:32]
	v_fma_f64 v[23:24], v[2:3], v[23:24], v[25:26]
	s_waitcnt vmcnt(0)
	v_fma_f64 v[12:13], v[31:32], v[27:28], v[12:13]
	s_delay_alu instid0(VALU_DEP_2) | instskip(NEXT) | instid1(VALU_DEP_2)
	v_fma_f64 v[10:11], v[23:24], v[27:28], v[10:11]
	v_fma_f64 v[12:13], -v[23:24], v[29:30], v[12:13]
	s_delay_alu instid0(VALU_DEP_2)
	v_fma_f64 v[10:11], v[31:32], v[29:30], v[10:11]
	s_and_not1_b32 exec_lo, exec_lo, s7
	s_cbranch_execnz .LBB77_10
; %bb.11:
	s_or_b32 exec_lo, exec_lo, s7
.LBB77_12:
	s_delay_alu instid0(SALU_CYCLE_1) | instskip(SKIP_1) | instid1(VALU_DEP_1)
	s_or_b32 exec_lo, exec_lo, s6
	v_mbcnt_lo_u32_b32 v14, -1, 0
	v_or_b32_e32 v0, 32, v14
	s_delay_alu instid0(VALU_DEP_1) | instskip(SKIP_1) | instid1(VALU_DEP_1)
	v_cmp_gt_i32_e32 vcc_lo, 32, v0
	v_cndmask_b32_e32 v0, v14, v0, vcc_lo
	v_lshlrev_b32_e32 v3, 2, v0
	ds_bpermute_b32 v0, v3, v12
	ds_bpermute_b32 v1, v3, v13
	;; [unrolled: 1-line block ×4, first 2 shown]
	s_waitcnt lgkmcnt(2)
	v_add_f64 v[0:1], v[12:13], v[0:1]
	s_waitcnt lgkmcnt(0)
	v_add_f64 v[2:3], v[10:11], v[2:3]
	v_xor_b32_e32 v10, 16, v14
	s_delay_alu instid0(VALU_DEP_1) | instskip(SKIP_1) | instid1(VALU_DEP_1)
	v_cmp_gt_i32_e32 vcc_lo, 32, v10
	v_cndmask_b32_e32 v10, v14, v10, vcc_lo
	v_lshlrev_b32_e32 v13, 2, v10
	ds_bpermute_b32 v10, v13, v0
	ds_bpermute_b32 v11, v13, v1
	ds_bpermute_b32 v12, v13, v2
	ds_bpermute_b32 v13, v13, v3
	s_waitcnt lgkmcnt(2)
	v_add_f64 v[0:1], v[0:1], v[10:11]
	v_xor_b32_e32 v10, 8, v14
	s_waitcnt lgkmcnt(0)
	v_add_f64 v[2:3], v[2:3], v[12:13]
	s_delay_alu instid0(VALU_DEP_2) | instskip(SKIP_1) | instid1(VALU_DEP_1)
	v_cmp_gt_i32_e32 vcc_lo, 32, v10
	v_cndmask_b32_e32 v10, v14, v10, vcc_lo
	v_lshlrev_b32_e32 v13, 2, v10
	ds_bpermute_b32 v10, v13, v0
	ds_bpermute_b32 v11, v13, v1
	ds_bpermute_b32 v12, v13, v2
	ds_bpermute_b32 v13, v13, v3
	s_waitcnt lgkmcnt(2)
	v_add_f64 v[0:1], v[0:1], v[10:11]
	v_xor_b32_e32 v10, 4, v14
	s_waitcnt lgkmcnt(0)
	v_add_f64 v[2:3], v[2:3], v[12:13]
	s_delay_alu instid0(VALU_DEP_2) | instskip(SKIP_1) | instid1(VALU_DEP_1)
	;; [unrolled: 13-line block ×3, first 2 shown]
	v_cmp_gt_i32_e32 vcc_lo, 32, v10
	v_cndmask_b32_e32 v10, v14, v10, vcc_lo
	v_lshlrev_b32_e32 v13, 2, v10
	ds_bpermute_b32 v10, v13, v0
	ds_bpermute_b32 v11, v13, v1
	;; [unrolled: 1-line block ×4, first 2 shown]
	s_waitcnt lgkmcnt(2)
	v_add_f64 v[0:1], v[0:1], v[10:11]
	v_xor_b32_e32 v10, 1, v14
	s_waitcnt lgkmcnt(0)
	v_add_f64 v[2:3], v[2:3], v[12:13]
	s_delay_alu instid0(VALU_DEP_2) | instskip(SKIP_2) | instid1(VALU_DEP_2)
	v_cmp_gt_i32_e32 vcc_lo, 32, v10
	v_cndmask_b32_e32 v10, v14, v10, vcc_lo
	v_cmp_eq_u32_e32 vcc_lo, 63, v22
	v_lshlrev_b32_e32 v13, 2, v10
	ds_bpermute_b32 v10, v13, v0
	ds_bpermute_b32 v11, v13, v1
	;; [unrolled: 1-line block ×4, first 2 shown]
	s_and_b32 exec_lo, exec_lo, vcc_lo
	s_cbranch_execz .LBB77_16
; %bb.13:
	v_cmp_neq_f64_e32 vcc_lo, 0, v[4:5]
	v_cmp_neq_f64_e64 s0, 0, v[6:7]
	s_waitcnt lgkmcnt(2)
	v_add_f64 v[0:1], v[0:1], v[10:11]
	s_waitcnt lgkmcnt(0)
	v_add_f64 v[2:3], v[2:3], v[12:13]
	v_lshlrev_b64 v[8:9], 4, v[8:9]
	s_delay_alu instid0(VALU_DEP_4) | instskip(NEXT) | instid1(SALU_CYCLE_1)
	s_or_b32 s1, vcc_lo, s0
	s_and_saveexec_b32 s0, s1
	s_cbranch_execz .LBB77_15
; %bb.14:
	s_delay_alu instid0(VALU_DEP_1) | instskip(NEXT) | instid1(VALU_DEP_2)
	v_add_co_u32 v10, vcc_lo, s4, v8
	v_add_co_ci_u32_e32 v11, vcc_lo, s5, v9, vcc_lo
	global_load_b128 v[10:13], v[10:11], off
	s_waitcnt vmcnt(0)
	v_fma_f64 v[0:1], v[4:5], v[10:11], v[0:1]
	v_fma_f64 v[2:3], v[6:7], v[10:11], v[2:3]
	s_delay_alu instid0(VALU_DEP_2) | instskip(NEXT) | instid1(VALU_DEP_2)
	v_fma_f64 v[0:1], -v[6:7], v[12:13], v[0:1]
	v_fma_f64 v[2:3], v[4:5], v[12:13], v[2:3]
.LBB77_15:
	s_or_b32 exec_lo, exec_lo, s0
	s_delay_alu instid0(VALU_DEP_1)
	v_add_co_u32 v4, vcc_lo, s4, v8
	v_add_co_ci_u32_e32 v5, vcc_lo, s5, v9, vcc_lo
	global_store_b128 v[4:5], v[0:3], off
.LBB77_16:
	s_nop 0
	s_sendmsg sendmsg(MSG_DEALLOC_VGPRS)
	s_endpgm
	.section	.rodata,"a",@progbits
	.p2align	6, 0x0
	.amdhsa_kernel _ZN9rocsparseL41csrmvn_lrb_medium_rows_warp_reduce_kernelILj256ELj64Ell21rocsparse_complex_numIdES2_S2_S2_EEvbT1_lPT2_S5_jNS_24const_host_device_scalarIT6_EEPKS3_PKS4_PKT3_PKT4_S8_PT5_21rocsparse_index_base_b
		.amdhsa_group_segment_fixed_size 4096
		.amdhsa_private_segment_fixed_size 0
		.amdhsa_kernarg_size 128
		.amdhsa_user_sgpr_count 15
		.amdhsa_user_sgpr_dispatch_ptr 1
		.amdhsa_user_sgpr_queue_ptr 0
		.amdhsa_user_sgpr_kernarg_segment_ptr 1
		.amdhsa_user_sgpr_dispatch_id 0
		.amdhsa_user_sgpr_private_segment_size 0
		.amdhsa_wavefront_size32 1
		.amdhsa_uses_dynamic_stack 0
		.amdhsa_enable_private_segment 0
		.amdhsa_system_sgpr_workgroup_id_x 1
		.amdhsa_system_sgpr_workgroup_id_y 0
		.amdhsa_system_sgpr_workgroup_id_z 0
		.amdhsa_system_sgpr_workgroup_info 0
		.amdhsa_system_vgpr_workitem_id 2
		.amdhsa_next_free_vgpr 33
		.amdhsa_next_free_sgpr 18
		.amdhsa_reserve_vcc 1
		.amdhsa_float_round_mode_32 0
		.amdhsa_float_round_mode_16_64 0
		.amdhsa_float_denorm_mode_32 3
		.amdhsa_float_denorm_mode_16_64 3
		.amdhsa_dx10_clamp 1
		.amdhsa_ieee_mode 1
		.amdhsa_fp16_overflow 0
		.amdhsa_workgroup_processor_mode 1
		.amdhsa_memory_ordered 1
		.amdhsa_forward_progress 0
		.amdhsa_shared_vgpr_count 0
		.amdhsa_exception_fp_ieee_invalid_op 0
		.amdhsa_exception_fp_denorm_src 0
		.amdhsa_exception_fp_ieee_div_zero 0
		.amdhsa_exception_fp_ieee_overflow 0
		.amdhsa_exception_fp_ieee_underflow 0
		.amdhsa_exception_fp_ieee_inexact 0
		.amdhsa_exception_int_div_zero 0
	.end_amdhsa_kernel
	.section	.text._ZN9rocsparseL41csrmvn_lrb_medium_rows_warp_reduce_kernelILj256ELj64Ell21rocsparse_complex_numIdES2_S2_S2_EEvbT1_lPT2_S5_jNS_24const_host_device_scalarIT6_EEPKS3_PKS4_PKT3_PKT4_S8_PT5_21rocsparse_index_base_b,"axG",@progbits,_ZN9rocsparseL41csrmvn_lrb_medium_rows_warp_reduce_kernelILj256ELj64Ell21rocsparse_complex_numIdES2_S2_S2_EEvbT1_lPT2_S5_jNS_24const_host_device_scalarIT6_EEPKS3_PKS4_PKT3_PKT4_S8_PT5_21rocsparse_index_base_b,comdat
.Lfunc_end77:
	.size	_ZN9rocsparseL41csrmvn_lrb_medium_rows_warp_reduce_kernelILj256ELj64Ell21rocsparse_complex_numIdES2_S2_S2_EEvbT1_lPT2_S5_jNS_24const_host_device_scalarIT6_EEPKS3_PKS4_PKT3_PKT4_S8_PT5_21rocsparse_index_base_b, .Lfunc_end77-_ZN9rocsparseL41csrmvn_lrb_medium_rows_warp_reduce_kernelILj256ELj64Ell21rocsparse_complex_numIdES2_S2_S2_EEvbT1_lPT2_S5_jNS_24const_host_device_scalarIT6_EEPKS3_PKS4_PKT3_PKT4_S8_PT5_21rocsparse_index_base_b
                                        ; -- End function
	.section	.AMDGPU.csdata,"",@progbits
; Kernel info:
; codeLenInByte = 1636
; NumSgprs: 20
; NumVgprs: 33
; ScratchSize: 0
; MemoryBound: 0
; FloatMode: 240
; IeeeMode: 1
; LDSByteSize: 4096 bytes/workgroup (compile time only)
; SGPRBlocks: 2
; VGPRBlocks: 4
; NumSGPRsForWavesPerEU: 20
; NumVGPRsForWavesPerEU: 33
; Occupancy: 16
; WaveLimiterHint : 1
; COMPUTE_PGM_RSRC2:SCRATCH_EN: 0
; COMPUTE_PGM_RSRC2:USER_SGPR: 15
; COMPUTE_PGM_RSRC2:TRAP_HANDLER: 0
; COMPUTE_PGM_RSRC2:TGID_X_EN: 1
; COMPUTE_PGM_RSRC2:TGID_Y_EN: 0
; COMPUTE_PGM_RSRC2:TGID_Z_EN: 0
; COMPUTE_PGM_RSRC2:TIDIG_COMP_CNT: 2
	.section	.text._ZN9rocsparseL29csrmvn_lrb_medium_rows_kernelILj256Ell21rocsparse_complex_numIdES2_S2_S2_EEvbT0_PT1_S5_jNS_24const_host_device_scalarIT5_EEPKS3_PKS4_PKT2_PKT3_S8_PT4_21rocsparse_index_base_b,"axG",@progbits,_ZN9rocsparseL29csrmvn_lrb_medium_rows_kernelILj256Ell21rocsparse_complex_numIdES2_S2_S2_EEvbT0_PT1_S5_jNS_24const_host_device_scalarIT5_EEPKS3_PKS4_PKT2_PKT3_S8_PT4_21rocsparse_index_base_b,comdat
	.globl	_ZN9rocsparseL29csrmvn_lrb_medium_rows_kernelILj256Ell21rocsparse_complex_numIdES2_S2_S2_EEvbT0_PT1_S5_jNS_24const_host_device_scalarIT5_EEPKS3_PKS4_PKT2_PKT3_S8_PT4_21rocsparse_index_base_b ; -- Begin function _ZN9rocsparseL29csrmvn_lrb_medium_rows_kernelILj256Ell21rocsparse_complex_numIdES2_S2_S2_EEvbT0_PT1_S5_jNS_24const_host_device_scalarIT5_EEPKS3_PKS4_PKT2_PKT3_S8_PT4_21rocsparse_index_base_b
	.p2align	8
	.type	_ZN9rocsparseL29csrmvn_lrb_medium_rows_kernelILj256Ell21rocsparse_complex_numIdES2_S2_S2_EEvbT0_PT1_S5_jNS_24const_host_device_scalarIT5_EEPKS3_PKS4_PKT2_PKT3_S8_PT4_21rocsparse_index_base_b,@function
_ZN9rocsparseL29csrmvn_lrb_medium_rows_kernelILj256Ell21rocsparse_complex_numIdES2_S2_S2_EEvbT0_PT1_S5_jNS_24const_host_device_scalarIT5_EEPKS3_PKS4_PKT2_PKT3_S8_PT4_21rocsparse_index_base_b: ; @_ZN9rocsparseL29csrmvn_lrb_medium_rows_kernelILj256Ell21rocsparse_complex_numIdES2_S2_S2_EEvbT0_PT1_S5_jNS_24const_host_device_scalarIT5_EEPKS3_PKS4_PKT2_PKT3_S8_PT4_21rocsparse_index_base_b
; %bb.0:
	s_clause 0x1
	s_load_b64 s[12:13], s[2:3], 0x70
	s_load_b128 s[4:7], s[2:3], 0x28
	s_load_b64 s[16:17], s[0:1], 0x4
	s_mov_b64 s[0:1], src_shared_base
	v_and_b32_e32 v18, 0x3ff, v0
	s_mov_b32 s14, s15
	s_load_b128 s[8:11], s[2:3], 0x58
	v_bfe_u32 v2, v0, 10, 10
	v_bfe_u32 v0, v0, 20, 10
	s_waitcnt lgkmcnt(0)
	s_bitcmp1_b32 s13, 0
	v_mov_b32_e32 v11, s7
	s_cselect_b32 s0, -1, 0
	v_mov_b32_e32 v10, s6
	s_and_b32 vcc_lo, s0, exec_lo
	s_cselect_b32 s13, s1, s5
	s_lshr_b32 s15, s16, 16
	s_xor_b32 s6, s0, -1
	s_mul_i32 s15, s15, s17
	v_mov_b32_e32 v5, s13
	v_mul_lo_u32 v1, s15, v18
	s_delay_alu instid0(VALU_DEP_1) | instskip(SKIP_1) | instid1(VALU_DEP_2)
	v_mad_u32_u24 v1, v2, s17, v1
	v_dual_mov_b32 v2, s8 :: v_dual_mov_b32 v3, s9
	v_add_lshl_u32 v6, v1, v0, 3
	v_dual_mov_b32 v0, s4 :: v_dual_mov_b32 v1, s5
	s_delay_alu instid0(VALU_DEP_2)
	v_add_nc_u32_e32 v4, 0x1800, v6
	ds_store_2addr_stride64_b64 v6, v[2:3], v[0:1] offset0:8 offset1:12
	v_add_nc_u32_e32 v0, 0x1000, v6
	v_cndmask_b32_e64 v4, s4, v4, s0
	flat_load_b64 v[8:9], v[4:5]
	s_cbranch_vccnz .LBB78_2
; %bb.1:
	v_dual_mov_b32 v1, s4 :: v_dual_mov_b32 v2, s5
	flat_load_b64 v[10:11], v[1:2] offset:8
.LBB78_2:
	s_and_b32 s4, s0, exec_lo
	s_cselect_b32 s1, s1, s9
	v_cndmask_b32_e64 v0, s8, v0, s0
	v_dual_mov_b32 v1, s1 :: v_dual_mov_b32 v6, s10
	v_mov_b32_e32 v7, s11
	s_and_not1_b32 vcc_lo, exec_lo, s6
	flat_load_b64 v[4:5], v[0:1]
	s_cbranch_vccnz .LBB78_4
; %bb.3:
	v_dual_mov_b32 v0, s8 :: v_dual_mov_b32 v1, s9
	flat_load_b64 v[6:7], v[0:1] offset:8
.LBB78_4:
	s_waitcnt vmcnt(1) lgkmcnt(1)
	v_cmp_eq_f64_e32 vcc_lo, 0, v[8:9]
	v_cmp_eq_f64_e64 s0, 0, v[10:11]
	s_delay_alu instid0(VALU_DEP_1)
	s_and_b32 s4, vcc_lo, s0
	s_mov_b32 s0, -1
	s_and_saveexec_b32 s1, s4
	s_cbranch_execz .LBB78_6
; %bb.5:
	s_waitcnt vmcnt(0) lgkmcnt(0)
	v_cmp_neq_f64_e32 vcc_lo, 1.0, v[4:5]
	v_cmp_neq_f64_e64 s0, 0, v[6:7]
	s_delay_alu instid0(VALU_DEP_1) | instskip(NEXT) | instid1(SALU_CYCLE_1)
	s_or_b32 s0, vcc_lo, s0
	s_or_not1_b32 s0, s0, exec_lo
.LBB78_6:
	s_or_b32 exec_lo, exec_lo, s1
	s_and_saveexec_b32 s1, s0
	s_cbranch_execz .LBB78_31
; %bb.7:
	s_clause 0x1
	s_load_b32 s8, s[2:3], 0x20
	s_load_b128 s[4:7], s[2:3], 0x10
	s_mov_b32 s9, 0
	v_mov_b32_e32 v2, 0
	v_mov_b32_e32 v3, 0
	s_waitcnt lgkmcnt(0)
	s_lshl_b64 s[0:1], s[8:9], 3
	s_mov_b32 s8, exec_lo
	s_add_u32 s0, s6, s0
	s_addc_u32 s1, s7, s1
	s_ashr_i32 s15, s14, 31
	s_load_b64 s[0:1], s[0:1], 0x0
	s_waitcnt lgkmcnt(0)
	s_lshl_b64 s[0:1], s[0:1], 3
	s_delay_alu instid0(SALU_CYCLE_1) | instskip(SKIP_2) | instid1(SALU_CYCLE_1)
	s_add_u32 s4, s4, s0
	s_addc_u32 s5, s5, s1
	s_lshl_b64 s[0:1], s[14:15], 3
	s_add_u32 s0, s4, s0
	s_addc_u32 s1, s5, s1
	s_load_b64 s[4:5], s[0:1], 0x0
	s_load_b64 s[0:1], s[2:3], 0x38
	s_waitcnt lgkmcnt(0)
	s_lshl_b64 s[6:7], s[4:5], 3
	s_delay_alu instid0(SALU_CYCLE_1) | instskip(SKIP_4) | instid1(VALU_DEP_1)
	s_add_u32 s0, s0, s6
	s_addc_u32 s1, s1, s7
	s_load_b128 s[16:19], s[0:1], 0x0
	s_load_b64 s[6:7], s[2:3], 0x68
	v_sub_co_u32 v0, s0, v18, s12
	v_sub_co_ci_u32_e64 v1, null, 0, 0, s0
	s_waitcnt lgkmcnt(0)
	s_delay_alu instid0(VALU_DEP_2) | instskip(NEXT) | instid1(VALU_DEP_2)
	v_add_co_u32 v12, vcc_lo, s16, v0
	v_add_co_ci_u32_e32 v13, vcc_lo, s17, v1, vcc_lo
	v_dual_mov_b32 v0, v2 :: v_dual_mov_b32 v1, v3
	s_sub_u32 s10, s18, s12
	s_subb_u32 s11, s19, 0
	s_delay_alu instid0(VALU_DEP_2) | instid1(SALU_CYCLE_1)
	v_cmpx_gt_i64_e64 s[10:11], v[12:13]
	s_cbranch_execz .LBB78_11
; %bb.8:
	s_clause 0x2
	s_load_b128 s[16:19], s[2:3], 0x40
	s_load_b32 s0, s[2:3], 0x0
	s_load_b64 s[2:3], s[2:3], 0x50
	v_lshlrev_b64 v[0:1], 4, v[12:13]
	v_lshlrev_b64 v[14:15], 3, v[12:13]
	v_mov_b32_e32 v2, 0
	v_mov_b32_e32 v3, 0
	s_waitcnt lgkmcnt(0)
	s_delay_alu instid0(VALU_DEP_4) | instskip(SKIP_3) | instid1(VALU_DEP_4)
	v_add_co_u32 v0, vcc_lo, v0, s18
	v_add_co_ci_u32_e32 v1, vcc_lo, s19, v1, vcc_lo
	v_add_co_u32 v14, vcc_lo, s16, v14
	v_add_co_ci_u32_e32 v15, vcc_lo, s17, v15, vcc_lo
	v_add_co_u32 v16, vcc_lo, v0, 8
	s_delay_alu instid0(VALU_DEP_4)
	v_add_co_ci_u32_e32 v17, vcc_lo, 0, v1, vcc_lo
	v_dual_mov_b32 v0, v2 :: v_dual_mov_b32 v1, v3
	s_bitcmp1_b32 s0, 0
	s_cselect_b32 vcc_lo, -1, 0
.LBB78_9:                               ; =>This Inner Loop Header: Depth=1
	global_load_b64 v[23:24], v[14:15], off
	global_load_b128 v[19:22], v[16:17], off offset:-8
	v_add_co_u32 v14, s1, 0x800, v14
	s_delay_alu instid0(VALU_DEP_1) | instskip(SKIP_2) | instid1(VALU_DEP_1)
	v_add_co_ci_u32_e64 v15, s1, 0, v15, s1
	s_waitcnt vmcnt(1)
	v_sub_co_u32 v23, s0, v23, s12
	v_subrev_co_ci_u32_e64 v24, s0, 0, v24, s0
	s_waitcnt vmcnt(0)
	v_xor_b32_e32 v27, 0x80000000, v22
	s_delay_alu instid0(VALU_DEP_2) | instskip(NEXT) | instid1(VALU_DEP_2)
	v_lshlrev_b64 v[23:24], 4, v[23:24]
	v_cndmask_b32_e32 v22, v22, v27, vcc_lo
	s_delay_alu instid0(VALU_DEP_2) | instskip(NEXT) | instid1(VALU_DEP_1)
	v_add_co_u32 v23, s0, s2, v23
	v_add_co_ci_u32_e64 v24, s0, s3, v24, s0
	s_delay_alu instid0(VALU_DEP_3)
	v_mul_f64 v[27:28], v[21:22], -v[10:11]
	v_mul_f64 v[21:22], v[8:9], v[21:22]
	v_add_co_u32 v12, s0, 0x100, v12
	global_load_b128 v[23:26], v[23:24], off
	v_add_co_ci_u32_e64 v13, s0, 0, v13, s0
	v_add_co_u32 v16, s0, 0x1000, v16
	s_delay_alu instid0(VALU_DEP_1) | instskip(NEXT) | instid1(VALU_DEP_3)
	v_add_co_ci_u32_e64 v17, s0, 0, v17, s0
	v_cmp_le_i64_e64 s0, s[10:11], v[12:13]
	s_delay_alu instid0(VALU_DEP_1) | instskip(SKIP_3) | instid1(VALU_DEP_2)
	s_or_b32 s9, s0, s9
	v_fma_f64 v[27:28], v[8:9], v[19:20], v[27:28]
	v_fma_f64 v[19:20], v[10:11], v[19:20], v[21:22]
	s_waitcnt vmcnt(0)
	v_fma_f64 v[0:1], v[27:28], v[23:24], v[0:1]
	s_delay_alu instid0(VALU_DEP_2) | instskip(NEXT) | instid1(VALU_DEP_2)
	v_fma_f64 v[2:3], v[19:20], v[23:24], v[2:3]
	v_fma_f64 v[0:1], -v[19:20], v[25:26], v[0:1]
	s_delay_alu instid0(VALU_DEP_2)
	v_fma_f64 v[2:3], v[27:28], v[25:26], v[2:3]
	s_and_not1_b32 exec_lo, exec_lo, s9
	s_cbranch_execnz .LBB78_9
; %bb.10:
	s_or_b32 exec_lo, exec_lo, s9
.LBB78_11:
	s_delay_alu instid0(SALU_CYCLE_1)
	s_or_b32 exec_lo, exec_lo, s8
	v_lshlrev_b32_e32 v8, 4, v18
	s_mov_b32 s0, exec_lo
	ds_store_b128 v8, v[0:3]
	s_waitcnt vmcnt(0) lgkmcnt(0)
	s_barrier
	buffer_gl0_inv
	v_cmpx_gt_u32_e32 0x80, v18
	s_cbranch_execz .LBB78_13
; %bb.12:
	ds_load_b128 v[0:3], v8 offset:2048
	ds_load_b128 v[9:12], v8
	s_waitcnt lgkmcnt(0)
	v_add_f64 v[0:1], v[0:1], v[9:10]
	v_add_f64 v[2:3], v[2:3], v[11:12]
	ds_store_b128 v8, v[0:3]
.LBB78_13:
	s_or_b32 exec_lo, exec_lo, s0
	s_delay_alu instid0(SALU_CYCLE_1)
	s_mov_b32 s0, exec_lo
	s_waitcnt lgkmcnt(0)
	s_barrier
	buffer_gl0_inv
	v_cmpx_gt_u32_e32 64, v18
	s_cbranch_execz .LBB78_15
; %bb.14:
	ds_load_b128 v[0:3], v8 offset:1024
	ds_load_b128 v[9:12], v8
	s_waitcnt lgkmcnt(0)
	v_add_f64 v[0:1], v[0:1], v[9:10]
	v_add_f64 v[2:3], v[2:3], v[11:12]
	ds_store_b128 v8, v[0:3]
.LBB78_15:
	s_or_b32 exec_lo, exec_lo, s0
	s_delay_alu instid0(SALU_CYCLE_1)
	s_mov_b32 s0, exec_lo
	s_waitcnt lgkmcnt(0)
	;; [unrolled: 16-line block ×6, first 2 shown]
	s_barrier
	buffer_gl0_inv
	v_cmpx_gt_u32_e32 2, v18
	s_cbranch_execz .LBB78_25
; %bb.24:
	ds_load_b128 v[0:3], v8
	ds_load_b128 v[9:12], v8 offset:32
	s_waitcnt lgkmcnt(0)
	v_add_f64 v[0:1], v[9:10], v[0:1]
	v_add_f64 v[2:3], v[11:12], v[2:3]
	ds_store_b128 v8, v[0:3]
.LBB78_25:
	s_or_b32 exec_lo, exec_lo, s0
	v_cmp_eq_u32_e32 vcc_lo, 0, v18
	s_waitcnt lgkmcnt(0)
	s_barrier
	buffer_gl0_inv
	s_and_saveexec_b32 s0, vcc_lo
	s_cbranch_execz .LBB78_27
; %bb.26:
	v_mov_b32_e32 v12, 0
	ds_load_b128 v[0:3], v12
	ds_load_b128 v[8:11], v12 offset:16
	s_waitcnt lgkmcnt(0)
	v_add_f64 v[0:1], v[8:9], v[0:1]
	v_add_f64 v[2:3], v[10:11], v[2:3]
	ds_store_b128 v12, v[0:3]
.LBB78_27:
	s_or_b32 exec_lo, exec_lo, s0
	s_waitcnt lgkmcnt(0)
	s_barrier
	buffer_gl0_inv
	s_and_b32 exec_lo, exec_lo, vcc_lo
	s_cbranch_execz .LBB78_31
; %bb.28:
	v_cmp_neq_f64_e32 vcc_lo, 0, v[4:5]
	v_cmp_neq_f64_e64 s0, 0, v[6:7]
	v_mov_b32_e32 v8, 0
	ds_load_b128 v[0:3], v8
	s_or_b32 s1, vcc_lo, s0
	s_delay_alu instid0(SALU_CYCLE_1)
	s_and_saveexec_b32 s0, s1
	s_cbranch_execz .LBB78_30
; %bb.29:
	s_lshl_b64 s[2:3], s[4:5], 4
	s_delay_alu instid0(SALU_CYCLE_1)
	s_add_u32 s2, s6, s2
	s_addc_u32 s3, s7, s3
	s_load_b128 s[8:11], s[2:3], 0x0
	s_waitcnt lgkmcnt(0)
	v_fma_f64 v[0:1], v[4:5], s[8:9], v[0:1]
	v_fma_f64 v[2:3], v[6:7], s[8:9], v[2:3]
	s_delay_alu instid0(VALU_DEP_2) | instskip(NEXT) | instid1(VALU_DEP_2)
	v_fma_f64 v[0:1], -v[6:7], s[10:11], v[0:1]
	v_fma_f64 v[2:3], v[4:5], s[10:11], v[2:3]
.LBB78_30:
	s_or_b32 exec_lo, exec_lo, s0
	s_lshl_b64 s[0:1], s[4:5], 4
	s_delay_alu instid0(SALU_CYCLE_1)
	s_add_u32 s0, s6, s0
	s_addc_u32 s1, s7, s1
	s_waitcnt lgkmcnt(0)
	global_store_b128 v8, v[0:3], s[0:1]
.LBB78_31:
	s_nop 0
	s_sendmsg sendmsg(MSG_DEALLOC_VGPRS)
	s_endpgm
	.section	.rodata,"a",@progbits
	.p2align	6, 0x0
	.amdhsa_kernel _ZN9rocsparseL29csrmvn_lrb_medium_rows_kernelILj256Ell21rocsparse_complex_numIdES2_S2_S2_EEvbT0_PT1_S5_jNS_24const_host_device_scalarIT5_EEPKS3_PKS4_PKT2_PKT3_S8_PT4_21rocsparse_index_base_b
		.amdhsa_group_segment_fixed_size 8192
		.amdhsa_private_segment_fixed_size 0
		.amdhsa_kernarg_size 120
		.amdhsa_user_sgpr_count 15
		.amdhsa_user_sgpr_dispatch_ptr 1
		.amdhsa_user_sgpr_queue_ptr 0
		.amdhsa_user_sgpr_kernarg_segment_ptr 1
		.amdhsa_user_sgpr_dispatch_id 0
		.amdhsa_user_sgpr_private_segment_size 0
		.amdhsa_wavefront_size32 1
		.amdhsa_uses_dynamic_stack 0
		.amdhsa_enable_private_segment 0
		.amdhsa_system_sgpr_workgroup_id_x 1
		.amdhsa_system_sgpr_workgroup_id_y 0
		.amdhsa_system_sgpr_workgroup_id_z 0
		.amdhsa_system_sgpr_workgroup_info 0
		.amdhsa_system_vgpr_workitem_id 2
		.amdhsa_next_free_vgpr 29
		.amdhsa_next_free_sgpr 20
		.amdhsa_reserve_vcc 1
		.amdhsa_float_round_mode_32 0
		.amdhsa_float_round_mode_16_64 0
		.amdhsa_float_denorm_mode_32 3
		.amdhsa_float_denorm_mode_16_64 3
		.amdhsa_dx10_clamp 1
		.amdhsa_ieee_mode 1
		.amdhsa_fp16_overflow 0
		.amdhsa_workgroup_processor_mode 1
		.amdhsa_memory_ordered 1
		.amdhsa_forward_progress 0
		.amdhsa_shared_vgpr_count 0
		.amdhsa_exception_fp_ieee_invalid_op 0
		.amdhsa_exception_fp_denorm_src 0
		.amdhsa_exception_fp_ieee_div_zero 0
		.amdhsa_exception_fp_ieee_overflow 0
		.amdhsa_exception_fp_ieee_underflow 0
		.amdhsa_exception_fp_ieee_inexact 0
		.amdhsa_exception_int_div_zero 0
	.end_amdhsa_kernel
	.section	.text._ZN9rocsparseL29csrmvn_lrb_medium_rows_kernelILj256Ell21rocsparse_complex_numIdES2_S2_S2_EEvbT0_PT1_S5_jNS_24const_host_device_scalarIT5_EEPKS3_PKS4_PKT2_PKT3_S8_PT4_21rocsparse_index_base_b,"axG",@progbits,_ZN9rocsparseL29csrmvn_lrb_medium_rows_kernelILj256Ell21rocsparse_complex_numIdES2_S2_S2_EEvbT0_PT1_S5_jNS_24const_host_device_scalarIT5_EEPKS3_PKS4_PKT2_PKT3_S8_PT4_21rocsparse_index_base_b,comdat
.Lfunc_end78:
	.size	_ZN9rocsparseL29csrmvn_lrb_medium_rows_kernelILj256Ell21rocsparse_complex_numIdES2_S2_S2_EEvbT0_PT1_S5_jNS_24const_host_device_scalarIT5_EEPKS3_PKS4_PKT2_PKT3_S8_PT4_21rocsparse_index_base_b, .Lfunc_end78-_ZN9rocsparseL29csrmvn_lrb_medium_rows_kernelILj256Ell21rocsparse_complex_numIdES2_S2_S2_EEvbT0_PT1_S5_jNS_24const_host_device_scalarIT5_EEPKS3_PKS4_PKT2_PKT3_S8_PT4_21rocsparse_index_base_b
                                        ; -- End function
	.section	.AMDGPU.csdata,"",@progbits
; Kernel info:
; codeLenInByte = 1788
; NumSgprs: 22
; NumVgprs: 29
; ScratchSize: 0
; MemoryBound: 0
; FloatMode: 240
; IeeeMode: 1
; LDSByteSize: 8192 bytes/workgroup (compile time only)
; SGPRBlocks: 2
; VGPRBlocks: 3
; NumSGPRsForWavesPerEU: 22
; NumVGPRsForWavesPerEU: 29
; Occupancy: 16
; WaveLimiterHint : 1
; COMPUTE_PGM_RSRC2:SCRATCH_EN: 0
; COMPUTE_PGM_RSRC2:USER_SGPR: 15
; COMPUTE_PGM_RSRC2:TRAP_HANDLER: 0
; COMPUTE_PGM_RSRC2:TGID_X_EN: 1
; COMPUTE_PGM_RSRC2:TGID_Y_EN: 0
; COMPUTE_PGM_RSRC2:TGID_Z_EN: 0
; COMPUTE_PGM_RSRC2:TIDIG_COMP_CNT: 2
	.section	.text._ZN9rocsparseL27csrmvn_lrb_long_rows_kernelIll21rocsparse_complex_numIdES2_S2_S2_EEvbT_PjPT0_S6_jNS_24const_host_device_scalarIT4_EEPKS3_PKS5_PKT1_PKT2_S9_PT3_21rocsparse_index_base_b,"axG",@progbits,_ZN9rocsparseL27csrmvn_lrb_long_rows_kernelIll21rocsparse_complex_numIdES2_S2_S2_EEvbT_PjPT0_S6_jNS_24const_host_device_scalarIT4_EEPKS3_PKS5_PKT1_PKT2_S9_PT3_21rocsparse_index_base_b,comdat
	.globl	_ZN9rocsparseL27csrmvn_lrb_long_rows_kernelIll21rocsparse_complex_numIdES2_S2_S2_EEvbT_PjPT0_S6_jNS_24const_host_device_scalarIT4_EEPKS3_PKS5_PKT1_PKT2_S9_PT3_21rocsparse_index_base_b ; -- Begin function _ZN9rocsparseL27csrmvn_lrb_long_rows_kernelIll21rocsparse_complex_numIdES2_S2_S2_EEvbT_PjPT0_S6_jNS_24const_host_device_scalarIT4_EEPKS3_PKS5_PKT1_PKT2_S9_PT3_21rocsparse_index_base_b
	.p2align	8
	.type	_ZN9rocsparseL27csrmvn_lrb_long_rows_kernelIll21rocsparse_complex_numIdES2_S2_S2_EEvbT_PjPT0_S6_jNS_24const_host_device_scalarIT4_EEPKS3_PKS5_PKT1_PKT2_S9_PT3_21rocsparse_index_base_b,@function
_ZN9rocsparseL27csrmvn_lrb_long_rows_kernelIll21rocsparse_complex_numIdES2_S2_S2_EEvbT_PjPT0_S6_jNS_24const_host_device_scalarIT4_EEPKS3_PKS5_PKT1_PKT2_S9_PT3_21rocsparse_index_base_b: ; @_ZN9rocsparseL27csrmvn_lrb_long_rows_kernelIll21rocsparse_complex_numIdES2_S2_S2_EEvbT_PjPT0_S6_jNS_24const_host_device_scalarIT4_EEPKS3_PKS5_PKT1_PKT2_S9_PT3_21rocsparse_index_base_b
; %bb.0:
	s_mov_b32 s12, s15
	s_clause 0x1
	s_load_b64 s[22:23], s[2:3], 0x78
	s_load_b128 s[4:7], s[2:3], 0x30
	s_load_b64 s[14:15], s[0:1], 0x4
	s_mov_b64 s[0:1], src_shared_base
	v_and_b32_e32 v14, 0x3ff, v0
	s_load_b128 s[8:11], s[2:3], 0x60
	v_bfe_u32 v2, v0, 10, 10
	v_bfe_u32 v0, v0, 20, 10
	s_waitcnt lgkmcnt(0)
	s_bitcmp1_b32 s23, 0
	s_cselect_b32 s0, -1, 0
	s_delay_alu instid0(SALU_CYCLE_1) | instskip(SKIP_4) | instid1(SALU_CYCLE_1)
	s_and_b32 vcc_lo, s0, exec_lo
	s_cselect_b32 s13, s1, s5
	s_lshr_b32 s14, s14, 16
	v_mov_b32_e32 v5, s13
	s_mul_i32 s14, s14, s15
	v_mul_lo_u32 v1, s14, v14
	s_delay_alu instid0(VALU_DEP_1) | instskip(SKIP_1) | instid1(VALU_DEP_2)
	v_mad_u32_u24 v1, v2, s15, v1
	v_dual_mov_b32 v2, s8 :: v_dual_mov_b32 v3, s9
	v_add_lshl_u32 v6, v1, v0, 3
	v_dual_mov_b32 v0, s4 :: v_dual_mov_b32 v1, s5
	s_delay_alu instid0(VALU_DEP_2)
	v_add_nc_u32_e32 v4, 0x1800, v6
	ds_store_2addr_stride64_b64 v6, v[2:3], v[0:1] offset0:8 offset1:12
	v_add_nc_u32_e32 v0, 0x1000, v6
	v_mov_b32_e32 v6, s6
	v_cndmask_b32_e64 v4, s4, v4, s0
	v_mov_b32_e32 v7, s7
	s_xor_b32 s6, s0, -1
	flat_load_b64 v[4:5], v[4:5]
	s_cbranch_vccnz .LBB79_2
; %bb.1:
	v_dual_mov_b32 v1, s4 :: v_dual_mov_b32 v2, s5
	flat_load_b64 v[6:7], v[1:2] offset:8
.LBB79_2:
	s_and_b32 s4, s0, exec_lo
	s_cselect_b32 s1, s1, s9
	v_cndmask_b32_e64 v0, s8, v0, s0
	v_dual_mov_b32 v1, s1 :: v_dual_mov_b32 v8, s10
	v_mov_b32_e32 v9, s11
	s_and_not1_b32 vcc_lo, exec_lo, s6
	flat_load_b64 v[10:11], v[0:1]
	s_cbranch_vccnz .LBB79_4
; %bb.3:
	v_dual_mov_b32 v0, s8 :: v_dual_mov_b32 v1, s9
	flat_load_b64 v[8:9], v[0:1] offset:8
.LBB79_4:
	s_waitcnt vmcnt(1) lgkmcnt(1)
	v_cmp_eq_f64_e32 vcc_lo, 0, v[4:5]
	v_cmp_eq_f64_e64 s0, 0, v[6:7]
	s_delay_alu instid0(VALU_DEP_1)
	s_and_b32 s4, vcc_lo, s0
	s_mov_b32 s0, -1
	s_and_saveexec_b32 s1, s4
	s_cbranch_execz .LBB79_6
; %bb.5:
	s_waitcnt vmcnt(0) lgkmcnt(0)
	v_cmp_neq_f64_e32 vcc_lo, 1.0, v[10:11]
	v_cmp_neq_f64_e64 s0, 0, v[8:9]
	s_delay_alu instid0(VALU_DEP_1) | instskip(NEXT) | instid1(SALU_CYCLE_1)
	s_or_b32 s0, vcc_lo, s0
	s_or_not1_b32 s0, s0, exec_lo
.LBB79_6:
	s_or_b32 exec_lo, exec_lo, s1
	s_and_saveexec_b32 s1, s0
	s_cbranch_execz .LBB79_44
; %bb.7:
	s_clause 0x1
	s_load_b32 s0, s[2:3], 0x28
	s_load_b64 s[4:5], s[2:3], 0x20
	s_mov_b32 s1, 0
	s_load_b64 s[16:17], s[2:3], 0x70
	s_waitcnt lgkmcnt(0)
	s_lshl_b64 s[6:7], s[0:1], 3
	s_delay_alu instid0(SALU_CYCLE_1) | instskip(SKIP_4) | instid1(SALU_CYCLE_1)
	s_add_u32 s4, s4, s6
	s_addc_u32 s5, s5, s7
	s_lshl_b32 s0, -1, s0
	s_load_b64 s[8:9], s[4:5], 0x0
	s_not_b32 s0, s0
	s_mul_hi_u32 s0, s0, 0x2aaaaaab
	s_delay_alu instid0(SALU_CYCLE_1) | instskip(NEXT) | instid1(SALU_CYCLE_1)
	s_lshr_b32 s0, s0, 7
	s_add_i32 s10, s0, 1
	s_not_b32 s0, s0
	v_cvt_f32_u32_e32 v0, s10
	s_delay_alu instid0(VALU_DEP_1) | instskip(SKIP_2) | instid1(VALU_DEP_1)
	v_rcp_iflag_f32_e32 v0, v0
	s_waitcnt_depctr 0xfff
	v_mul_f32_e32 v0, 0x4f7ffffe, v0
	v_cvt_u32_f32_e32 v0, v0
	s_delay_alu instid0(VALU_DEP_1) | instskip(SKIP_2) | instid1(VALU_DEP_3)
	v_readfirstlane_b32 s6, v0
	v_mov_b32_e32 v0, 0
	v_mov_b32_e32 v1, 0
	s_mul_i32 s0, s0, s6
	s_delay_alu instid0(SALU_CYCLE_1) | instskip(NEXT) | instid1(SALU_CYCLE_1)
	s_mul_hi_u32 s0, s6, s0
	s_add_i32 s0, s6, s0
	s_load_b128 s[4:7], s[2:3], 0x10
	s_mul_hi_u32 s0, s12, s0
	s_delay_alu instid0(SALU_CYCLE_1) | instskip(SKIP_2) | instid1(SALU_CYCLE_1)
	s_mul_i32 s11, s0, s10
	s_add_i32 s13, s0, 1
	s_sub_i32 s11, s12, s11
	s_sub_i32 s14, s11, s10
	s_cmp_ge_u32 s11, s10
	s_cselect_b32 s0, s13, s0
	s_cselect_b32 s11, s14, s11
	s_add_i32 s13, s0, 1
	s_cmp_ge_u32 s11, s10
	s_cselect_b32 s0, s13, s0
	s_waitcnt lgkmcnt(0)
	s_lshl_b64 s[8:9], s[8:9], 3
	s_mul_i32 s10, s0, s10
	s_delay_alu instid0(SALU_CYCLE_1)
	s_sub_i32 s24, s12, s10
	s_add_u32 s6, s6, s8
	s_addc_u32 s7, s7, s9
	s_lshl_b64 s[0:1], s[0:1], 3
	v_or_b32_e32 v2, s24, v14
	s_add_u32 s0, s6, s0
	s_addc_u32 s1, s7, s1
	s_load_b64 s[6:7], s[0:1], 0x0
	s_load_b64 s[0:1], s[2:3], 0x40
	v_cmp_eq_u32_e32 vcc_lo, 0, v2
	v_dual_mov_b32 v3, v1 :: v_dual_mov_b32 v2, v0
	s_waitcnt lgkmcnt(0)
	s_lshl_b64 s[8:9], s[6:7], 3
	s_delay_alu instid0(SALU_CYCLE_1)
	s_add_u32 s0, s0, s8
	s_addc_u32 s1, s1, s9
	s_ashr_i32 s13, s12, 31
	s_sub_u32 s20, s12, s24
	s_subb_u32 s21, s13, 0
	s_lshl_b64 s[8:9], s[12:13], 2
	s_delay_alu instid0(SALU_CYCLE_1)
	s_add_u32 s18, s4, s8
	s_addc_u32 s19, s5, s9
	s_load_b128 s[8:11], s[0:1], 0x0
	s_load_b32 s23, s[18:19], 0x0
	s_and_saveexec_b32 s0, vcc_lo
	s_cbranch_execz .LBB79_11
; %bb.8:
	s_waitcnt vmcnt(0)
	v_add_f64 v[0:1], v[10:11], -1.0
	s_lshl_b64 s[12:13], s[6:7], 4
	s_mov_b32 s1, exec_lo
	s_add_u32 s12, s16, s12
	s_addc_u32 s13, s17, s13
	v_mbcnt_lo_u32_b32 v12, s1, 0
	s_load_b128 s[12:15], s[12:13], 0x0
	s_waitcnt vmcnt(0) expcnt(0) lgkmcnt(0)
	v_mul_f64 v[2:3], s[14:15], -v[8:9]
	s_delay_alu instid0(VALU_DEP_3)
	v_mul_f64 v[10:11], v[0:1], s[14:15]
	s_mov_b32 s14, exec_lo
	v_cmpx_eq_u32_e32 0, v12
	s_cbranch_execz .LBB79_10
; %bb.9:
	s_lshl_b64 s[26:27], s[20:21], 2
	s_delay_alu instid0(SALU_CYCLE_1) | instskip(SKIP_2) | instid1(SALU_CYCLE_1)
	s_add_u32 s26, s4, s26
	s_addc_u32 s27, s5, s27
	s_bcnt1_i32_b32 s1, s1
	s_and_b32 s1, s1, 1
	s_delay_alu instid0(SALU_CYCLE_1)
	v_dual_mov_b32 v12, 0 :: v_dual_mov_b32 v13, s1
	global_atomic_xor_b32 v12, v13, s[26:27]
.LBB79_10:
	s_or_b32 exec_lo, exec_lo, s14
	s_delay_alu instid0(VALU_DEP_3) | instskip(NEXT) | instid1(VALU_DEP_3)
	v_fma_f64 v[0:1], v[0:1], s[12:13], v[2:3]
	v_fma_f64 v[2:3], v[8:9], s[12:13], v[10:11]
.LBB79_11:
	s_or_b32 exec_lo, exec_lo, s0
	s_mul_i32 s1, s24, 0x300
	s_waitcnt lgkmcnt(0)
	s_sub_u32 s8, s8, s22
	s_mul_hi_u32 s0, s24, 0x300
	s_subb_u32 s9, s9, 0
	s_add_u32 s12, s8, s1
	s_addc_u32 s13, s9, s0
	s_sub_u32 s0, s10, s22
	s_subb_u32 s1, s11, 0
	s_add_u32 s8, s12, 0x300
	s_addc_u32 s9, s13, 0
	s_waitcnt vmcnt(0)
	v_add_co_u32 v8, s11, s12, v14
	v_cmp_lt_i64_e64 s10, s[8:9], s[0:1]
	v_add_co_ci_u32_e64 v9, null, s13, 0, s11
	s_delay_alu instid0(VALU_DEP_2)
	s_and_b32 s10, s10, exec_lo
	s_cselect_b32 s9, s9, s1
	s_cselect_b32 s8, s8, s0
	s_mov_b32 s10, exec_lo
	v_cmpx_gt_i64_e64 s[8:9], v[8:9]
	s_cbranch_execz .LBB79_15
; %bb.12:
	s_clause 0x1
	s_load_b128 s[12:15], s[2:3], 0x48
	s_load_b32 s0, s[2:3], 0x0
	v_lshlrev_b64 v[10:11], 4, v[8:9]
	s_load_b64 s[2:3], s[2:3], 0x58
	v_lshlrev_b64 v[12:13], 3, v[8:9]
	s_mov_b32 s11, 0
	s_waitcnt lgkmcnt(0)
	s_delay_alu instid0(VALU_DEP_2) | instskip(SKIP_2) | instid1(VALU_DEP_2)
	v_add_co_u32 v10, vcc_lo, v10, s14
	v_add_co_ci_u32_e32 v11, vcc_lo, s15, v11, vcc_lo
	s_bitcmp1_b32 s0, 0
	v_add_co_u32 v10, vcc_lo, v10, 8
	s_delay_alu instid0(VALU_DEP_2)
	v_add_co_ci_u32_e32 v11, vcc_lo, 0, v11, vcc_lo
	v_add_co_u32 v12, vcc_lo, s12, v12
	v_add_co_ci_u32_e32 v13, vcc_lo, s13, v13, vcc_lo
	s_cselect_b32 vcc_lo, -1, 0
.LBB79_13:                              ; =>This Inner Loop Header: Depth=1
	global_load_b64 v[19:20], v[12:13], off
	global_load_b128 v[15:18], v[10:11], off offset:-8
	v_add_co_u32 v12, s1, 0x800, v12
	s_delay_alu instid0(VALU_DEP_1) | instskip(SKIP_2) | instid1(VALU_DEP_1)
	v_add_co_ci_u32_e64 v13, s1, 0, v13, s1
	s_waitcnt vmcnt(1)
	v_sub_co_u32 v19, s0, v19, s22
	v_subrev_co_ci_u32_e64 v20, s0, 0, v20, s0
	s_waitcnt vmcnt(0)
	v_xor_b32_e32 v23, 0x80000000, v18
	s_delay_alu instid0(VALU_DEP_2) | instskip(NEXT) | instid1(VALU_DEP_2)
	v_lshlrev_b64 v[19:20], 4, v[19:20]
	v_cndmask_b32_e32 v18, v18, v23, vcc_lo
	s_delay_alu instid0(VALU_DEP_2) | instskip(NEXT) | instid1(VALU_DEP_1)
	v_add_co_u32 v19, s0, s2, v19
	v_add_co_ci_u32_e64 v20, s0, s3, v20, s0
	s_delay_alu instid0(VALU_DEP_3)
	v_mul_f64 v[23:24], v[17:18], -v[6:7]
	v_mul_f64 v[17:18], v[4:5], v[17:18]
	v_add_co_u32 v8, s0, 0x100, v8
	global_load_b128 v[19:22], v[19:20], off
	v_add_co_ci_u32_e64 v9, s0, 0, v9, s0
	v_add_co_u32 v10, s0, 0x1000, v10
	s_delay_alu instid0(VALU_DEP_1) | instskip(NEXT) | instid1(VALU_DEP_3)
	v_add_co_ci_u32_e64 v11, s0, 0, v11, s0
	v_cmp_le_i64_e64 s0, s[8:9], v[8:9]
	s_delay_alu instid0(VALU_DEP_1) | instskip(SKIP_3) | instid1(VALU_DEP_2)
	s_or_b32 s11, s0, s11
	v_fma_f64 v[23:24], v[4:5], v[15:16], v[23:24]
	v_fma_f64 v[15:16], v[6:7], v[15:16], v[17:18]
	s_waitcnt vmcnt(0)
	v_fma_f64 v[0:1], v[23:24], v[19:20], v[0:1]
	s_delay_alu instid0(VALU_DEP_2) | instskip(NEXT) | instid1(VALU_DEP_2)
	v_fma_f64 v[2:3], v[15:16], v[19:20], v[2:3]
	v_fma_f64 v[0:1], -v[15:16], v[21:22], v[0:1]
	s_delay_alu instid0(VALU_DEP_2)
	v_fma_f64 v[2:3], v[23:24], v[21:22], v[2:3]
	s_and_not1_b32 exec_lo, exec_lo, s11
	s_cbranch_execnz .LBB79_13
; %bb.14:
	s_or_b32 exec_lo, exec_lo, s11
.LBB79_15:
	s_delay_alu instid0(SALU_CYCLE_1)
	s_or_b32 exec_lo, exec_lo, s10
	v_lshlrev_b32_e32 v4, 4, v14
	s_mov_b32 s0, exec_lo
	ds_store_b128 v4, v[0:3]
	s_waitcnt lgkmcnt(0)
	s_waitcnt_vscnt null, 0x0
	s_barrier
	buffer_gl0_inv
	v_cmpx_gt_u32_e32 0x80, v14
	s_cbranch_execz .LBB79_17
; %bb.16:
	ds_load_b128 v[0:3], v4 offset:2048
	ds_load_b128 v[5:8], v4
	s_waitcnt lgkmcnt(0)
	v_add_f64 v[0:1], v[0:1], v[5:6]
	v_add_f64 v[2:3], v[2:3], v[7:8]
	ds_store_b128 v4, v[0:3]
.LBB79_17:
	s_or_b32 exec_lo, exec_lo, s0
	s_delay_alu instid0(SALU_CYCLE_1)
	s_mov_b32 s0, exec_lo
	s_waitcnt lgkmcnt(0)
	s_barrier
	buffer_gl0_inv
	v_cmpx_gt_u32_e32 64, v14
	s_cbranch_execz .LBB79_19
; %bb.18:
	ds_load_b128 v[0:3], v4 offset:1024
	ds_load_b128 v[5:8], v4
	s_waitcnt lgkmcnt(0)
	v_add_f64 v[0:1], v[0:1], v[5:6]
	v_add_f64 v[2:3], v[2:3], v[7:8]
	ds_store_b128 v4, v[0:3]
.LBB79_19:
	s_or_b32 exec_lo, exec_lo, s0
	s_delay_alu instid0(SALU_CYCLE_1)
	s_mov_b32 s0, exec_lo
	s_waitcnt lgkmcnt(0)
	;; [unrolled: 16-line block ×6, first 2 shown]
	s_barrier
	buffer_gl0_inv
	v_cmpx_gt_u32_e32 2, v14
	s_cbranch_execz .LBB79_29
; %bb.28:
	ds_load_b128 v[0:3], v4
	ds_load_b128 v[5:8], v4 offset:32
	s_waitcnt lgkmcnt(0)
	v_add_f64 v[0:1], v[5:6], v[0:1]
	v_add_f64 v[2:3], v[7:8], v[2:3]
	ds_store_b128 v4, v[0:3]
.LBB79_29:
	s_or_b32 exec_lo, exec_lo, s0
	v_cmp_eq_u32_e32 vcc_lo, 0, v14
	s_waitcnt lgkmcnt(0)
	s_barrier
	buffer_gl0_inv
	s_and_saveexec_b32 s0, vcc_lo
	s_cbranch_execz .LBB79_31
; %bb.30:
	v_mov_b32_e32 v8, 0
	ds_load_b128 v[0:3], v8
	ds_load_b128 v[4:7], v8 offset:16
	s_waitcnt lgkmcnt(0)
	v_add_f64 v[0:1], v[4:5], v[0:1]
	v_add_f64 v[2:3], v[6:7], v[2:3]
	ds_store_b128 v8, v[0:3]
.LBB79_31:
	s_or_b32 exec_lo, exec_lo, s0
	s_waitcnt lgkmcnt(0)
	s_barrier
	buffer_gl0_inv
	s_and_b32 exec_lo, exec_lo, vcc_lo
	s_cbranch_execz .LBB79_44
; %bb.32:
	s_cmp_eq_u32 s24, 0
	s_cbranch_scc1 .LBB79_38
; %bb.33:
	s_lshl_b64 s[0:1], s[20:21], 2
	v_mov_b32_e32 v0, 0
	s_add_u32 s0, s4, s0
	s_addc_u32 s1, s5, s1
	s_branch .LBB79_35
.LBB79_34:                              ;   in Loop: Header=BB79_35 Depth=1
	s_or_b32 exec_lo, exec_lo, s2
	s_waitcnt vmcnt(0)
	v_readfirstlane_b32 s2, v1
	s_delay_alu instid0(VALU_DEP_1)
	s_cmp_eq_u32 s2, s23
	s_cbranch_scc0 .LBB79_37
.LBB79_35:                              ; =>This Inner Loop Header: Depth=1
	v_mbcnt_lo_u32_b32 v1, exec_lo, 0
	s_delay_alu instid0(VALU_DEP_1)
	v_cmp_eq_u32_e32 vcc_lo, 0, v1
                                        ; implicit-def: $vgpr1
	s_and_saveexec_b32 s2, vcc_lo
	s_cbranch_execz .LBB79_34
; %bb.36:                               ;   in Loop: Header=BB79_35 Depth=1
	global_load_b32 v1, v0, s[0:1] glc
	s_branch .LBB79_34
.LBB79_37:
	v_mov_b32_e32 v0, 0
	global_load_b32 v1, v0, s[18:19]
	s_waitcnt vmcnt(0)
	v_xor_b32_e32 v1, 1, v1
	global_store_b32 v0, v1, s[18:19]
.LBB79_38:
	v_mov_b32_e32 v8, 0
	s_mov_b32 s3, exec_lo
	s_lshl_b64 s[0:1], s[6:7], 4
	v_mbcnt_lo_u32_b32 v4, s3, 0
	s_add_u32 s0, s16, s0
	ds_load_b128 v[0:3], v8
	s_addc_u32 s1, s17, s1
	s_mov_b32 s2, exec_lo
	v_cmpx_eq_u32_e32 0, v4
	s_cbranch_execz .LBB79_41
; %bb.39:
	global_load_b64 v[6:7], v8, s[0:1]
	s_bcnt1_i32_b32 s3, s3
	s_delay_alu instid0(SALU_CYCLE_1) | instskip(SKIP_2) | instid1(VALU_DEP_1)
	v_cvt_f64_u32_e32 v[4:5], s3
	s_mov_b32 s3, 0
	s_waitcnt lgkmcnt(0)
	v_mul_f64 v[0:1], v[0:1], v[4:5]
.LBB79_40:                              ; =>This Inner Loop Header: Depth=1
	s_waitcnt vmcnt(0)
	s_delay_alu instid0(VALU_DEP_1)
	v_add_f64 v[4:5], v[6:7], v[0:1]
	global_atomic_cmpswap_b64 v[4:5], v8, v[4:7], s[0:1] glc
	s_waitcnt vmcnt(0)
	v_cmp_eq_u64_e32 vcc_lo, v[4:5], v[6:7]
	v_dual_mov_b32 v7, v5 :: v_dual_mov_b32 v6, v4
	s_or_b32 s3, vcc_lo, s3
	s_delay_alu instid0(SALU_CYCLE_1)
	s_and_not1_b32 exec_lo, exec_lo, s3
	s_cbranch_execnz .LBB79_40
.LBB79_41:
	s_or_b32 exec_lo, exec_lo, s2
	s_delay_alu instid0(SALU_CYCLE_1) | instskip(SKIP_3) | instid1(VALU_DEP_1)
	s_mov_b32 s3, exec_lo
	s_mov_b32 s2, 0
	s_waitcnt lgkmcnt(0)
	v_mbcnt_lo_u32_b32 v0, s3, 0
	v_cmp_eq_u32_e32 vcc_lo, 0, v0
	s_and_b32 s4, exec_lo, vcc_lo
	s_delay_alu instid0(SALU_CYCLE_1)
	s_mov_b32 exec_lo, s4
	s_cbranch_execz .LBB79_44
; %bb.42:
	v_mov_b32_e32 v6, 0
	s_bcnt1_i32_b32 s3, s3
	s_delay_alu instid0(SALU_CYCLE_1)
	v_cvt_f64_u32_e32 v[0:1], s3
	global_load_b64 v[4:5], v6, s[0:1] offset:8
	v_mul_f64 v[0:1], v[2:3], v[0:1]
.LBB79_43:                              ; =>This Inner Loop Header: Depth=1
	s_waitcnt vmcnt(0)
	s_delay_alu instid0(VALU_DEP_1)
	v_add_f64 v[2:3], v[4:5], v[0:1]
	global_atomic_cmpswap_b64 v[2:3], v6, v[2:5], s[0:1] offset:8 glc
	s_waitcnt vmcnt(0)
	v_cmp_eq_u64_e32 vcc_lo, v[2:3], v[4:5]
	v_dual_mov_b32 v5, v3 :: v_dual_mov_b32 v4, v2
	s_or_b32 s2, vcc_lo, s2
	s_delay_alu instid0(SALU_CYCLE_1)
	s_and_not1_b32 exec_lo, exec_lo, s2
	s_cbranch_execnz .LBB79_43
.LBB79_44:
	s_nop 0
	s_sendmsg sendmsg(MSG_DEALLOC_VGPRS)
	s_endpgm
	.section	.rodata,"a",@progbits
	.p2align	6, 0x0
	.amdhsa_kernel _ZN9rocsparseL27csrmvn_lrb_long_rows_kernelIll21rocsparse_complex_numIdES2_S2_S2_EEvbT_PjPT0_S6_jNS_24const_host_device_scalarIT4_EEPKS3_PKS5_PKT1_PKT2_S9_PT3_21rocsparse_index_base_b
		.amdhsa_group_segment_fixed_size 8192
		.amdhsa_private_segment_fixed_size 0
		.amdhsa_kernarg_size 128
		.amdhsa_user_sgpr_count 15
		.amdhsa_user_sgpr_dispatch_ptr 1
		.amdhsa_user_sgpr_queue_ptr 0
		.amdhsa_user_sgpr_kernarg_segment_ptr 1
		.amdhsa_user_sgpr_dispatch_id 0
		.amdhsa_user_sgpr_private_segment_size 0
		.amdhsa_wavefront_size32 1
		.amdhsa_uses_dynamic_stack 0
		.amdhsa_enable_private_segment 0
		.amdhsa_system_sgpr_workgroup_id_x 1
		.amdhsa_system_sgpr_workgroup_id_y 0
		.amdhsa_system_sgpr_workgroup_id_z 0
		.amdhsa_system_sgpr_workgroup_info 0
		.amdhsa_system_vgpr_workitem_id 2
		.amdhsa_next_free_vgpr 25
		.amdhsa_next_free_sgpr 28
		.amdhsa_reserve_vcc 1
		.amdhsa_float_round_mode_32 0
		.amdhsa_float_round_mode_16_64 0
		.amdhsa_float_denorm_mode_32 3
		.amdhsa_float_denorm_mode_16_64 3
		.amdhsa_dx10_clamp 1
		.amdhsa_ieee_mode 1
		.amdhsa_fp16_overflow 0
		.amdhsa_workgroup_processor_mode 1
		.amdhsa_memory_ordered 1
		.amdhsa_forward_progress 0
		.amdhsa_shared_vgpr_count 0
		.amdhsa_exception_fp_ieee_invalid_op 0
		.amdhsa_exception_fp_denorm_src 0
		.amdhsa_exception_fp_ieee_div_zero 0
		.amdhsa_exception_fp_ieee_overflow 0
		.amdhsa_exception_fp_ieee_underflow 0
		.amdhsa_exception_fp_ieee_inexact 0
		.amdhsa_exception_int_div_zero 0
	.end_amdhsa_kernel
	.section	.text._ZN9rocsparseL27csrmvn_lrb_long_rows_kernelIll21rocsparse_complex_numIdES2_S2_S2_EEvbT_PjPT0_S6_jNS_24const_host_device_scalarIT4_EEPKS3_PKS5_PKT1_PKT2_S9_PT3_21rocsparse_index_base_b,"axG",@progbits,_ZN9rocsparseL27csrmvn_lrb_long_rows_kernelIll21rocsparse_complex_numIdES2_S2_S2_EEvbT_PjPT0_S6_jNS_24const_host_device_scalarIT4_EEPKS3_PKS5_PKT1_PKT2_S9_PT3_21rocsparse_index_base_b,comdat
.Lfunc_end79:
	.size	_ZN9rocsparseL27csrmvn_lrb_long_rows_kernelIll21rocsparse_complex_numIdES2_S2_S2_EEvbT_PjPT0_S6_jNS_24const_host_device_scalarIT4_EEPKS3_PKS5_PKT1_PKT2_S9_PT3_21rocsparse_index_base_b, .Lfunc_end79-_ZN9rocsparseL27csrmvn_lrb_long_rows_kernelIll21rocsparse_complex_numIdES2_S2_S2_EEvbT_PjPT0_S6_jNS_24const_host_device_scalarIT4_EEPKS3_PKS5_PKT1_PKT2_S9_PT3_21rocsparse_index_base_b
                                        ; -- End function
	.section	.AMDGPU.csdata,"",@progbits
; Kernel info:
; codeLenInByte = 2444
; NumSgprs: 30
; NumVgprs: 25
; ScratchSize: 0
; MemoryBound: 0
; FloatMode: 240
; IeeeMode: 1
; LDSByteSize: 8192 bytes/workgroup (compile time only)
; SGPRBlocks: 3
; VGPRBlocks: 3
; NumSGPRsForWavesPerEU: 30
; NumVGPRsForWavesPerEU: 25
; Occupancy: 16
; WaveLimiterHint : 1
; COMPUTE_PGM_RSRC2:SCRATCH_EN: 0
; COMPUTE_PGM_RSRC2:USER_SGPR: 15
; COMPUTE_PGM_RSRC2:TRAP_HANDLER: 0
; COMPUTE_PGM_RSRC2:TGID_X_EN: 1
; COMPUTE_PGM_RSRC2:TGID_Y_EN: 0
; COMPUTE_PGM_RSRC2:TGID_Z_EN: 0
; COMPUTE_PGM_RSRC2:TIDIG_COMP_CNT: 2
	.section	.text._ZN9rocsparseL28csrmvn_lrb_short_rows_kernelIiiaaiiEEvbT_PT0_S3_jNS_24const_host_device_scalarIT4_EEPKS1_PKS2_PKT1_PKT2_S6_PT3_21rocsparse_index_base_b,"axG",@progbits,_ZN9rocsparseL28csrmvn_lrb_short_rows_kernelIiiaaiiEEvbT_PT0_S3_jNS_24const_host_device_scalarIT4_EEPKS1_PKS2_PKT1_PKT2_S6_PT3_21rocsparse_index_base_b,comdat
	.globl	_ZN9rocsparseL28csrmvn_lrb_short_rows_kernelIiiaaiiEEvbT_PT0_S3_jNS_24const_host_device_scalarIT4_EEPKS1_PKS2_PKT1_PKT2_S6_PT3_21rocsparse_index_base_b ; -- Begin function _ZN9rocsparseL28csrmvn_lrb_short_rows_kernelIiiaaiiEEvbT_PT0_S3_jNS_24const_host_device_scalarIT4_EEPKS1_PKS2_PKT1_PKT2_S6_PT3_21rocsparse_index_base_b
	.p2align	8
	.type	_ZN9rocsparseL28csrmvn_lrb_short_rows_kernelIiiaaiiEEvbT_PT0_S3_jNS_24const_host_device_scalarIT4_EEPKS1_PKS2_PKT1_PKT2_S6_PT3_21rocsparse_index_base_b,@function
_ZN9rocsparseL28csrmvn_lrb_short_rows_kernelIiiaaiiEEvbT_PT0_S3_jNS_24const_host_device_scalarIT4_EEPKS1_PKS2_PKT1_PKT2_S6_PT3_21rocsparse_index_base_b: ; @_ZN9rocsparseL28csrmvn_lrb_short_rows_kernelIiiaaiiEEvbT_PT0_S3_jNS_24const_host_device_scalarIT4_EEPKS1_PKS2_PKT1_PKT2_S6_PT3_21rocsparse_index_base_b
; %bb.0:
	s_clause 0x1
	s_load_b64 s[2:3], s[0:1], 0x58
	s_load_b64 s[6:7], s[0:1], 0x20
	s_mov_b32 s8, -1
                                        ; implicit-def: $sgpr14
	s_waitcnt lgkmcnt(0)
	s_bitcmp1_b32 s3, 0
	s_cselect_b32 s3, -1, 0
	s_delay_alu instid0(SALU_CYCLE_1) | instskip(NEXT) | instid1(SALU_CYCLE_1)
	s_xor_b32 s3, s3, -1
	s_and_b32 vcc_lo, exec_lo, s3
	s_cbranch_vccnz .LBB80_4
; %bb.1:
	s_load_b64 s[4:5], s[0:1], 0x48
	s_and_not1_b32 vcc_lo, exec_lo, s8
	s_cbranch_vccz .LBB80_5
.LBB80_2:
	s_and_b32 vcc_lo, exec_lo, s3
	s_cbranch_vccz .LBB80_6
.LBB80_3:
	s_waitcnt lgkmcnt(0)
	s_load_b32 s3, s[4:5], 0x0
	s_cbranch_execz .LBB80_7
	s_branch .LBB80_8
.LBB80_4:
	s_load_b32 s14, s[6:7], 0x0
	s_load_b64 s[4:5], s[0:1], 0x48
	s_cbranch_execnz .LBB80_2
.LBB80_5:
	s_waitcnt lgkmcnt(0)
	s_mov_b32 s14, s6
	s_and_b32 vcc_lo, exec_lo, s3
	s_cbranch_vccnz .LBB80_3
.LBB80_6:
	s_waitcnt lgkmcnt(0)
                                        ; implicit-def: $sgpr3
.LBB80_7:
	s_waitcnt lgkmcnt(0)
	s_mov_b32 s3, s4
.LBB80_8:
	s_cmp_lg_u32 s14, 0
	s_mov_b32 s13, 0
	s_cselect_b32 s4, -1, 0
	s_waitcnt lgkmcnt(0)
	s_cmp_lg_u32 s3, 1
	s_cselect_b32 s5, -1, 0
	s_delay_alu instid0(SALU_CYCLE_1) | instskip(NEXT) | instid1(SALU_CYCLE_1)
	s_or_b32 s4, s4, s5
	s_and_not1_b32 vcc_lo, exec_lo, s4
	s_cbranch_vccnz .LBB80_22
; %bb.9:
	s_clause 0x1
	s_load_b32 s12, s[0:1], 0x18
	s_load_b128 s[16:19], s[0:1], 0x8
	s_mov_b32 s7, s13
	s_waitcnt lgkmcnt(0)
	s_lshl_b64 s[4:5], s[12:13], 2
	s_delay_alu instid0(SALU_CYCLE_1) | instskip(SKIP_2) | instid1(SALU_CYCLE_1)
	s_add_u32 s4, s18, s4
	s_addc_u32 s5, s19, s5
	s_add_i32 s6, s12, 1
	s_lshl_b64 s[6:7], s[6:7], 2
	s_delay_alu instid0(SALU_CYCLE_1)
	s_add_u32 s6, s18, s6
	s_addc_u32 s7, s19, s7
	s_clause 0x1
	s_load_b32 s13, s[4:5], 0x0
	s_load_b32 s4, s[6:7], 0x0
	s_lshl_b32 s15, s15, 8
	s_delay_alu instid0(SALU_CYCLE_1) | instskip(SKIP_2) | instid1(SALU_CYCLE_1)
	s_add_i32 s5, s15, 0x100
	s_waitcnt lgkmcnt(0)
	s_sub_i32 s4, s4, s13
	s_min_u32 s18, s4, s5
	s_cmp_gt_u32 s12, 23
	s_cbranch_scc1 .LBB80_16
; %bb.10:
	s_load_b256 s[4:11], s[0:1], 0x28
	v_bfe_u32 v5, v0, 0, s12
	v_lshl_add_u32 v7, v0, 2, 0
	v_mov_b32_e32 v2, 0
	s_lshl_b32 s19, 0x100, s12
	s_mov_b32 s20, 0
	v_subrev_nc_u32_e32 v6, s2, v5
	s_branch .LBB80_13
.LBB80_11:                              ;   in Loop: Header=BB80_13 Depth=1
	s_or_b32 exec_lo, exec_lo, s22
	ds_store_b32 v7, v1
.LBB80_12:                              ;   in Loop: Header=BB80_13 Depth=1
	s_or_b32 exec_lo, exec_lo, s21
	v_add_nc_u32_e32 v7, 0x400, v7
	s_addk_i32 s20, 0x100
	s_delay_alu instid0(SALU_CYCLE_1)
	s_cmp_ge_u32 s20, s19
	s_cbranch_scc1 .LBB80_16
.LBB80_13:                              ; =>This Inner Loop Header: Depth=1
	v_add_nc_u32_e32 v1, s20, v0
	s_mov_b32 s21, exec_lo
	s_delay_alu instid0(VALU_DEP_1) | instskip(NEXT) | instid1(VALU_DEP_1)
	v_lshrrev_b32_e32 v1, s12, v1
	v_add_nc_u32_e32 v1, s15, v1
	s_delay_alu instid0(VALU_DEP_1)
	v_cmpx_gt_u32_e64 s18, v1
	s_cbranch_execz .LBB80_12
; %bb.14:                               ;   in Loop: Header=BB80_13 Depth=1
	v_add_nc_u32_e32 v1, s13, v1
	s_delay_alu instid0(VALU_DEP_1) | instskip(NEXT) | instid1(VALU_DEP_1)
	v_lshlrev_b64 v[3:4], 2, v[1:2]
	v_add_co_u32 v3, vcc_lo, s16, v3
	s_delay_alu instid0(VALU_DEP_2) | instskip(SKIP_3) | instid1(VALU_DEP_1)
	v_add_co_ci_u32_e32 v4, vcc_lo, s17, v4, vcc_lo
	global_load_b32 v3, v[3:4], off
	s_waitcnt vmcnt(0)
	v_ashrrev_i32_e32 v4, 31, v3
	v_lshlrev_b64 v[3:4], 2, v[3:4]
	s_waitcnt lgkmcnt(0)
	s_delay_alu instid0(VALU_DEP_1) | instskip(NEXT) | instid1(VALU_DEP_2)
	v_add_co_u32 v3, vcc_lo, s4, v3
	v_add_co_ci_u32_e32 v4, vcc_lo, s5, v4, vcc_lo
	global_load_b64 v[3:4], v[3:4], off
	s_waitcnt vmcnt(0)
	v_sub_nc_u32_e32 v1, v4, v3
	s_delay_alu instid0(VALU_DEP_1)
	v_cmp_lt_u32_e32 vcc_lo, v5, v1
	v_mov_b32_e32 v1, 0
	s_and_saveexec_b32 s22, vcc_lo
	s_cbranch_execz .LBB80_11
; %bb.15:                               ;   in Loop: Header=BB80_13 Depth=1
	v_add_nc_u32_e32 v1, v6, v3
	s_delay_alu instid0(VALU_DEP_1)
	v_lshlrev_b64 v[3:4], 2, v[1:2]
	global_load_i8 v1, v1, s[8:9]
	v_add_co_u32 v3, vcc_lo, s6, v3
	v_add_co_ci_u32_e32 v4, vcc_lo, s7, v4, vcc_lo
	global_load_b32 v3, v[3:4], off
	s_waitcnt vmcnt(1)
	v_mul_lo_u32 v1, s14, v1
	s_waitcnt vmcnt(0)
	v_subrev_nc_u32_e32 v3, s2, v3
	s_delay_alu instid0(VALU_DEP_1) | instskip(SKIP_1) | instid1(VALU_DEP_2)
	v_ashrrev_i32_e32 v4, 31, v3
	v_add_co_u32 v3, vcc_lo, s10, v3
	v_add_co_ci_u32_e32 v4, vcc_lo, s11, v4, vcc_lo
	global_load_i8 v3, v[3:4], off
	s_waitcnt vmcnt(0)
	v_mul_lo_u32 v1, v1, v3
	s_branch .LBB80_11
.LBB80_16:
	s_sub_i32 s2, s18, s15
	s_waitcnt lgkmcnt(0)
	v_cmp_gt_u32_e32 vcc_lo, s2, v0
	s_barrier
	buffer_gl0_inv
	s_and_saveexec_b32 s2, vcc_lo
	s_cbranch_execz .LBB80_22
; %bb.17:
	v_add3_u32 v1, s13, s15, v0
	v_mov_b32_e32 v2, 0
	s_load_b64 s[0:1], s[0:1], 0x50
	v_lshlrev_b32_e32 v0, s12, v0
	s_mov_b32 s2, 1
	s_delay_alu instid0(VALU_DEP_2) | instskip(NEXT) | instid1(VALU_DEP_2)
	v_lshlrev_b64 v[3:4], 2, v[1:2]
	v_lshl_add_u32 v0, v0, 2, 0
	s_delay_alu instid0(VALU_DEP_2) | instskip(NEXT) | instid1(VALU_DEP_3)
	v_add_co_u32 v3, vcc_lo, s16, v3
	v_add_co_ci_u32_e32 v4, vcc_lo, s17, v4, vcc_lo
	global_load_b32 v3, v[3:4], off
.LBB80_18:                              ; =>This Inner Loop Header: Depth=1
	ds_load_b32 v1, v0
	v_add_nc_u32_e32 v0, 4, v0
	s_lshr_b32 s4, s2, s12
	s_add_i32 s2, s2, 1
	s_cmp_lg_u32 s4, 0
	s_waitcnt lgkmcnt(0)
	v_add_nc_u32_e32 v2, v1, v2
	s_cbranch_scc0 .LBB80_18
; %bb.19:
	s_waitcnt vmcnt(0)
	v_ashrrev_i32_e32 v4, 31, v3
	s_cmp_lg_u32 s3, 0
	s_delay_alu instid0(VALU_DEP_1)
	v_lshlrev_b64 v[0:1], 2, v[3:4]
	s_cbranch_scc0 .LBB80_21
; %bb.20:
	s_delay_alu instid0(VALU_DEP_1) | instskip(NEXT) | instid1(VALU_DEP_2)
	v_add_co_u32 v3, vcc_lo, s0, v0
	v_add_co_ci_u32_e32 v4, vcc_lo, s1, v1, vcc_lo
	global_load_b32 v5, v[3:4], off
	s_waitcnt vmcnt(0)
	v_mad_u64_u32 v[3:4], null, v5, s3, v[2:3]
	s_delay_alu instid0(VALU_DEP_1)
	v_mov_b32_e32 v2, v3
.LBB80_21:
	s_delay_alu instid0(VALU_DEP_1) | instskip(NEXT) | instid1(VALU_DEP_2)
	v_add_co_u32 v0, vcc_lo, s0, v0
	v_add_co_ci_u32_e32 v1, vcc_lo, s1, v1, vcc_lo
	global_store_b32 v[0:1], v2, off
.LBB80_22:
	s_nop 0
	s_sendmsg sendmsg(MSG_DEALLOC_VGPRS)
	s_endpgm
	.section	.rodata,"a",@progbits
	.p2align	6, 0x0
	.amdhsa_kernel _ZN9rocsparseL28csrmvn_lrb_short_rows_kernelIiiaaiiEEvbT_PT0_S3_jNS_24const_host_device_scalarIT4_EEPKS1_PKS2_PKT1_PKT2_S6_PT3_21rocsparse_index_base_b
		.amdhsa_group_segment_fixed_size 0
		.amdhsa_private_segment_fixed_size 0
		.amdhsa_kernarg_size 96
		.amdhsa_user_sgpr_count 15
		.amdhsa_user_sgpr_dispatch_ptr 0
		.amdhsa_user_sgpr_queue_ptr 0
		.amdhsa_user_sgpr_kernarg_segment_ptr 1
		.amdhsa_user_sgpr_dispatch_id 0
		.amdhsa_user_sgpr_private_segment_size 0
		.amdhsa_wavefront_size32 1
		.amdhsa_uses_dynamic_stack 0
		.amdhsa_enable_private_segment 0
		.amdhsa_system_sgpr_workgroup_id_x 1
		.amdhsa_system_sgpr_workgroup_id_y 0
		.amdhsa_system_sgpr_workgroup_id_z 0
		.amdhsa_system_sgpr_workgroup_info 0
		.amdhsa_system_vgpr_workitem_id 0
		.amdhsa_next_free_vgpr 8
		.amdhsa_next_free_sgpr 23
		.amdhsa_reserve_vcc 1
		.amdhsa_float_round_mode_32 0
		.amdhsa_float_round_mode_16_64 0
		.amdhsa_float_denorm_mode_32 3
		.amdhsa_float_denorm_mode_16_64 3
		.amdhsa_dx10_clamp 1
		.amdhsa_ieee_mode 1
		.amdhsa_fp16_overflow 0
		.amdhsa_workgroup_processor_mode 1
		.amdhsa_memory_ordered 1
		.amdhsa_forward_progress 0
		.amdhsa_shared_vgpr_count 0
		.amdhsa_exception_fp_ieee_invalid_op 0
		.amdhsa_exception_fp_denorm_src 0
		.amdhsa_exception_fp_ieee_div_zero 0
		.amdhsa_exception_fp_ieee_overflow 0
		.amdhsa_exception_fp_ieee_underflow 0
		.amdhsa_exception_fp_ieee_inexact 0
		.amdhsa_exception_int_div_zero 0
	.end_amdhsa_kernel
	.section	.text._ZN9rocsparseL28csrmvn_lrb_short_rows_kernelIiiaaiiEEvbT_PT0_S3_jNS_24const_host_device_scalarIT4_EEPKS1_PKS2_PKT1_PKT2_S6_PT3_21rocsparse_index_base_b,"axG",@progbits,_ZN9rocsparseL28csrmvn_lrb_short_rows_kernelIiiaaiiEEvbT_PT0_S3_jNS_24const_host_device_scalarIT4_EEPKS1_PKS2_PKT1_PKT2_S6_PT3_21rocsparse_index_base_b,comdat
.Lfunc_end80:
	.size	_ZN9rocsparseL28csrmvn_lrb_short_rows_kernelIiiaaiiEEvbT_PT0_S3_jNS_24const_host_device_scalarIT4_EEPKS1_PKS2_PKT1_PKT2_S6_PT3_21rocsparse_index_base_b, .Lfunc_end80-_ZN9rocsparseL28csrmvn_lrb_short_rows_kernelIiiaaiiEEvbT_PT0_S3_jNS_24const_host_device_scalarIT4_EEPKS1_PKS2_PKT1_PKT2_S6_PT3_21rocsparse_index_base_b
                                        ; -- End function
	.section	.AMDGPU.csdata,"",@progbits
; Kernel info:
; codeLenInByte = 896
; NumSgprs: 25
; NumVgprs: 8
; ScratchSize: 0
; MemoryBound: 0
; FloatMode: 240
; IeeeMode: 1
; LDSByteSize: 0 bytes/workgroup (compile time only)
; SGPRBlocks: 3
; VGPRBlocks: 0
; NumSGPRsForWavesPerEU: 25
; NumVGPRsForWavesPerEU: 8
; Occupancy: 16
; WaveLimiterHint : 1
; COMPUTE_PGM_RSRC2:SCRATCH_EN: 0
; COMPUTE_PGM_RSRC2:USER_SGPR: 15
; COMPUTE_PGM_RSRC2:TRAP_HANDLER: 0
; COMPUTE_PGM_RSRC2:TGID_X_EN: 1
; COMPUTE_PGM_RSRC2:TGID_Y_EN: 0
; COMPUTE_PGM_RSRC2:TGID_Z_EN: 0
; COMPUTE_PGM_RSRC2:TIDIG_COMP_CNT: 0
	.section	.text._ZN9rocsparseL30csrmvn_lrb_short_rows_2_kernelIiiaaiiEEvbT_PT0_S3_jNS_24const_host_device_scalarIT4_EEPKS1_PKS2_PKT1_PKT2_S6_PT3_21rocsparse_index_base_b,"axG",@progbits,_ZN9rocsparseL30csrmvn_lrb_short_rows_2_kernelIiiaaiiEEvbT_PT0_S3_jNS_24const_host_device_scalarIT4_EEPKS1_PKS2_PKT1_PKT2_S6_PT3_21rocsparse_index_base_b,comdat
	.globl	_ZN9rocsparseL30csrmvn_lrb_short_rows_2_kernelIiiaaiiEEvbT_PT0_S3_jNS_24const_host_device_scalarIT4_EEPKS1_PKS2_PKT1_PKT2_S6_PT3_21rocsparse_index_base_b ; -- Begin function _ZN9rocsparseL30csrmvn_lrb_short_rows_2_kernelIiiaaiiEEvbT_PT0_S3_jNS_24const_host_device_scalarIT4_EEPKS1_PKS2_PKT1_PKT2_S6_PT3_21rocsparse_index_base_b
	.p2align	8
	.type	_ZN9rocsparseL30csrmvn_lrb_short_rows_2_kernelIiiaaiiEEvbT_PT0_S3_jNS_24const_host_device_scalarIT4_EEPKS1_PKS2_PKT1_PKT2_S6_PT3_21rocsparse_index_base_b,@function
_ZN9rocsparseL30csrmvn_lrb_short_rows_2_kernelIiiaaiiEEvbT_PT0_S3_jNS_24const_host_device_scalarIT4_EEPKS1_PKS2_PKT1_PKT2_S6_PT3_21rocsparse_index_base_b: ; @_ZN9rocsparseL30csrmvn_lrb_short_rows_2_kernelIiiaaiiEEvbT_PT0_S3_jNS_24const_host_device_scalarIT4_EEPKS1_PKS2_PKT1_PKT2_S6_PT3_21rocsparse_index_base_b
; %bb.0:
	s_clause 0x1
	s_load_b64 s[16:17], s[0:1], 0x58
	s_load_b64 s[4:5], s[0:1], 0x20
	s_mov_b32 s7, -1
	s_waitcnt lgkmcnt(0)
	s_bitcmp1_b32 s17, 0
                                        ; implicit-def: $sgpr17
	s_cselect_b32 s2, -1, 0
	s_delay_alu instid0(SALU_CYCLE_1) | instskip(NEXT) | instid1(SALU_CYCLE_1)
	s_xor_b32 s6, s2, -1
	s_and_b32 vcc_lo, exec_lo, s6
	s_cbranch_vccnz .LBB81_4
; %bb.1:
	s_load_b64 s[2:3], s[0:1], 0x48
	s_and_not1_b32 vcc_lo, exec_lo, s7
	s_cbranch_vccz .LBB81_5
.LBB81_2:
	s_and_b32 vcc_lo, exec_lo, s6
	s_cbranch_vccz .LBB81_6
.LBB81_3:
	s_waitcnt lgkmcnt(0)
	s_load_b32 s14, s[2:3], 0x0
	s_cbranch_execz .LBB81_7
	s_branch .LBB81_8
.LBB81_4:
	s_load_b32 s17, s[4:5], 0x0
	s_load_b64 s[2:3], s[0:1], 0x48
	s_cbranch_execnz .LBB81_2
.LBB81_5:
	s_waitcnt lgkmcnt(0)
	s_mov_b32 s17, s4
	s_and_b32 vcc_lo, exec_lo, s6
	s_cbranch_vccnz .LBB81_3
.LBB81_6:
	s_waitcnt lgkmcnt(0)
                                        ; implicit-def: $sgpr14
.LBB81_7:
	s_waitcnt lgkmcnt(0)
	s_mov_b32 s14, s2
.LBB81_8:
	s_cmp_lg_u32 s17, 0
	s_mov_b32 s13, 0
	s_cselect_b32 s2, -1, 0
	s_waitcnt lgkmcnt(0)
	s_cmp_lg_u32 s14, 1
	s_cselect_b32 s3, -1, 0
	s_delay_alu instid0(SALU_CYCLE_1) | instskip(NEXT) | instid1(SALU_CYCLE_1)
	s_or_b32 s2, s2, s3
	s_and_not1_b32 vcc_lo, exec_lo, s2
	s_cbranch_vccnz .LBB81_34
; %bb.9:
	s_clause 0x1
	s_load_b32 s12, s[0:1], 0x18
	s_load_b128 s[8:11], s[0:1], 0x8
	s_mov_b32 s5, s13
	s_waitcnt lgkmcnt(0)
	s_lshl_b64 s[2:3], s[12:13], 2
	v_lshrrev_b32_e32 v1, s12, v0
	s_add_u32 s2, s10, s2
	s_addc_u32 s3, s11, s3
	s_add_i32 s4, s12, 1
	v_bfe_u32 v6, v0, 0, s12
	s_lshl_b64 s[4:5], s[4:5], 2
	s_delay_alu instid0(SALU_CYCLE_1)
	s_add_u32 s4, s10, s4
	s_addc_u32 s5, s11, s5
	s_clause 0x1
	s_load_b32 s18, s[2:3], 0x0
	s_load_b32 s19, s[4:5], 0x0
	s_clause 0x1
	s_load_b64 s[10:11], s[0:1], 0x50
	s_load_b256 s[0:7], s[0:1], 0x28
	s_lshr_b32 s13, 0x400, s12
	v_subrev_nc_u32_e32 v5, s16, v6
	s_mul_i32 s15, s13, s15
	s_delay_alu instid0(SALU_CYCLE_1) | instskip(SKIP_3) | instid1(SALU_CYCLE_1)
	v_add_nc_u32_e32 v1, s15, v1
	s_add_i32 s20, s15, s13
	s_waitcnt lgkmcnt(0)
	s_sub_i32 s19, s19, s18
	s_min_u32 s19, s19, s20
	s_mov_b32 s20, exec_lo
	v_cmpx_gt_u32_e64 s19, v1
	s_cbranch_execz .LBB81_13
; %bb.10:
	v_dual_mov_b32 v2, 0 :: v_dual_add_nc_u32 v1, s18, v1
	s_mov_b32 s21, exec_lo
	s_delay_alu instid0(VALU_DEP_1) | instskip(NEXT) | instid1(VALU_DEP_1)
	v_lshlrev_b64 v[3:4], 2, v[1:2]
	v_add_co_u32 v3, vcc_lo, s8, v3
	s_delay_alu instid0(VALU_DEP_2) | instskip(SKIP_3) | instid1(VALU_DEP_1)
	v_add_co_ci_u32_e32 v4, vcc_lo, s9, v4, vcc_lo
	global_load_b32 v3, v[3:4], off
	s_waitcnt vmcnt(0)
	v_ashrrev_i32_e32 v4, 31, v3
	v_lshlrev_b64 v[3:4], 2, v[3:4]
	s_delay_alu instid0(VALU_DEP_1) | instskip(NEXT) | instid1(VALU_DEP_2)
	v_add_co_u32 v3, vcc_lo, s0, v3
	v_add_co_ci_u32_e32 v4, vcc_lo, s1, v4, vcc_lo
	global_load_b64 v[3:4], v[3:4], off
	s_waitcnt vmcnt(0)
	v_sub_nc_u32_e32 v1, v4, v3
	s_delay_alu instid0(VALU_DEP_1)
	v_cmpx_lt_u32_e64 v6, v1
	s_cbranch_execz .LBB81_12
; %bb.11:
	v_dual_mov_b32 v2, 0 :: v_dual_add_nc_u32 v1, v3, v5
	global_load_i8 v4, v1, s[4:5]
	v_lshlrev_b64 v[2:3], 2, v[1:2]
	s_delay_alu instid0(VALU_DEP_1) | instskip(NEXT) | instid1(VALU_DEP_2)
	v_add_co_u32 v2, vcc_lo, s2, v2
	v_add_co_ci_u32_e32 v3, vcc_lo, s3, v3, vcc_lo
	global_load_b32 v2, v[2:3], off
	s_waitcnt vmcnt(0)
	v_subrev_nc_u32_e32 v2, s16, v2
	s_delay_alu instid0(VALU_DEP_1) | instskip(SKIP_1) | instid1(VALU_DEP_2)
	v_ashrrev_i32_e32 v3, 31, v2
	v_add_co_u32 v1, vcc_lo, s6, v2
	v_add_co_ci_u32_e32 v2, vcc_lo, s7, v3, vcc_lo
	global_load_i8 v1, v[1:2], off
	v_mul_lo_u32 v2, s17, v4
	s_waitcnt vmcnt(0)
	s_delay_alu instid0(VALU_DEP_1)
	v_mul_lo_u32 v2, v2, v1
.LBB81_12:
	s_or_b32 exec_lo, exec_lo, s21
	v_lshlrev_b32_e32 v1, 2, v0
	ds_store_b32 v1, v2
.LBB81_13:
	s_or_b32 exec_lo, exec_lo, s20
	v_or_b32_e32 v1, 0x100, v0
	s_mov_b32 s20, exec_lo
	s_delay_alu instid0(VALU_DEP_1) | instskip(NEXT) | instid1(VALU_DEP_1)
	v_lshrrev_b32_e32 v1, s12, v1
	v_add_nc_u32_e32 v1, s15, v1
	s_delay_alu instid0(VALU_DEP_1)
	v_cmpx_gt_u32_e64 s19, v1
	s_cbranch_execz .LBB81_17
; %bb.14:
	v_dual_mov_b32 v2, 0 :: v_dual_add_nc_u32 v1, s18, v1
	s_mov_b32 s21, exec_lo
	s_delay_alu instid0(VALU_DEP_1) | instskip(NEXT) | instid1(VALU_DEP_1)
	v_lshlrev_b64 v[3:4], 2, v[1:2]
	v_add_co_u32 v3, vcc_lo, s8, v3
	s_delay_alu instid0(VALU_DEP_2) | instskip(SKIP_3) | instid1(VALU_DEP_1)
	v_add_co_ci_u32_e32 v4, vcc_lo, s9, v4, vcc_lo
	global_load_b32 v3, v[3:4], off
	s_waitcnt vmcnt(0)
	v_ashrrev_i32_e32 v4, 31, v3
	v_lshlrev_b64 v[3:4], 2, v[3:4]
	s_delay_alu instid0(VALU_DEP_1) | instskip(NEXT) | instid1(VALU_DEP_2)
	v_add_co_u32 v3, vcc_lo, s0, v3
	v_add_co_ci_u32_e32 v4, vcc_lo, s1, v4, vcc_lo
	global_load_b64 v[3:4], v[3:4], off
	s_waitcnt vmcnt(0)
	v_sub_nc_u32_e32 v1, v4, v3
	s_delay_alu instid0(VALU_DEP_1)
	v_cmpx_lt_u32_e64 v6, v1
	s_cbranch_execz .LBB81_16
; %bb.15:
	v_dual_mov_b32 v2, 0 :: v_dual_add_nc_u32 v1, v3, v5
	global_load_i8 v4, v1, s[4:5]
	v_lshlrev_b64 v[2:3], 2, v[1:2]
	s_delay_alu instid0(VALU_DEP_1) | instskip(NEXT) | instid1(VALU_DEP_2)
	v_add_co_u32 v2, vcc_lo, s2, v2
	v_add_co_ci_u32_e32 v3, vcc_lo, s3, v3, vcc_lo
	global_load_b32 v2, v[2:3], off
	s_waitcnt vmcnt(0)
	v_subrev_nc_u32_e32 v2, s16, v2
	s_delay_alu instid0(VALU_DEP_1) | instskip(SKIP_1) | instid1(VALU_DEP_2)
	v_ashrrev_i32_e32 v3, 31, v2
	v_add_co_u32 v1, vcc_lo, s6, v2
	v_add_co_ci_u32_e32 v2, vcc_lo, s7, v3, vcc_lo
	global_load_i8 v1, v[1:2], off
	v_mul_lo_u32 v2, s17, v4
	s_waitcnt vmcnt(0)
	s_delay_alu instid0(VALU_DEP_1)
	v_mul_lo_u32 v2, v2, v1
.LBB81_16:
	s_or_b32 exec_lo, exec_lo, s21
	v_lshlrev_b32_e32 v1, 2, v0
	ds_store_b32 v1, v2 offset:1024
.LBB81_17:
	s_or_b32 exec_lo, exec_lo, s20
	v_or_b32_e32 v1, 0x200, v0
	s_mov_b32 s20, exec_lo
	s_delay_alu instid0(VALU_DEP_1) | instskip(NEXT) | instid1(VALU_DEP_1)
	v_lshrrev_b32_e32 v1, s12, v1
	v_add_nc_u32_e32 v1, s15, v1
	s_delay_alu instid0(VALU_DEP_1)
	v_cmpx_gt_u32_e64 s19, v1
	s_cbranch_execz .LBB81_21
; %bb.18:
	v_dual_mov_b32 v2, 0 :: v_dual_add_nc_u32 v1, s18, v1
	s_mov_b32 s21, exec_lo
	s_delay_alu instid0(VALU_DEP_1) | instskip(NEXT) | instid1(VALU_DEP_1)
	v_lshlrev_b64 v[3:4], 2, v[1:2]
	v_add_co_u32 v3, vcc_lo, s8, v3
	s_delay_alu instid0(VALU_DEP_2) | instskip(SKIP_3) | instid1(VALU_DEP_1)
	v_add_co_ci_u32_e32 v4, vcc_lo, s9, v4, vcc_lo
	global_load_b32 v3, v[3:4], off
	s_waitcnt vmcnt(0)
	v_ashrrev_i32_e32 v4, 31, v3
	v_lshlrev_b64 v[3:4], 2, v[3:4]
	s_delay_alu instid0(VALU_DEP_1) | instskip(NEXT) | instid1(VALU_DEP_2)
	v_add_co_u32 v3, vcc_lo, s0, v3
	v_add_co_ci_u32_e32 v4, vcc_lo, s1, v4, vcc_lo
	global_load_b64 v[3:4], v[3:4], off
	s_waitcnt vmcnt(0)
	v_sub_nc_u32_e32 v1, v4, v3
	s_delay_alu instid0(VALU_DEP_1)
	v_cmpx_lt_u32_e64 v6, v1
	s_cbranch_execz .LBB81_20
; %bb.19:
	v_dual_mov_b32 v2, 0 :: v_dual_add_nc_u32 v1, v3, v5
	global_load_i8 v4, v1, s[4:5]
	v_lshlrev_b64 v[2:3], 2, v[1:2]
	s_delay_alu instid0(VALU_DEP_1) | instskip(NEXT) | instid1(VALU_DEP_2)
	v_add_co_u32 v2, vcc_lo, s2, v2
	v_add_co_ci_u32_e32 v3, vcc_lo, s3, v3, vcc_lo
	global_load_b32 v2, v[2:3], off
	s_waitcnt vmcnt(0)
	v_subrev_nc_u32_e32 v2, s16, v2
	s_delay_alu instid0(VALU_DEP_1) | instskip(SKIP_1) | instid1(VALU_DEP_2)
	v_ashrrev_i32_e32 v3, 31, v2
	v_add_co_u32 v1, vcc_lo, s6, v2
	v_add_co_ci_u32_e32 v2, vcc_lo, s7, v3, vcc_lo
	global_load_i8 v1, v[1:2], off
	v_mul_lo_u32 v2, s17, v4
	s_waitcnt vmcnt(0)
	s_delay_alu instid0(VALU_DEP_1)
	v_mul_lo_u32 v2, v2, v1
.LBB81_20:
	s_or_b32 exec_lo, exec_lo, s21
	v_lshlrev_b32_e32 v1, 2, v0
	ds_store_b32 v1, v2 offset:2048
.LBB81_21:
	s_or_b32 exec_lo, exec_lo, s20
	v_or_b32_e32 v1, 0x300, v0
	s_mov_b32 s20, exec_lo
	s_delay_alu instid0(VALU_DEP_1) | instskip(NEXT) | instid1(VALU_DEP_1)
	v_lshrrev_b32_e32 v1, s12, v1
	v_add_nc_u32_e32 v1, s15, v1
	s_delay_alu instid0(VALU_DEP_1)
	v_cmpx_gt_u32_e64 s19, v1
	s_cbranch_execz .LBB81_25
; %bb.22:
	v_dual_mov_b32 v2, 0 :: v_dual_add_nc_u32 v1, s18, v1
	s_delay_alu instid0(VALU_DEP_1) | instskip(NEXT) | instid1(VALU_DEP_1)
	v_lshlrev_b64 v[3:4], 2, v[1:2]
	v_add_co_u32 v3, vcc_lo, s8, v3
	s_delay_alu instid0(VALU_DEP_2) | instskip(SKIP_3) | instid1(VALU_DEP_1)
	v_add_co_ci_u32_e32 v4, vcc_lo, s9, v4, vcc_lo
	global_load_b32 v3, v[3:4], off
	s_waitcnt vmcnt(0)
	v_ashrrev_i32_e32 v4, 31, v3
	v_lshlrev_b64 v[3:4], 2, v[3:4]
	s_delay_alu instid0(VALU_DEP_1) | instskip(NEXT) | instid1(VALU_DEP_2)
	v_add_co_u32 v3, vcc_lo, s0, v3
	v_add_co_ci_u32_e32 v4, vcc_lo, s1, v4, vcc_lo
	s_mov_b32 s0, exec_lo
	global_load_b64 v[3:4], v[3:4], off
	s_waitcnt vmcnt(0)
	v_sub_nc_u32_e32 v1, v4, v3
	s_delay_alu instid0(VALU_DEP_1)
	v_cmpx_lt_u32_e64 v6, v1
	s_cbranch_execz .LBB81_24
; %bb.23:
	v_dual_mov_b32 v2, 0 :: v_dual_add_nc_u32 v1, v3, v5
	global_load_i8 v4, v1, s[4:5]
	v_lshlrev_b64 v[2:3], 2, v[1:2]
	s_delay_alu instid0(VALU_DEP_1) | instskip(NEXT) | instid1(VALU_DEP_2)
	v_add_co_u32 v2, vcc_lo, s2, v2
	v_add_co_ci_u32_e32 v3, vcc_lo, s3, v3, vcc_lo
	global_load_b32 v2, v[2:3], off
	s_waitcnt vmcnt(0)
	v_subrev_nc_u32_e32 v2, s16, v2
	s_delay_alu instid0(VALU_DEP_1) | instskip(SKIP_1) | instid1(VALU_DEP_2)
	v_ashrrev_i32_e32 v3, 31, v2
	v_add_co_u32 v1, vcc_lo, s6, v2
	v_add_co_ci_u32_e32 v2, vcc_lo, s7, v3, vcc_lo
	global_load_i8 v1, v[1:2], off
	v_mul_lo_u32 v2, s17, v4
	s_waitcnt vmcnt(0)
	s_delay_alu instid0(VALU_DEP_1)
	v_mul_lo_u32 v2, v2, v1
.LBB81_24:
	s_or_b32 exec_lo, exec_lo, s0
	v_lshlrev_b32_e32 v1, 2, v0
	ds_store_b32 v1, v2 offset:3072
.LBB81_25:
	s_or_b32 exec_lo, exec_lo, s20
	s_cmp_lt_u32 s12, 11
	s_waitcnt lgkmcnt(0)
	s_barrier
	buffer_gl0_inv
	s_cbranch_scc0 .LBB81_34
; %bb.26:
	s_sub_i32 s0, s19, s15
	s_add_i32 s18, s18, s15
	v_mov_b32_e32 v2, 0
	s_cmp_lg_u32 s14, 0
	s_mov_b32 s1, 0
	s_cselect_b32 s2, -1, 0
	s_set_inst_prefetch_distance 0x1
	s_branch .LBB81_29
	.p2align	6
.LBB81_27:                              ;   in Loop: Header=BB81_29 Depth=1
	s_delay_alu instid0(VALU_DEP_1) | instskip(NEXT) | instid1(VALU_DEP_2)
	v_add_co_u32 v3, vcc_lo, s10, v3
	v_add_co_ci_u32_e32 v4, vcc_lo, s11, v4, vcc_lo
	global_store_b32 v[3:4], v1, off
.LBB81_28:                              ;   in Loop: Header=BB81_29 Depth=1
	s_or_b32 exec_lo, exec_lo, s3
	s_addk_i32 s1, 0x100
	s_delay_alu instid0(SALU_CYCLE_1)
	s_cmp_lt_u32 s1, s13
	s_cbranch_scc0 .LBB81_34
.LBB81_29:                              ; =>This Loop Header: Depth=1
                                        ;     Child Loop BB81_31 Depth 2
	v_add_nc_u32_e32 v4, s1, v0
	s_mov_b32 s3, exec_lo
	s_delay_alu instid0(VALU_DEP_1)
	v_cmpx_gt_u32_e64 s0, v4
	s_cbranch_execz .LBB81_28
; %bb.30:                               ;   in Loop: Header=BB81_29 Depth=1
	v_add_nc_u32_e32 v1, s18, v4
	s_mov_b32 s4, 1
	s_delay_alu instid0(VALU_DEP_1) | instskip(SKIP_1) | instid1(VALU_DEP_1)
	v_lshlrev_b64 v[5:6], 2, v[1:2]
	v_lshlrev_b32_e32 v1, s12, v4
	v_dual_mov_b32 v1, 0 :: v_dual_lshlrev_b32 v4, 2, v1
	s_delay_alu instid0(VALU_DEP_3) | instskip(NEXT) | instid1(VALU_DEP_4)
	v_add_co_u32 v5, vcc_lo, s8, v5
	v_add_co_ci_u32_e32 v6, vcc_lo, s9, v6, vcc_lo
	global_load_b32 v3, v[5:6], off
.LBB81_31:                              ;   Parent Loop BB81_29 Depth=1
                                        ; =>  This Inner Loop Header: Depth=2
	ds_load_b32 v5, v4
	v_add_nc_u32_e32 v4, 4, v4
	s_lshr_b32 s5, s4, s12
	s_add_i32 s4, s4, 1
	s_cmp_lg_u32 s5, 0
	s_waitcnt lgkmcnt(0)
	v_add_nc_u32_e32 v1, v5, v1
	s_cbranch_scc0 .LBB81_31
; %bb.32:                               ;   in Loop: Header=BB81_29 Depth=1
	s_waitcnt vmcnt(0)
	v_ashrrev_i32_e32 v4, 31, v3
	s_and_b32 vcc_lo, exec_lo, s2
	s_delay_alu instid0(VALU_DEP_1)
	v_lshlrev_b64 v[3:4], 2, v[3:4]
	s_cbranch_vccz .LBB81_27
; %bb.33:                               ;   in Loop: Header=BB81_29 Depth=1
	s_delay_alu instid0(VALU_DEP_1) | instskip(NEXT) | instid1(VALU_DEP_2)
	v_add_co_u32 v5, vcc_lo, s10, v3
	v_add_co_ci_u32_e32 v6, vcc_lo, s11, v4, vcc_lo
	global_load_b32 v7, v[5:6], off
	s_waitcnt vmcnt(0)
	v_mad_u64_u32 v[5:6], null, v7, s14, v[1:2]
	s_delay_alu instid0(VALU_DEP_1)
	v_mov_b32_e32 v1, v5
	s_branch .LBB81_27
.LBB81_34:
	s_set_inst_prefetch_distance 0x2
	s_nop 0
	s_sendmsg sendmsg(MSG_DEALLOC_VGPRS)
	s_endpgm
	.section	.rodata,"a",@progbits
	.p2align	6, 0x0
	.amdhsa_kernel _ZN9rocsparseL30csrmvn_lrb_short_rows_2_kernelIiiaaiiEEvbT_PT0_S3_jNS_24const_host_device_scalarIT4_EEPKS1_PKS2_PKT1_PKT2_S6_PT3_21rocsparse_index_base_b
		.amdhsa_group_segment_fixed_size 4096
		.amdhsa_private_segment_fixed_size 0
		.amdhsa_kernarg_size 96
		.amdhsa_user_sgpr_count 15
		.amdhsa_user_sgpr_dispatch_ptr 0
		.amdhsa_user_sgpr_queue_ptr 0
		.amdhsa_user_sgpr_kernarg_segment_ptr 1
		.amdhsa_user_sgpr_dispatch_id 0
		.amdhsa_user_sgpr_private_segment_size 0
		.amdhsa_wavefront_size32 1
		.amdhsa_uses_dynamic_stack 0
		.amdhsa_enable_private_segment 0
		.amdhsa_system_sgpr_workgroup_id_x 1
		.amdhsa_system_sgpr_workgroup_id_y 0
		.amdhsa_system_sgpr_workgroup_id_z 0
		.amdhsa_system_sgpr_workgroup_info 0
		.amdhsa_system_vgpr_workitem_id 0
		.amdhsa_next_free_vgpr 8
		.amdhsa_next_free_sgpr 22
		.amdhsa_reserve_vcc 1
		.amdhsa_float_round_mode_32 0
		.amdhsa_float_round_mode_16_64 0
		.amdhsa_float_denorm_mode_32 3
		.amdhsa_float_denorm_mode_16_64 3
		.amdhsa_dx10_clamp 1
		.amdhsa_ieee_mode 1
		.amdhsa_fp16_overflow 0
		.amdhsa_workgroup_processor_mode 1
		.amdhsa_memory_ordered 1
		.amdhsa_forward_progress 0
		.amdhsa_shared_vgpr_count 0
		.amdhsa_exception_fp_ieee_invalid_op 0
		.amdhsa_exception_fp_denorm_src 0
		.amdhsa_exception_fp_ieee_div_zero 0
		.amdhsa_exception_fp_ieee_overflow 0
		.amdhsa_exception_fp_ieee_underflow 0
		.amdhsa_exception_fp_ieee_inexact 0
		.amdhsa_exception_int_div_zero 0
	.end_amdhsa_kernel
	.section	.text._ZN9rocsparseL30csrmvn_lrb_short_rows_2_kernelIiiaaiiEEvbT_PT0_S3_jNS_24const_host_device_scalarIT4_EEPKS1_PKS2_PKT1_PKT2_S6_PT3_21rocsparse_index_base_b,"axG",@progbits,_ZN9rocsparseL30csrmvn_lrb_short_rows_2_kernelIiiaaiiEEvbT_PT0_S3_jNS_24const_host_device_scalarIT4_EEPKS1_PKS2_PKT1_PKT2_S6_PT3_21rocsparse_index_base_b,comdat
.Lfunc_end81:
	.size	_ZN9rocsparseL30csrmvn_lrb_short_rows_2_kernelIiiaaiiEEvbT_PT0_S3_jNS_24const_host_device_scalarIT4_EEPKS1_PKS2_PKT1_PKT2_S6_PT3_21rocsparse_index_base_b, .Lfunc_end81-_ZN9rocsparseL30csrmvn_lrb_short_rows_2_kernelIiiaaiiEEvbT_PT0_S3_jNS_24const_host_device_scalarIT4_EEPKS1_PKS2_PKT1_PKT2_S6_PT3_21rocsparse_index_base_b
                                        ; -- End function
	.section	.AMDGPU.csdata,"",@progbits
; Kernel info:
; codeLenInByte = 1740
; NumSgprs: 24
; NumVgprs: 8
; ScratchSize: 0
; MemoryBound: 0
; FloatMode: 240
; IeeeMode: 1
; LDSByteSize: 4096 bytes/workgroup (compile time only)
; SGPRBlocks: 2
; VGPRBlocks: 0
; NumSGPRsForWavesPerEU: 24
; NumVGPRsForWavesPerEU: 8
; Occupancy: 16
; WaveLimiterHint : 1
; COMPUTE_PGM_RSRC2:SCRATCH_EN: 0
; COMPUTE_PGM_RSRC2:USER_SGPR: 15
; COMPUTE_PGM_RSRC2:TRAP_HANDLER: 0
; COMPUTE_PGM_RSRC2:TGID_X_EN: 1
; COMPUTE_PGM_RSRC2:TGID_Y_EN: 0
; COMPUTE_PGM_RSRC2:TGID_Z_EN: 0
; COMPUTE_PGM_RSRC2:TIDIG_COMP_CNT: 0
	.section	.text._ZN9rocsparseL41csrmvn_lrb_medium_rows_warp_reduce_kernelILj256ELj32EiiaaiiEEvbT1_lPT2_S3_jNS_24const_host_device_scalarIT6_EEPKS1_PKS2_PKT3_PKT4_S6_PT5_21rocsparse_index_base_b,"axG",@progbits,_ZN9rocsparseL41csrmvn_lrb_medium_rows_warp_reduce_kernelILj256ELj32EiiaaiiEEvbT1_lPT2_S3_jNS_24const_host_device_scalarIT6_EEPKS1_PKS2_PKT3_PKT4_S6_PT5_21rocsparse_index_base_b,comdat
	.globl	_ZN9rocsparseL41csrmvn_lrb_medium_rows_warp_reduce_kernelILj256ELj32EiiaaiiEEvbT1_lPT2_S3_jNS_24const_host_device_scalarIT6_EEPKS1_PKS2_PKT3_PKT4_S6_PT5_21rocsparse_index_base_b ; -- Begin function _ZN9rocsparseL41csrmvn_lrb_medium_rows_warp_reduce_kernelILj256ELj32EiiaaiiEEvbT1_lPT2_S3_jNS_24const_host_device_scalarIT6_EEPKS1_PKS2_PKT3_PKT4_S6_PT5_21rocsparse_index_base_b
	.p2align	8
	.type	_ZN9rocsparseL41csrmvn_lrb_medium_rows_warp_reduce_kernelILj256ELj32EiiaaiiEEvbT1_lPT2_S3_jNS_24const_host_device_scalarIT6_EEPKS1_PKS2_PKT3_PKT4_S6_PT5_21rocsparse_index_base_b,@function
_ZN9rocsparseL41csrmvn_lrb_medium_rows_warp_reduce_kernelILj256ELj32EiiaaiiEEvbT1_lPT2_S3_jNS_24const_host_device_scalarIT6_EEPKS1_PKS2_PKT3_PKT4_S6_PT5_21rocsparse_index_base_b: ; @_ZN9rocsparseL41csrmvn_lrb_medium_rows_warp_reduce_kernelILj256ELj32EiiaaiiEEvbT1_lPT2_S3_jNS_24const_host_device_scalarIT6_EEPKS1_PKS2_PKT3_PKT4_S6_PT5_21rocsparse_index_base_b
; %bb.0:
	s_clause 0x1
	s_load_b64 s[2:3], s[0:1], 0x60
	s_load_b64 s[6:7], s[0:1], 0x28
	s_mov_b32 s8, -1
                                        ; implicit-def: $sgpr12
	s_waitcnt lgkmcnt(0)
	s_bitcmp1_b32 s3, 0
	s_cselect_b32 s3, -1, 0
	s_delay_alu instid0(SALU_CYCLE_1) | instskip(NEXT) | instid1(SALU_CYCLE_1)
	s_xor_b32 s3, s3, -1
	s_and_b32 vcc_lo, exec_lo, s3
	s_cbranch_vccnz .LBB82_4
; %bb.1:
	s_load_b64 s[4:5], s[0:1], 0x50
	s_and_not1_b32 vcc_lo, exec_lo, s8
	s_cbranch_vccz .LBB82_5
.LBB82_2:
	s_and_b32 vcc_lo, exec_lo, s3
	s_cbranch_vccz .LBB82_6
.LBB82_3:
	s_waitcnt lgkmcnt(0)
	s_load_b32 s3, s[4:5], 0x0
	s_cbranch_execz .LBB82_7
	s_branch .LBB82_8
.LBB82_4:
	s_load_b32 s12, s[6:7], 0x0
	s_load_b64 s[4:5], s[0:1], 0x50
	s_cbranch_execnz .LBB82_2
.LBB82_5:
	s_waitcnt lgkmcnt(0)
	s_mov_b32 s12, s6
	s_and_b32 vcc_lo, exec_lo, s3
	s_cbranch_vccnz .LBB82_3
.LBB82_6:
	s_waitcnt lgkmcnt(0)
                                        ; implicit-def: $sgpr3
.LBB82_7:
	s_waitcnt lgkmcnt(0)
	s_mov_b32 s3, s4
.LBB82_8:
	s_cmp_lg_u32 s12, 0
	s_cselect_b32 s4, -1, 0
	s_waitcnt lgkmcnt(0)
	s_cmp_lg_u32 s3, 1
	s_cselect_b32 s5, -1, 0
	s_delay_alu instid0(SALU_CYCLE_1) | instskip(NEXT) | instid1(SALU_CYCLE_1)
	s_or_b32 s4, s4, s5
	s_and_not1_b32 vcc_lo, exec_lo, s4
	s_cbranch_vccnz .LBB82_18
; %bb.9:
	s_load_b64 s[4:5], s[0:1], 0x8
	v_lshrrev_b32_e32 v1, 5, v0
	s_delay_alu instid0(VALU_DEP_1) | instskip(NEXT) | instid1(VALU_DEP_1)
	v_lshl_or_b32 v1, s15, 3, v1
	v_ashrrev_i32_e32 v2, 31, v1
	s_waitcnt lgkmcnt(0)
	s_delay_alu instid0(VALU_DEP_1)
	v_cmp_gt_i64_e32 vcc_lo, s[4:5], v[1:2]
	s_and_saveexec_b32 s4, vcc_lo
	s_cbranch_execz .LBB82_18
; %bb.10:
	s_clause 0x1
	s_load_b32 s10, s[0:1], 0x20
	s_load_b128 s[4:7], s[0:1], 0x10
	s_mov_b32 s11, 0
	v_and_b32_e32 v5, 31, v0
	s_delay_alu instid0(VALU_DEP_1)
	v_subrev_nc_u32_e32 v0, s2, v5
	s_waitcnt lgkmcnt(0)
	s_lshl_b64 s[8:9], s[10:11], 2
	s_mov_b32 s10, exec_lo
	s_add_u32 s6, s6, s8
	s_addc_u32 s7, s7, s9
	s_load_b64 s[8:9], s[0:1], 0x58
	s_load_b32 s6, s[6:7], 0x0
	s_waitcnt lgkmcnt(0)
	v_add_nc_u32_e32 v1, s6, v1
	s_delay_alu instid0(VALU_DEP_1) | instskip(NEXT) | instid1(VALU_DEP_1)
	v_ashrrev_i32_e32 v2, 31, v1
	v_lshlrev_b64 v[1:2], 2, v[1:2]
	s_delay_alu instid0(VALU_DEP_1) | instskip(NEXT) | instid1(VALU_DEP_2)
	v_add_co_u32 v1, vcc_lo, s4, v1
	v_add_co_ci_u32_e32 v2, vcc_lo, s5, v2, vcc_lo
	s_load_b64 s[4:5], s[0:1], 0x30
	global_load_b32 v1, v[1:2], off
	s_waitcnt vmcnt(0)
	v_ashrrev_i32_e32 v2, 31, v1
	s_delay_alu instid0(VALU_DEP_1) | instskip(SKIP_1) | instid1(VALU_DEP_1)
	v_lshlrev_b64 v[1:2], 2, v[1:2]
	s_waitcnt lgkmcnt(0)
	v_add_co_u32 v3, vcc_lo, s4, v1
	s_delay_alu instid0(VALU_DEP_2) | instskip(SKIP_4) | instid1(VALU_DEP_1)
	v_add_co_ci_u32_e32 v4, vcc_lo, s5, v2, vcc_lo
	global_load_b64 v[3:4], v[3:4], off
	s_waitcnt vmcnt(0)
	v_subrev_nc_u32_e32 v6, s2, v4
	v_dual_mov_b32 v0, 0 :: v_dual_add_nc_u32 v3, v3, v0
	v_cmpx_lt_i32_e64 v3, v6
	s_cbranch_execz .LBB82_14
; %bb.11:
	s_clause 0x1
	s_load_b128 s[4:7], s[0:1], 0x38
	s_load_b64 s[0:1], s[0:1], 0x48
	v_mov_b32_e32 v0, 0
	.p2align	6
.LBB82_12:                              ; =>This Inner Loop Header: Depth=1
	v_ashrrev_i32_e32 v4, 31, v3
	s_delay_alu instid0(VALU_DEP_1) | instskip(SKIP_1) | instid1(VALU_DEP_1)
	v_lshlrev_b64 v[7:8], 2, v[3:4]
	s_waitcnt lgkmcnt(0)
	v_add_co_u32 v7, vcc_lo, s4, v7
	s_delay_alu instid0(VALU_DEP_2)
	v_add_co_ci_u32_e32 v8, vcc_lo, s5, v8, vcc_lo
	global_load_b32 v8, v[7:8], off
	v_add_co_u32 v7, vcc_lo, s6, v3
	s_waitcnt vmcnt(0)
	v_subrev_nc_u32_e32 v9, s2, v8
	v_add_co_ci_u32_e32 v8, vcc_lo, s7, v4, vcc_lo
	s_delay_alu instid0(VALU_DEP_2)
	v_ashrrev_i32_e32 v4, 31, v9
	global_load_i8 v10, v[7:8], off
	v_add_co_u32 v7, vcc_lo, s0, v9
	v_add_co_ci_u32_e32 v8, vcc_lo, s1, v4, vcc_lo
	global_load_i8 v4, v[7:8], off
	s_waitcnt vmcnt(1)
	v_mul_lo_u32 v9, s12, v10
	s_waitcnt vmcnt(0)
	s_delay_alu instid0(VALU_DEP_1) | instskip(NEXT) | instid1(VALU_DEP_1)
	v_mad_u64_u32 v[7:8], null, v9, v4, v[0:1]
	v_dual_mov_b32 v0, v7 :: v_dual_add_nc_u32 v3, 32, v3
	s_delay_alu instid0(VALU_DEP_1) | instskip(SKIP_1) | instid1(SALU_CYCLE_1)
	v_cmp_ge_i32_e32 vcc_lo, v3, v6
	s_or_b32 s11, vcc_lo, s11
	s_and_not1_b32 exec_lo, exec_lo, s11
	s_cbranch_execnz .LBB82_12
; %bb.13:
	s_or_b32 exec_lo, exec_lo, s11
.LBB82_14:
	s_delay_alu instid0(SALU_CYCLE_1) | instskip(SKIP_1) | instid1(VALU_DEP_1)
	s_or_b32 exec_lo, exec_lo, s10
	v_mbcnt_lo_u32_b32 v3, -1, 0
	v_xor_b32_e32 v4, 16, v3
	v_xor_b32_e32 v6, 8, v3
	s_delay_alu instid0(VALU_DEP_2) | instskip(SKIP_1) | instid1(VALU_DEP_3)
	v_cmp_gt_i32_e32 vcc_lo, 32, v4
	v_cndmask_b32_e32 v4, v3, v4, vcc_lo
	v_cmp_gt_i32_e32 vcc_lo, 32, v6
	s_delay_alu instid0(VALU_DEP_2)
	v_lshlrev_b32_e32 v4, 2, v4
	v_cndmask_b32_e32 v6, v3, v6, vcc_lo
	ds_bpermute_b32 v4, v4, v0
	v_lshlrev_b32_e32 v6, 2, v6
	s_waitcnt lgkmcnt(0)
	v_add_nc_u32_e32 v0, v4, v0
	ds_bpermute_b32 v4, v6, v0
	v_xor_b32_e32 v6, 4, v3
	s_delay_alu instid0(VALU_DEP_1) | instskip(SKIP_1) | instid1(VALU_DEP_1)
	v_cmp_gt_i32_e32 vcc_lo, 32, v6
	v_cndmask_b32_e32 v6, v3, v6, vcc_lo
	v_lshlrev_b32_e32 v6, 2, v6
	s_waitcnt lgkmcnt(0)
	v_add_nc_u32_e32 v0, v4, v0
	ds_bpermute_b32 v4, v6, v0
	v_xor_b32_e32 v6, 2, v3
	s_delay_alu instid0(VALU_DEP_1) | instskip(SKIP_1) | instid1(VALU_DEP_1)
	v_cmp_gt_i32_e32 vcc_lo, 32, v6
	v_cndmask_b32_e32 v6, v3, v6, vcc_lo
	v_lshlrev_b32_e32 v6, 2, v6
	s_waitcnt lgkmcnt(0)
	v_add_nc_u32_e32 v0, v4, v0
	ds_bpermute_b32 v4, v6, v0
	v_xor_b32_e32 v6, 1, v3
	s_delay_alu instid0(VALU_DEP_1) | instskip(SKIP_2) | instid1(VALU_DEP_2)
	v_cmp_gt_i32_e32 vcc_lo, 32, v6
	v_cndmask_b32_e32 v3, v3, v6, vcc_lo
	v_cmp_eq_u32_e32 vcc_lo, 31, v5
	v_lshlrev_b32_e32 v3, 2, v3
	s_waitcnt lgkmcnt(0)
	v_add_nc_u32_e32 v0, v4, v0
	ds_bpermute_b32 v3, v3, v0
	s_and_b32 exec_lo, exec_lo, vcc_lo
	s_cbranch_execz .LBB82_18
; %bb.15:
	s_waitcnt lgkmcnt(0)
	v_add_nc_u32_e32 v0, v3, v0
	s_cmp_eq_u32 s3, 0
	s_cbranch_scc1 .LBB82_17
; %bb.16:
	v_add_co_u32 v3, vcc_lo, s8, v1
	v_add_co_ci_u32_e32 v4, vcc_lo, s9, v2, vcc_lo
	global_load_b32 v5, v[3:4], off
	s_waitcnt vmcnt(0)
	v_mad_u64_u32 v[3:4], null, v5, s3, v[0:1]
	s_delay_alu instid0(VALU_DEP_1)
	v_mov_b32_e32 v0, v3
.LBB82_17:
	v_add_co_u32 v1, vcc_lo, s8, v1
	v_add_co_ci_u32_e32 v2, vcc_lo, s9, v2, vcc_lo
	global_store_b32 v[1:2], v0, off
.LBB82_18:
	s_nop 0
	s_sendmsg sendmsg(MSG_DEALLOC_VGPRS)
	s_endpgm
	.section	.rodata,"a",@progbits
	.p2align	6, 0x0
	.amdhsa_kernel _ZN9rocsparseL41csrmvn_lrb_medium_rows_warp_reduce_kernelILj256ELj32EiiaaiiEEvbT1_lPT2_S3_jNS_24const_host_device_scalarIT6_EEPKS1_PKS2_PKT3_PKT4_S6_PT5_21rocsparse_index_base_b
		.amdhsa_group_segment_fixed_size 0
		.amdhsa_private_segment_fixed_size 0
		.amdhsa_kernarg_size 104
		.amdhsa_user_sgpr_count 15
		.amdhsa_user_sgpr_dispatch_ptr 0
		.amdhsa_user_sgpr_queue_ptr 0
		.amdhsa_user_sgpr_kernarg_segment_ptr 1
		.amdhsa_user_sgpr_dispatch_id 0
		.amdhsa_user_sgpr_private_segment_size 0
		.amdhsa_wavefront_size32 1
		.amdhsa_uses_dynamic_stack 0
		.amdhsa_enable_private_segment 0
		.amdhsa_system_sgpr_workgroup_id_x 1
		.amdhsa_system_sgpr_workgroup_id_y 0
		.amdhsa_system_sgpr_workgroup_id_z 0
		.amdhsa_system_sgpr_workgroup_info 0
		.amdhsa_system_vgpr_workitem_id 0
		.amdhsa_next_free_vgpr 11
		.amdhsa_next_free_sgpr 16
		.amdhsa_reserve_vcc 1
		.amdhsa_float_round_mode_32 0
		.amdhsa_float_round_mode_16_64 0
		.amdhsa_float_denorm_mode_32 3
		.amdhsa_float_denorm_mode_16_64 3
		.amdhsa_dx10_clamp 1
		.amdhsa_ieee_mode 1
		.amdhsa_fp16_overflow 0
		.amdhsa_workgroup_processor_mode 1
		.amdhsa_memory_ordered 1
		.amdhsa_forward_progress 0
		.amdhsa_shared_vgpr_count 0
		.amdhsa_exception_fp_ieee_invalid_op 0
		.amdhsa_exception_fp_denorm_src 0
		.amdhsa_exception_fp_ieee_div_zero 0
		.amdhsa_exception_fp_ieee_overflow 0
		.amdhsa_exception_fp_ieee_underflow 0
		.amdhsa_exception_fp_ieee_inexact 0
		.amdhsa_exception_int_div_zero 0
	.end_amdhsa_kernel
	.section	.text._ZN9rocsparseL41csrmvn_lrb_medium_rows_warp_reduce_kernelILj256ELj32EiiaaiiEEvbT1_lPT2_S3_jNS_24const_host_device_scalarIT6_EEPKS1_PKS2_PKT3_PKT4_S6_PT5_21rocsparse_index_base_b,"axG",@progbits,_ZN9rocsparseL41csrmvn_lrb_medium_rows_warp_reduce_kernelILj256ELj32EiiaaiiEEvbT1_lPT2_S3_jNS_24const_host_device_scalarIT6_EEPKS1_PKS2_PKT3_PKT4_S6_PT5_21rocsparse_index_base_b,comdat
.Lfunc_end82:
	.size	_ZN9rocsparseL41csrmvn_lrb_medium_rows_warp_reduce_kernelILj256ELj32EiiaaiiEEvbT1_lPT2_S3_jNS_24const_host_device_scalarIT6_EEPKS1_PKS2_PKT3_PKT4_S6_PT5_21rocsparse_index_base_b, .Lfunc_end82-_ZN9rocsparseL41csrmvn_lrb_medium_rows_warp_reduce_kernelILj256ELj32EiiaaiiEEvbT1_lPT2_S3_jNS_24const_host_device_scalarIT6_EEPKS1_PKS2_PKT3_PKT4_S6_PT5_21rocsparse_index_base_b
                                        ; -- End function
	.section	.AMDGPU.csdata,"",@progbits
; Kernel info:
; codeLenInByte = 904
; NumSgprs: 18
; NumVgprs: 11
; ScratchSize: 0
; MemoryBound: 0
; FloatMode: 240
; IeeeMode: 1
; LDSByteSize: 0 bytes/workgroup (compile time only)
; SGPRBlocks: 2
; VGPRBlocks: 1
; NumSGPRsForWavesPerEU: 18
; NumVGPRsForWavesPerEU: 11
; Occupancy: 16
; WaveLimiterHint : 1
; COMPUTE_PGM_RSRC2:SCRATCH_EN: 0
; COMPUTE_PGM_RSRC2:USER_SGPR: 15
; COMPUTE_PGM_RSRC2:TRAP_HANDLER: 0
; COMPUTE_PGM_RSRC2:TGID_X_EN: 1
; COMPUTE_PGM_RSRC2:TGID_Y_EN: 0
; COMPUTE_PGM_RSRC2:TGID_Z_EN: 0
; COMPUTE_PGM_RSRC2:TIDIG_COMP_CNT: 0
	.section	.text._ZN9rocsparseL41csrmvn_lrb_medium_rows_warp_reduce_kernelILj256ELj64EiiaaiiEEvbT1_lPT2_S3_jNS_24const_host_device_scalarIT6_EEPKS1_PKS2_PKT3_PKT4_S6_PT5_21rocsparse_index_base_b,"axG",@progbits,_ZN9rocsparseL41csrmvn_lrb_medium_rows_warp_reduce_kernelILj256ELj64EiiaaiiEEvbT1_lPT2_S3_jNS_24const_host_device_scalarIT6_EEPKS1_PKS2_PKT3_PKT4_S6_PT5_21rocsparse_index_base_b,comdat
	.globl	_ZN9rocsparseL41csrmvn_lrb_medium_rows_warp_reduce_kernelILj256ELj64EiiaaiiEEvbT1_lPT2_S3_jNS_24const_host_device_scalarIT6_EEPKS1_PKS2_PKT3_PKT4_S6_PT5_21rocsparse_index_base_b ; -- Begin function _ZN9rocsparseL41csrmvn_lrb_medium_rows_warp_reduce_kernelILj256ELj64EiiaaiiEEvbT1_lPT2_S3_jNS_24const_host_device_scalarIT6_EEPKS1_PKS2_PKT3_PKT4_S6_PT5_21rocsparse_index_base_b
	.p2align	8
	.type	_ZN9rocsparseL41csrmvn_lrb_medium_rows_warp_reduce_kernelILj256ELj64EiiaaiiEEvbT1_lPT2_S3_jNS_24const_host_device_scalarIT6_EEPKS1_PKS2_PKT3_PKT4_S6_PT5_21rocsparse_index_base_b,@function
_ZN9rocsparseL41csrmvn_lrb_medium_rows_warp_reduce_kernelILj256ELj64EiiaaiiEEvbT1_lPT2_S3_jNS_24const_host_device_scalarIT6_EEPKS1_PKS2_PKT3_PKT4_S6_PT5_21rocsparse_index_base_b: ; @_ZN9rocsparseL41csrmvn_lrb_medium_rows_warp_reduce_kernelILj256ELj64EiiaaiiEEvbT1_lPT2_S3_jNS_24const_host_device_scalarIT6_EEPKS1_PKS2_PKT3_PKT4_S6_PT5_21rocsparse_index_base_b
; %bb.0:
	s_clause 0x1
	s_load_b64 s[2:3], s[0:1], 0x60
	s_load_b64 s[6:7], s[0:1], 0x28
	s_mov_b32 s8, -1
                                        ; implicit-def: $sgpr12
	s_waitcnt lgkmcnt(0)
	s_bitcmp1_b32 s3, 0
	s_cselect_b32 s3, -1, 0
	s_delay_alu instid0(SALU_CYCLE_1) | instskip(NEXT) | instid1(SALU_CYCLE_1)
	s_xor_b32 s3, s3, -1
	s_and_b32 vcc_lo, exec_lo, s3
	s_cbranch_vccnz .LBB83_4
; %bb.1:
	s_load_b64 s[4:5], s[0:1], 0x50
	s_and_not1_b32 vcc_lo, exec_lo, s8
	s_cbranch_vccz .LBB83_5
.LBB83_2:
	s_and_b32 vcc_lo, exec_lo, s3
	s_cbranch_vccz .LBB83_6
.LBB83_3:
	s_waitcnt lgkmcnt(0)
	s_load_b32 s3, s[4:5], 0x0
	s_cbranch_execz .LBB83_7
	s_branch .LBB83_8
.LBB83_4:
	s_load_b32 s12, s[6:7], 0x0
	s_load_b64 s[4:5], s[0:1], 0x50
	s_cbranch_execnz .LBB83_2
.LBB83_5:
	s_waitcnt lgkmcnt(0)
	s_mov_b32 s12, s6
	s_and_b32 vcc_lo, exec_lo, s3
	s_cbranch_vccnz .LBB83_3
.LBB83_6:
	s_waitcnt lgkmcnt(0)
                                        ; implicit-def: $sgpr3
.LBB83_7:
	s_waitcnt lgkmcnt(0)
	s_mov_b32 s3, s4
.LBB83_8:
	s_cmp_lg_u32 s12, 0
	s_cselect_b32 s4, -1, 0
	s_waitcnt lgkmcnt(0)
	s_cmp_lg_u32 s3, 1
	s_cselect_b32 s5, -1, 0
	s_delay_alu instid0(SALU_CYCLE_1) | instskip(NEXT) | instid1(SALU_CYCLE_1)
	s_or_b32 s4, s4, s5
	s_and_not1_b32 vcc_lo, exec_lo, s4
	s_cbranch_vccnz .LBB83_18
; %bb.9:
	s_load_b64 s[4:5], s[0:1], 0x8
	v_lshrrev_b32_e32 v1, 6, v0
	s_delay_alu instid0(VALU_DEP_1) | instskip(NEXT) | instid1(VALU_DEP_1)
	v_lshl_or_b32 v1, s15, 2, v1
	v_ashrrev_i32_e32 v2, 31, v1
	s_waitcnt lgkmcnt(0)
	s_delay_alu instid0(VALU_DEP_1)
	v_cmp_gt_i64_e32 vcc_lo, s[4:5], v[1:2]
	s_and_saveexec_b32 s4, vcc_lo
	s_cbranch_execz .LBB83_18
; %bb.10:
	s_clause 0x1
	s_load_b32 s10, s[0:1], 0x20
	s_load_b128 s[4:7], s[0:1], 0x10
	s_mov_b32 s11, 0
	v_and_b32_e32 v5, 63, v0
	s_delay_alu instid0(VALU_DEP_1)
	v_subrev_nc_u32_e32 v0, s2, v5
	s_waitcnt lgkmcnt(0)
	s_lshl_b64 s[8:9], s[10:11], 2
	s_mov_b32 s10, exec_lo
	s_add_u32 s6, s6, s8
	s_addc_u32 s7, s7, s9
	s_load_b64 s[8:9], s[0:1], 0x58
	s_load_b32 s6, s[6:7], 0x0
	s_waitcnt lgkmcnt(0)
	v_add_nc_u32_e32 v1, s6, v1
	s_delay_alu instid0(VALU_DEP_1) | instskip(NEXT) | instid1(VALU_DEP_1)
	v_ashrrev_i32_e32 v2, 31, v1
	v_lshlrev_b64 v[1:2], 2, v[1:2]
	s_delay_alu instid0(VALU_DEP_1) | instskip(NEXT) | instid1(VALU_DEP_2)
	v_add_co_u32 v1, vcc_lo, s4, v1
	v_add_co_ci_u32_e32 v2, vcc_lo, s5, v2, vcc_lo
	s_load_b64 s[4:5], s[0:1], 0x30
	global_load_b32 v1, v[1:2], off
	s_waitcnt vmcnt(0)
	v_ashrrev_i32_e32 v2, 31, v1
	s_delay_alu instid0(VALU_DEP_1) | instskip(SKIP_1) | instid1(VALU_DEP_1)
	v_lshlrev_b64 v[1:2], 2, v[1:2]
	s_waitcnt lgkmcnt(0)
	v_add_co_u32 v3, vcc_lo, s4, v1
	s_delay_alu instid0(VALU_DEP_2) | instskip(SKIP_4) | instid1(VALU_DEP_1)
	v_add_co_ci_u32_e32 v4, vcc_lo, s5, v2, vcc_lo
	global_load_b64 v[3:4], v[3:4], off
	s_waitcnt vmcnt(0)
	v_subrev_nc_u32_e32 v6, s2, v4
	v_dual_mov_b32 v0, 0 :: v_dual_add_nc_u32 v3, v3, v0
	v_cmpx_lt_i32_e64 v3, v6
	s_cbranch_execz .LBB83_14
; %bb.11:
	s_clause 0x1
	s_load_b128 s[4:7], s[0:1], 0x38
	s_load_b64 s[0:1], s[0:1], 0x48
	v_mov_b32_e32 v0, 0
	.p2align	6
.LBB83_12:                              ; =>This Inner Loop Header: Depth=1
	v_ashrrev_i32_e32 v4, 31, v3
	s_delay_alu instid0(VALU_DEP_1) | instskip(SKIP_1) | instid1(VALU_DEP_1)
	v_lshlrev_b64 v[7:8], 2, v[3:4]
	s_waitcnt lgkmcnt(0)
	v_add_co_u32 v7, vcc_lo, s4, v7
	s_delay_alu instid0(VALU_DEP_2)
	v_add_co_ci_u32_e32 v8, vcc_lo, s5, v8, vcc_lo
	global_load_b32 v8, v[7:8], off
	v_add_co_u32 v7, vcc_lo, s6, v3
	s_waitcnt vmcnt(0)
	v_subrev_nc_u32_e32 v9, s2, v8
	v_add_co_ci_u32_e32 v8, vcc_lo, s7, v4, vcc_lo
	s_delay_alu instid0(VALU_DEP_2)
	v_ashrrev_i32_e32 v4, 31, v9
	global_load_i8 v10, v[7:8], off
	v_add_co_u32 v7, vcc_lo, s0, v9
	v_add_co_ci_u32_e32 v8, vcc_lo, s1, v4, vcc_lo
	global_load_i8 v4, v[7:8], off
	s_waitcnt vmcnt(1)
	v_mul_lo_u32 v9, s12, v10
	s_waitcnt vmcnt(0)
	s_delay_alu instid0(VALU_DEP_1) | instskip(NEXT) | instid1(VALU_DEP_1)
	v_mad_u64_u32 v[7:8], null, v9, v4, v[0:1]
	v_dual_mov_b32 v0, v7 :: v_dual_add_nc_u32 v3, 64, v3
	s_delay_alu instid0(VALU_DEP_1) | instskip(SKIP_1) | instid1(SALU_CYCLE_1)
	v_cmp_ge_i32_e32 vcc_lo, v3, v6
	s_or_b32 s11, vcc_lo, s11
	s_and_not1_b32 exec_lo, exec_lo, s11
	s_cbranch_execnz .LBB83_12
; %bb.13:
	s_or_b32 exec_lo, exec_lo, s11
.LBB83_14:
	s_delay_alu instid0(SALU_CYCLE_1) | instskip(SKIP_1) | instid1(VALU_DEP_1)
	s_or_b32 exec_lo, exec_lo, s10
	v_mbcnt_lo_u32_b32 v3, -1, 0
	v_or_b32_e32 v4, 32, v3
	v_xor_b32_e32 v6, 16, v3
	s_delay_alu instid0(VALU_DEP_2) | instskip(SKIP_1) | instid1(VALU_DEP_3)
	v_cmp_gt_i32_e32 vcc_lo, 32, v4
	v_cndmask_b32_e32 v4, v3, v4, vcc_lo
	v_cmp_gt_i32_e32 vcc_lo, 32, v6
	s_delay_alu instid0(VALU_DEP_2)
	v_lshlrev_b32_e32 v4, 2, v4
	v_cndmask_b32_e32 v6, v3, v6, vcc_lo
	ds_bpermute_b32 v4, v4, v0
	v_lshlrev_b32_e32 v6, 2, v6
	s_waitcnt lgkmcnt(0)
	v_add_nc_u32_e32 v0, v4, v0
	ds_bpermute_b32 v4, v6, v0
	v_xor_b32_e32 v6, 8, v3
	s_delay_alu instid0(VALU_DEP_1) | instskip(SKIP_1) | instid1(VALU_DEP_1)
	v_cmp_gt_i32_e32 vcc_lo, 32, v6
	v_cndmask_b32_e32 v6, v3, v6, vcc_lo
	v_lshlrev_b32_e32 v6, 2, v6
	s_waitcnt lgkmcnt(0)
	v_add_nc_u32_e32 v0, v4, v0
	ds_bpermute_b32 v4, v6, v0
	v_xor_b32_e32 v6, 4, v3
	s_delay_alu instid0(VALU_DEP_1) | instskip(SKIP_1) | instid1(VALU_DEP_1)
	v_cmp_gt_i32_e32 vcc_lo, 32, v6
	v_cndmask_b32_e32 v6, v3, v6, vcc_lo
	;; [unrolled: 8-line block ×3, first 2 shown]
	v_lshlrev_b32_e32 v6, 2, v6
	s_waitcnt lgkmcnt(0)
	v_add_nc_u32_e32 v0, v4, v0
	ds_bpermute_b32 v4, v6, v0
	v_xor_b32_e32 v6, 1, v3
	s_delay_alu instid0(VALU_DEP_1) | instskip(SKIP_2) | instid1(VALU_DEP_2)
	v_cmp_gt_i32_e32 vcc_lo, 32, v6
	v_cndmask_b32_e32 v3, v3, v6, vcc_lo
	v_cmp_eq_u32_e32 vcc_lo, 63, v5
	v_lshlrev_b32_e32 v3, 2, v3
	s_waitcnt lgkmcnt(0)
	v_add_nc_u32_e32 v0, v4, v0
	ds_bpermute_b32 v3, v3, v0
	s_and_b32 exec_lo, exec_lo, vcc_lo
	s_cbranch_execz .LBB83_18
; %bb.15:
	s_waitcnt lgkmcnt(0)
	v_add_nc_u32_e32 v0, v3, v0
	s_cmp_eq_u32 s3, 0
	s_cbranch_scc1 .LBB83_17
; %bb.16:
	v_add_co_u32 v3, vcc_lo, s8, v1
	v_add_co_ci_u32_e32 v4, vcc_lo, s9, v2, vcc_lo
	global_load_b32 v5, v[3:4], off
	s_waitcnt vmcnt(0)
	v_mad_u64_u32 v[3:4], null, v5, s3, v[0:1]
	s_delay_alu instid0(VALU_DEP_1)
	v_mov_b32_e32 v0, v3
.LBB83_17:
	v_add_co_u32 v1, vcc_lo, s8, v1
	v_add_co_ci_u32_e32 v2, vcc_lo, s9, v2, vcc_lo
	global_store_b32 v[1:2], v0, off
.LBB83_18:
	s_nop 0
	s_sendmsg sendmsg(MSG_DEALLOC_VGPRS)
	s_endpgm
	.section	.rodata,"a",@progbits
	.p2align	6, 0x0
	.amdhsa_kernel _ZN9rocsparseL41csrmvn_lrb_medium_rows_warp_reduce_kernelILj256ELj64EiiaaiiEEvbT1_lPT2_S3_jNS_24const_host_device_scalarIT6_EEPKS1_PKS2_PKT3_PKT4_S6_PT5_21rocsparse_index_base_b
		.amdhsa_group_segment_fixed_size 0
		.amdhsa_private_segment_fixed_size 0
		.amdhsa_kernarg_size 104
		.amdhsa_user_sgpr_count 15
		.amdhsa_user_sgpr_dispatch_ptr 0
		.amdhsa_user_sgpr_queue_ptr 0
		.amdhsa_user_sgpr_kernarg_segment_ptr 1
		.amdhsa_user_sgpr_dispatch_id 0
		.amdhsa_user_sgpr_private_segment_size 0
		.amdhsa_wavefront_size32 1
		.amdhsa_uses_dynamic_stack 0
		.amdhsa_enable_private_segment 0
		.amdhsa_system_sgpr_workgroup_id_x 1
		.amdhsa_system_sgpr_workgroup_id_y 0
		.amdhsa_system_sgpr_workgroup_id_z 0
		.amdhsa_system_sgpr_workgroup_info 0
		.amdhsa_system_vgpr_workitem_id 0
		.amdhsa_next_free_vgpr 11
		.amdhsa_next_free_sgpr 16
		.amdhsa_reserve_vcc 1
		.amdhsa_float_round_mode_32 0
		.amdhsa_float_round_mode_16_64 0
		.amdhsa_float_denorm_mode_32 3
		.amdhsa_float_denorm_mode_16_64 3
		.amdhsa_dx10_clamp 1
		.amdhsa_ieee_mode 1
		.amdhsa_fp16_overflow 0
		.amdhsa_workgroup_processor_mode 1
		.amdhsa_memory_ordered 1
		.amdhsa_forward_progress 0
		.amdhsa_shared_vgpr_count 0
		.amdhsa_exception_fp_ieee_invalid_op 0
		.amdhsa_exception_fp_denorm_src 0
		.amdhsa_exception_fp_ieee_div_zero 0
		.amdhsa_exception_fp_ieee_overflow 0
		.amdhsa_exception_fp_ieee_underflow 0
		.amdhsa_exception_fp_ieee_inexact 0
		.amdhsa_exception_int_div_zero 0
	.end_amdhsa_kernel
	.section	.text._ZN9rocsparseL41csrmvn_lrb_medium_rows_warp_reduce_kernelILj256ELj64EiiaaiiEEvbT1_lPT2_S3_jNS_24const_host_device_scalarIT6_EEPKS1_PKS2_PKT3_PKT4_S6_PT5_21rocsparse_index_base_b,"axG",@progbits,_ZN9rocsparseL41csrmvn_lrb_medium_rows_warp_reduce_kernelILj256ELj64EiiaaiiEEvbT1_lPT2_S3_jNS_24const_host_device_scalarIT6_EEPKS1_PKS2_PKT3_PKT4_S6_PT5_21rocsparse_index_base_b,comdat
.Lfunc_end83:
	.size	_ZN9rocsparseL41csrmvn_lrb_medium_rows_warp_reduce_kernelILj256ELj64EiiaaiiEEvbT1_lPT2_S3_jNS_24const_host_device_scalarIT6_EEPKS1_PKS2_PKT3_PKT4_S6_PT5_21rocsparse_index_base_b, .Lfunc_end83-_ZN9rocsparseL41csrmvn_lrb_medium_rows_warp_reduce_kernelILj256ELj64EiiaaiiEEvbT1_lPT2_S3_jNS_24const_host_device_scalarIT6_EEPKS1_PKS2_PKT3_PKT4_S6_PT5_21rocsparse_index_base_b
                                        ; -- End function
	.section	.AMDGPU.csdata,"",@progbits
; Kernel info:
; codeLenInByte = 940
; NumSgprs: 18
; NumVgprs: 11
; ScratchSize: 0
; MemoryBound: 0
; FloatMode: 240
; IeeeMode: 1
; LDSByteSize: 0 bytes/workgroup (compile time only)
; SGPRBlocks: 2
; VGPRBlocks: 1
; NumSGPRsForWavesPerEU: 18
; NumVGPRsForWavesPerEU: 11
; Occupancy: 16
; WaveLimiterHint : 1
; COMPUTE_PGM_RSRC2:SCRATCH_EN: 0
; COMPUTE_PGM_RSRC2:USER_SGPR: 15
; COMPUTE_PGM_RSRC2:TRAP_HANDLER: 0
; COMPUTE_PGM_RSRC2:TGID_X_EN: 1
; COMPUTE_PGM_RSRC2:TGID_Y_EN: 0
; COMPUTE_PGM_RSRC2:TGID_Z_EN: 0
; COMPUTE_PGM_RSRC2:TIDIG_COMP_CNT: 0
	.section	.text._ZN9rocsparseL29csrmvn_lrb_medium_rows_kernelILj256EiiaaiiEEvbT0_PT1_S3_jNS_24const_host_device_scalarIT5_EEPKS1_PKS2_PKT2_PKT3_S6_PT4_21rocsparse_index_base_b,"axG",@progbits,_ZN9rocsparseL29csrmvn_lrb_medium_rows_kernelILj256EiiaaiiEEvbT0_PT1_S3_jNS_24const_host_device_scalarIT5_EEPKS1_PKS2_PKT2_PKT3_S6_PT4_21rocsparse_index_base_b,comdat
	.globl	_ZN9rocsparseL29csrmvn_lrb_medium_rows_kernelILj256EiiaaiiEEvbT0_PT1_S3_jNS_24const_host_device_scalarIT5_EEPKS1_PKS2_PKT2_PKT3_S6_PT4_21rocsparse_index_base_b ; -- Begin function _ZN9rocsparseL29csrmvn_lrb_medium_rows_kernelILj256EiiaaiiEEvbT0_PT1_S3_jNS_24const_host_device_scalarIT5_EEPKS1_PKS2_PKT2_PKT3_S6_PT4_21rocsparse_index_base_b
	.p2align	8
	.type	_ZN9rocsparseL29csrmvn_lrb_medium_rows_kernelILj256EiiaaiiEEvbT0_PT1_S3_jNS_24const_host_device_scalarIT5_EEPKS1_PKS2_PKT2_PKT3_S6_PT4_21rocsparse_index_base_b,@function
_ZN9rocsparseL29csrmvn_lrb_medium_rows_kernelILj256EiiaaiiEEvbT0_PT1_S3_jNS_24const_host_device_scalarIT5_EEPKS1_PKS2_PKT2_PKT3_S6_PT4_21rocsparse_index_base_b: ; @_ZN9rocsparseL29csrmvn_lrb_medium_rows_kernelILj256EiiaaiiEEvbT0_PT1_S3_jNS_24const_host_device_scalarIT5_EEPKS1_PKS2_PKT2_PKT3_S6_PT4_21rocsparse_index_base_b
; %bb.0:
	s_clause 0x1
	s_load_b64 s[10:11], s[0:1], 0x58
	s_load_b64 s[4:5], s[0:1], 0x20
	s_mov_b32 s7, -1
                                        ; implicit-def: $sgpr12
	s_waitcnt lgkmcnt(0)
	s_bitcmp1_b32 s11, 0
	s_cselect_b32 s2, -1, 0
	s_delay_alu instid0(SALU_CYCLE_1) | instskip(NEXT) | instid1(SALU_CYCLE_1)
	s_xor_b32 s6, s2, -1
	s_and_b32 vcc_lo, exec_lo, s6
	s_cbranch_vccnz .LBB84_4
; %bb.1:
	s_load_b64 s[2:3], s[0:1], 0x48
	s_and_not1_b32 vcc_lo, exec_lo, s7
	s_cbranch_vccz .LBB84_5
.LBB84_2:
	s_and_b32 vcc_lo, exec_lo, s6
	s_cbranch_vccz .LBB84_6
.LBB84_3:
	s_waitcnt lgkmcnt(0)
	s_load_b32 s11, s[2:3], 0x0
	s_cbranch_execz .LBB84_7
	s_branch .LBB84_8
.LBB84_4:
	s_load_b32 s12, s[4:5], 0x0
	s_load_b64 s[2:3], s[0:1], 0x48
	s_cbranch_execnz .LBB84_2
.LBB84_5:
	s_waitcnt lgkmcnt(0)
	s_mov_b32 s12, s4
	s_and_b32 vcc_lo, exec_lo, s6
	s_cbranch_vccnz .LBB84_3
.LBB84_6:
	s_waitcnt lgkmcnt(0)
                                        ; implicit-def: $sgpr11
.LBB84_7:
	s_waitcnt lgkmcnt(0)
	s_mov_b32 s11, s2
.LBB84_8:
	s_cmp_lg_u32 s12, 0
	s_cselect_b32 s2, -1, 0
	s_waitcnt lgkmcnt(0)
	s_cmp_lg_u32 s11, 1
	s_cselect_b32 s3, -1, 0
	s_delay_alu instid0(SALU_CYCLE_1)
	s_or_b32 s2, s2, s3
	s_mov_b32 s3, 0
	s_and_not1_b32 vcc_lo, exec_lo, s2
	s_cbranch_vccnz .LBB84_33
; %bb.9:
	s_clause 0x1
	s_load_b32 s2, s[0:1], 0x18
	s_load_b128 s[4:7], s[0:1], 0x8
	v_subrev_nc_u32_e32 v1, s10, v0
	s_mov_b32 s13, exec_lo
	s_waitcnt lgkmcnt(0)
	s_lshl_b64 s[2:3], s[2:3], 2
	s_delay_alu instid0(SALU_CYCLE_1) | instskip(SKIP_4) | instid1(SALU_CYCLE_1)
	s_add_u32 s2, s6, s2
	s_addc_u32 s3, s7, s3
	s_load_b32 s2, s[2:3], 0x0
	s_waitcnt lgkmcnt(0)
	s_add_i32 s2, s2, s15
	s_ashr_i32 s3, s2, 31
	s_delay_alu instid0(SALU_CYCLE_1) | instskip(NEXT) | instid1(SALU_CYCLE_1)
	s_lshl_b64 s[2:3], s[2:3], 2
	s_add_u32 s2, s4, s2
	s_addc_u32 s3, s5, s3
	s_load_b32 s2, s[2:3], 0x0
	s_load_b64 s[4:5], s[0:1], 0x28
	s_waitcnt lgkmcnt(0)
	s_ashr_i32 s3, s2, 31
	s_delay_alu instid0(SALU_CYCLE_1) | instskip(NEXT) | instid1(SALU_CYCLE_1)
	s_lshl_b64 s[2:3], s[2:3], 2
	s_add_u32 s4, s4, s2
	s_addc_u32 s5, s5, s3
	s_load_b64 s[4:5], s[4:5], 0x0
	s_load_b64 s[8:9], s[0:1], 0x50
	s_waitcnt lgkmcnt(0)
	v_dual_mov_b32 v1, 0 :: v_dual_add_nc_u32 v2, s4, v1
	s_sub_i32 s14, s5, s10
	s_delay_alu instid0(VALU_DEP_1) | instid1(SALU_CYCLE_1)
	v_cmpx_gt_i32_e64 s14, v2
	s_cbranch_execz .LBB84_13
; %bb.10:
	s_clause 0x1
	s_load_b128 s[4:7], s[0:1], 0x30
	s_load_b64 s[0:1], s[0:1], 0x40
	v_mov_b32_e32 v1, 0
	s_mov_b32 s15, 0
	.p2align	6
.LBB84_11:                              ; =>This Inner Loop Header: Depth=1
	v_ashrrev_i32_e32 v3, 31, v2
	s_delay_alu instid0(VALU_DEP_1) | instskip(SKIP_1) | instid1(VALU_DEP_1)
	v_lshlrev_b64 v[4:5], 2, v[2:3]
	s_waitcnt lgkmcnt(0)
	v_add_co_u32 v4, vcc_lo, s4, v4
	s_delay_alu instid0(VALU_DEP_2)
	v_add_co_ci_u32_e32 v5, vcc_lo, s5, v5, vcc_lo
	global_load_b32 v5, v[4:5], off
	v_add_co_u32 v4, vcc_lo, s6, v2
	v_add_nc_u32_e32 v2, 0x100, v2
	s_waitcnt vmcnt(0)
	v_subrev_nc_u32_e32 v6, s10, v5
	v_add_co_ci_u32_e32 v5, vcc_lo, s7, v3, vcc_lo
	s_delay_alu instid0(VALU_DEP_2)
	v_ashrrev_i32_e32 v7, 31, v6
	global_load_i8 v5, v[4:5], off
	v_add_co_u32 v3, vcc_lo, s0, v6
	v_add_co_ci_u32_e32 v4, vcc_lo, s1, v7, vcc_lo
	global_load_i8 v6, v[3:4], off
	s_waitcnt vmcnt(1)
	v_mul_lo_u32 v5, s12, v5
	s_waitcnt vmcnt(0)
	s_delay_alu instid0(VALU_DEP_1) | instskip(NEXT) | instid1(VALU_DEP_1)
	v_mad_u64_u32 v[3:4], null, v5, v6, v[1:2]
	v_mov_b32_e32 v1, v3
	v_cmp_le_i32_e32 vcc_lo, s14, v2
	s_or_b32 s15, vcc_lo, s15
	s_delay_alu instid0(SALU_CYCLE_1)
	s_and_not1_b32 exec_lo, exec_lo, s15
	s_cbranch_execnz .LBB84_11
; %bb.12:
	s_or_b32 exec_lo, exec_lo, s15
.LBB84_13:
	s_delay_alu instid0(SALU_CYCLE_1)
	s_or_b32 exec_lo, exec_lo, s13
	v_lshlrev_b32_e32 v2, 2, v0
	s_mov_b32 s0, exec_lo
	ds_store_b32 v2, v1
	s_waitcnt lgkmcnt(0)
	s_barrier
	buffer_gl0_inv
	v_cmpx_gt_u32_e32 0x80, v0
	s_cbranch_execz .LBB84_15
; %bb.14:
	ds_load_2addr_stride64_b32 v[3:4], v2 offset1:2
	s_waitcnt lgkmcnt(0)
	v_add_nc_u32_e32 v1, v4, v3
	ds_store_b32 v2, v1
.LBB84_15:
	s_or_b32 exec_lo, exec_lo, s0
	s_delay_alu instid0(SALU_CYCLE_1)
	s_mov_b32 s0, exec_lo
	s_waitcnt lgkmcnt(0)
	s_barrier
	buffer_gl0_inv
	v_cmpx_gt_u32_e32 64, v0
	s_cbranch_execz .LBB84_17
; %bb.16:
	ds_load_2addr_stride64_b32 v[3:4], v2 offset1:1
	s_waitcnt lgkmcnt(0)
	v_add_nc_u32_e32 v1, v4, v3
	ds_store_b32 v2, v1
.LBB84_17:
	s_or_b32 exec_lo, exec_lo, s0
	s_delay_alu instid0(SALU_CYCLE_1)
	s_mov_b32 s0, exec_lo
	s_waitcnt lgkmcnt(0)
	s_barrier
	buffer_gl0_inv
	v_cmpx_gt_u32_e32 32, v0
	s_cbranch_execz .LBB84_19
; %bb.18:
	ds_load_2addr_b32 v[3:4], v2 offset1:32
	s_waitcnt lgkmcnt(0)
	v_add_nc_u32_e32 v1, v4, v3
	ds_store_b32 v2, v1
.LBB84_19:
	s_or_b32 exec_lo, exec_lo, s0
	s_delay_alu instid0(SALU_CYCLE_1)
	s_mov_b32 s0, exec_lo
	s_waitcnt lgkmcnt(0)
	s_barrier
	buffer_gl0_inv
	v_cmpx_gt_u32_e32 16, v0
	s_cbranch_execz .LBB84_21
; %bb.20:
	ds_load_2addr_b32 v[3:4], v2 offset1:16
	s_waitcnt lgkmcnt(0)
	v_add_nc_u32_e32 v1, v4, v3
	ds_store_b32 v2, v1
.LBB84_21:
	;; [unrolled: 14-line block ×5, first 2 shown]
	s_or_b32 exec_lo, exec_lo, s0
	v_cmp_eq_u32_e32 vcc_lo, 0, v0
	s_waitcnt lgkmcnt(0)
	s_barrier
	buffer_gl0_inv
	s_and_saveexec_b32 s0, vcc_lo
	s_cbranch_execz .LBB84_29
; %bb.28:
	v_mov_b32_e32 v2, 0
	ds_load_b64 v[0:1], v2
	s_waitcnt lgkmcnt(0)
	v_add_nc_u32_e32 v0, v1, v0
	ds_store_b32 v2, v0
.LBB84_29:
	s_or_b32 exec_lo, exec_lo, s0
	s_waitcnt lgkmcnt(0)
	s_barrier
	buffer_gl0_inv
	s_and_saveexec_b32 s0, vcc_lo
	s_cbranch_execz .LBB84_33
; %bb.30:
	v_mov_b32_e32 v0, 0
	s_cmp_eq_u32 s11, 0
	ds_load_b32 v1, v0
	s_cbranch_scc1 .LBB84_32
; %bb.31:
	s_add_u32 s0, s8, s2
	s_addc_u32 s1, s9, s3
	s_load_b32 s0, s[0:1], 0x0
	s_waitcnt lgkmcnt(0)
	s_mul_i32 s0, s0, s11
	s_delay_alu instid0(SALU_CYCLE_1)
	v_add_nc_u32_e32 v1, s0, v1
.LBB84_32:
	s_add_u32 s0, s8, s2
	s_addc_u32 s1, s9, s3
	s_waitcnt lgkmcnt(0)
	global_store_b32 v0, v1, s[0:1]
.LBB84_33:
	s_nop 0
	s_sendmsg sendmsg(MSG_DEALLOC_VGPRS)
	s_endpgm
	.section	.rodata,"a",@progbits
	.p2align	6, 0x0
	.amdhsa_kernel _ZN9rocsparseL29csrmvn_lrb_medium_rows_kernelILj256EiiaaiiEEvbT0_PT1_S3_jNS_24const_host_device_scalarIT5_EEPKS1_PKS2_PKT2_PKT3_S6_PT4_21rocsparse_index_base_b
		.amdhsa_group_segment_fixed_size 1024
		.amdhsa_private_segment_fixed_size 0
		.amdhsa_kernarg_size 96
		.amdhsa_user_sgpr_count 15
		.amdhsa_user_sgpr_dispatch_ptr 0
		.amdhsa_user_sgpr_queue_ptr 0
		.amdhsa_user_sgpr_kernarg_segment_ptr 1
		.amdhsa_user_sgpr_dispatch_id 0
		.amdhsa_user_sgpr_private_segment_size 0
		.amdhsa_wavefront_size32 1
		.amdhsa_uses_dynamic_stack 0
		.amdhsa_enable_private_segment 0
		.amdhsa_system_sgpr_workgroup_id_x 1
		.amdhsa_system_sgpr_workgroup_id_y 0
		.amdhsa_system_sgpr_workgroup_id_z 0
		.amdhsa_system_sgpr_workgroup_info 0
		.amdhsa_system_vgpr_workitem_id 0
		.amdhsa_next_free_vgpr 8
		.amdhsa_next_free_sgpr 16
		.amdhsa_reserve_vcc 1
		.amdhsa_float_round_mode_32 0
		.amdhsa_float_round_mode_16_64 0
		.amdhsa_float_denorm_mode_32 3
		.amdhsa_float_denorm_mode_16_64 3
		.amdhsa_dx10_clamp 1
		.amdhsa_ieee_mode 1
		.amdhsa_fp16_overflow 0
		.amdhsa_workgroup_processor_mode 1
		.amdhsa_memory_ordered 1
		.amdhsa_forward_progress 0
		.amdhsa_shared_vgpr_count 0
		.amdhsa_exception_fp_ieee_invalid_op 0
		.amdhsa_exception_fp_denorm_src 0
		.amdhsa_exception_fp_ieee_div_zero 0
		.amdhsa_exception_fp_ieee_overflow 0
		.amdhsa_exception_fp_ieee_underflow 0
		.amdhsa_exception_fp_ieee_inexact 0
		.amdhsa_exception_int_div_zero 0
	.end_amdhsa_kernel
	.section	.text._ZN9rocsparseL29csrmvn_lrb_medium_rows_kernelILj256EiiaaiiEEvbT0_PT1_S3_jNS_24const_host_device_scalarIT5_EEPKS1_PKS2_PKT2_PKT3_S6_PT4_21rocsparse_index_base_b,"axG",@progbits,_ZN9rocsparseL29csrmvn_lrb_medium_rows_kernelILj256EiiaaiiEEvbT0_PT1_S3_jNS_24const_host_device_scalarIT5_EEPKS1_PKS2_PKT2_PKT3_S6_PT4_21rocsparse_index_base_b,comdat
.Lfunc_end84:
	.size	_ZN9rocsparseL29csrmvn_lrb_medium_rows_kernelILj256EiiaaiiEEvbT0_PT1_S3_jNS_24const_host_device_scalarIT5_EEPKS1_PKS2_PKT2_PKT3_S6_PT4_21rocsparse_index_base_b, .Lfunc_end84-_ZN9rocsparseL29csrmvn_lrb_medium_rows_kernelILj256EiiaaiiEEvbT0_PT1_S3_jNS_24const_host_device_scalarIT5_EEPKS1_PKS2_PKT2_PKT3_S6_PT4_21rocsparse_index_base_b
                                        ; -- End function
	.section	.AMDGPU.csdata,"",@progbits
; Kernel info:
; codeLenInByte = 1156
; NumSgprs: 18
; NumVgprs: 8
; ScratchSize: 0
; MemoryBound: 0
; FloatMode: 240
; IeeeMode: 1
; LDSByteSize: 1024 bytes/workgroup (compile time only)
; SGPRBlocks: 2
; VGPRBlocks: 0
; NumSGPRsForWavesPerEU: 18
; NumVGPRsForWavesPerEU: 8
; Occupancy: 16
; WaveLimiterHint : 1
; COMPUTE_PGM_RSRC2:SCRATCH_EN: 0
; COMPUTE_PGM_RSRC2:USER_SGPR: 15
; COMPUTE_PGM_RSRC2:TRAP_HANDLER: 0
; COMPUTE_PGM_RSRC2:TGID_X_EN: 1
; COMPUTE_PGM_RSRC2:TGID_Y_EN: 0
; COMPUTE_PGM_RSRC2:TGID_Z_EN: 0
; COMPUTE_PGM_RSRC2:TIDIG_COMP_CNT: 0
	.section	.text._ZN9rocsparseL27csrmvn_lrb_long_rows_kernelIiiaaiiEEvbT_PjPT0_S4_jNS_24const_host_device_scalarIT4_EEPKS1_PKS3_PKT1_PKT2_S7_PT3_21rocsparse_index_base_b,"axG",@progbits,_ZN9rocsparseL27csrmvn_lrb_long_rows_kernelIiiaaiiEEvbT_PjPT0_S4_jNS_24const_host_device_scalarIT4_EEPKS1_PKS3_PKT1_PKT2_S7_PT3_21rocsparse_index_base_b,comdat
	.globl	_ZN9rocsparseL27csrmvn_lrb_long_rows_kernelIiiaaiiEEvbT_PjPT0_S4_jNS_24const_host_device_scalarIT4_EEPKS1_PKS3_PKT1_PKT2_S7_PT3_21rocsparse_index_base_b ; -- Begin function _ZN9rocsparseL27csrmvn_lrb_long_rows_kernelIiiaaiiEEvbT_PjPT0_S4_jNS_24const_host_device_scalarIT4_EEPKS1_PKS3_PKT1_PKT2_S7_PT3_21rocsparse_index_base_b
	.p2align	8
	.type	_ZN9rocsparseL27csrmvn_lrb_long_rows_kernelIiiaaiiEEvbT_PjPT0_S4_jNS_24const_host_device_scalarIT4_EEPKS1_PKS3_PKT1_PKT2_S7_PT3_21rocsparse_index_base_b,@function
_ZN9rocsparseL27csrmvn_lrb_long_rows_kernelIiiaaiiEEvbT_PjPT0_S4_jNS_24const_host_device_scalarIT4_EEPKS1_PKS3_PKT1_PKT2_S7_PT3_21rocsparse_index_base_b: ; @_ZN9rocsparseL27csrmvn_lrb_long_rows_kernelIiiaaiiEEvbT_PjPT0_S4_jNS_24const_host_device_scalarIT4_EEPKS1_PKS3_PKT1_PKT2_S7_PT3_21rocsparse_index_base_b
; %bb.0:
	s_mov_b32 s2, s15
	s_clause 0x1
	s_load_b64 s[14:15], s[0:1], 0x60
	s_load_b64 s[6:7], s[0:1], 0x28
	s_mov_b32 s8, -1
                                        ; implicit-def: $sgpr19
	s_waitcnt lgkmcnt(0)
	s_bitcmp1_b32 s15, 0
	s_cselect_b32 s3, -1, 0
	s_delay_alu instid0(SALU_CYCLE_1) | instskip(NEXT) | instid1(SALU_CYCLE_1)
	s_xor_b32 s3, s3, -1
	s_and_b32 vcc_lo, exec_lo, s3
	s_cbranch_vccnz .LBB85_4
; %bb.1:
	s_load_b64 s[4:5], s[0:1], 0x50
	s_and_not1_b32 vcc_lo, exec_lo, s8
	s_cbranch_vccz .LBB85_5
.LBB85_2:
	s_and_b32 vcc_lo, exec_lo, s3
	s_cbranch_vccz .LBB85_6
.LBB85_3:
	s_waitcnt lgkmcnt(0)
	s_load_b32 s13, s[4:5], 0x0
	s_cbranch_execz .LBB85_7
	s_branch .LBB85_8
.LBB85_4:
	s_load_b32 s19, s[6:7], 0x0
	s_load_b64 s[4:5], s[0:1], 0x50
	s_cbranch_execnz .LBB85_2
.LBB85_5:
	s_waitcnt lgkmcnt(0)
	s_mov_b32 s19, s6
	s_and_b32 vcc_lo, exec_lo, s3
	s_cbranch_vccnz .LBB85_3
.LBB85_6:
                                        ; implicit-def: $sgpr13
.LBB85_7:
	s_waitcnt lgkmcnt(0)
	s_mov_b32 s13, s4
.LBB85_8:
	s_waitcnt lgkmcnt(0)
	s_cmp_lg_u32 s19, 0
	s_mov_b32 s5, 0
	s_cselect_b32 s3, -1, 0
	s_cmp_lg_u32 s13, 1
	s_cselect_b32 s4, -1, 0
	s_delay_alu instid0(SALU_CYCLE_1) | instskip(NEXT) | instid1(SALU_CYCLE_1)
	s_or_b32 s3, s3, s4
	s_and_not1_b32 vcc_lo, exec_lo, s3
	s_cbranch_vccnz .LBB85_42
; %bb.9:
	s_clause 0x1
	s_load_b32 s4, s[0:1], 0x20
	s_load_b64 s[6:7], s[0:1], 0x18
	s_waitcnt lgkmcnt(0)
	s_lshl_b64 s[8:9], s[4:5], 2
	s_delay_alu instid0(SALU_CYCLE_1) | instskip(SKIP_4) | instid1(SALU_CYCLE_1)
	s_add_u32 s6, s6, s8
	s_addc_u32 s7, s7, s9
	s_lshl_b32 s3, -1, s4
	s_load_b32 s8, s[6:7], 0x0
	s_not_b32 s3, s3
	s_mul_hi_u32 s3, s3, 0x2aaaaaab
	s_delay_alu instid0(SALU_CYCLE_1) | instskip(NEXT) | instid1(SALU_CYCLE_1)
	s_lshr_b32 s3, s3, 7
	s_add_i32 s10, s3, 1
	s_not_b32 s3, s3
	v_cvt_f32_u32_e32 v1, s10
	s_delay_alu instid0(VALU_DEP_1) | instskip(SKIP_2) | instid1(VALU_DEP_1)
	v_rcp_iflag_f32_e32 v1, v1
	s_waitcnt_depctr 0xfff
	v_mul_f32_e32 v1, 0x4f7ffffe, v1
	v_cvt_u32_f32_e32 v1, v1
	s_delay_alu instid0(VALU_DEP_1) | instskip(NEXT) | instid1(VALU_DEP_1)
	v_readfirstlane_b32 s4, v1
	s_mul_i32 s3, s3, s4
	s_delay_alu instid0(SALU_CYCLE_1) | instskip(NEXT) | instid1(SALU_CYCLE_1)
	s_mul_hi_u32 s3, s4, s3
	s_add_i32 s4, s4, s3
	s_delay_alu instid0(SALU_CYCLE_1) | instskip(SKIP_4) | instid1(SALU_CYCLE_1)
	s_mul_hi_u32 s3, s2, s4
	s_load_b128 s[4:7], s[0:1], 0x8
	s_mul_i32 s9, s3, s10
	s_add_i32 s11, s3, 1
	s_sub_i32 s9, s2, s9
	s_sub_i32 s12, s9, s10
	s_cmp_ge_u32 s9, s10
	s_cselect_b32 s3, s11, s3
	s_cselect_b32 s9, s12, s9
	s_add_i32 s11, s3, 1
	s_cmp_ge_u32 s9, s10
	s_cselect_b32 s3, s11, s3
	s_waitcnt lgkmcnt(0)
	s_add_i32 s8, s3, s8
	s_mul_i32 s12, s3, s10
	s_ashr_i32 s9, s8, 31
	s_sub_i32 s18, s2, s12
	s_lshl_b64 s[8:9], s[8:9], 2
	v_or_b32_e32 v1, s18, v0
	s_add_u32 s6, s6, s8
	s_addc_u32 s7, s7, s9
	s_load_b32 s6, s[6:7], 0x0
	s_load_b64 s[8:9], s[0:1], 0x30
	v_cmp_eq_u32_e32 vcc_lo, 0, v1
	v_mov_b32_e32 v1, 0
	s_waitcnt lgkmcnt(0)
	s_ashr_i32 s7, s6, 31
	s_delay_alu instid0(SALU_CYCLE_1) | instskip(NEXT) | instid1(SALU_CYCLE_1)
	s_lshl_b64 s[6:7], s[6:7], 2
	s_add_u32 s16, s8, s6
	s_addc_u32 s17, s9, s7
	s_ashr_i32 s3, s2, 31
	s_load_b64 s[8:9], s[0:1], 0x58
	s_lshl_b64 s[2:3], s[2:3], 2
	s_delay_alu instid0(SALU_CYCLE_1)
	s_add_u32 s10, s4, s2
	s_addc_u32 s11, s5, s3
	s_load_b64 s[2:3], s[16:17], 0x0
	s_load_b32 s15, s[10:11], 0x0
	s_and_saveexec_b32 s16, vcc_lo
	s_cbranch_execz .LBB85_13
; %bb.10:
	s_waitcnt lgkmcnt(0)
	s_add_u32 s20, s8, s6
	s_addc_u32 s21, s9, s7
	s_mov_b32 s17, exec_lo
	s_load_b32 s20, s[20:21], 0x0
	v_mbcnt_lo_u32_b32 v1, s17, 0
	s_add_i32 s13, s13, -1
	s_mov_b32 s21, exec_lo
	s_waitcnt vmcnt(0) expcnt(0) lgkmcnt(0)
	s_mul_i32 s20, s20, s13
	v_cmpx_eq_u32_e32 0, v1
	s_cbranch_execz .LBB85_12
; %bb.11:
	s_ashr_i32 s13, s12, 31
	s_delay_alu instid0(SALU_CYCLE_1) | instskip(NEXT) | instid1(SALU_CYCLE_1)
	s_lshl_b64 s[22:23], s[12:13], 2
	s_add_u32 s22, s4, s22
	s_addc_u32 s23, s5, s23
	s_bcnt1_i32_b32 s13, s17
	s_delay_alu instid0(SALU_CYCLE_1) | instskip(NEXT) | instid1(SALU_CYCLE_1)
	s_and_b32 s13, s13, 1
	v_dual_mov_b32 v1, 0 :: v_dual_mov_b32 v2, s13
	global_atomic_xor_b32 v1, v2, s[22:23]
.LBB85_12:
	s_or_b32 exec_lo, exec_lo, s21
	v_mov_b32_e32 v1, s20
.LBB85_13:
	s_or_b32 exec_lo, exec_lo, s16
	s_mul_i32 s13, s18, 0x300
	s_waitcnt lgkmcnt(0)
	s_sub_i32 s3, s3, s14
	s_sub_i32 s13, s13, s14
	s_delay_alu instid0(SALU_CYCLE_1) | instskip(SKIP_3) | instid1(SALU_CYCLE_1)
	s_add_i32 s2, s13, s2
	s_mov_b32 s13, exec_lo
	v_add_nc_u32_e32 v2, s2, v0
	s_addk_i32 s2, 0x300
	s_min_i32 s20, s2, s3
	s_delay_alu instid0(VALU_DEP_1) | instid1(SALU_CYCLE_1)
	v_cmpx_gt_i32_e64 s20, v2
	s_cbranch_execz .LBB85_17
; %bb.14:
	s_clause 0x1
	s_load_b64 s[16:17], s[0:1], 0x48
	s_load_b128 s[0:3], s[0:1], 0x38
	s_mov_b32 s21, 0
	.p2align	6
.LBB85_15:                              ; =>This Inner Loop Header: Depth=1
	v_ashrrev_i32_e32 v3, 31, v2
	s_delay_alu instid0(VALU_DEP_1) | instskip(SKIP_1) | instid1(VALU_DEP_1)
	v_lshlrev_b64 v[4:5], 2, v[2:3]
	s_waitcnt lgkmcnt(0)
	v_add_co_u32 v4, vcc_lo, s0, v4
	s_delay_alu instid0(VALU_DEP_2)
	v_add_co_ci_u32_e32 v5, vcc_lo, s1, v5, vcc_lo
	global_load_b32 v5, v[4:5], off
	v_add_co_u32 v4, vcc_lo, s2, v2
	v_add_nc_u32_e32 v2, 0x100, v2
	s_waitcnt vmcnt(0)
	v_subrev_nc_u32_e32 v6, s14, v5
	v_add_co_ci_u32_e32 v5, vcc_lo, s3, v3, vcc_lo
	s_delay_alu instid0(VALU_DEP_2)
	v_ashrrev_i32_e32 v7, 31, v6
	global_load_i8 v5, v[4:5], off
	v_add_co_u32 v3, vcc_lo, s16, v6
	v_add_co_ci_u32_e32 v4, vcc_lo, s17, v7, vcc_lo
	global_load_i8 v6, v[3:4], off
	s_waitcnt vmcnt(1)
	v_mul_lo_u32 v5, s19, v5
	s_waitcnt vmcnt(0)
	s_delay_alu instid0(VALU_DEP_1) | instskip(NEXT) | instid1(VALU_DEP_1)
	v_mad_u64_u32 v[3:4], null, v5, v6, v[1:2]
	v_mov_b32_e32 v1, v3
	v_cmp_le_i32_e32 vcc_lo, s20, v2
	s_or_b32 s21, vcc_lo, s21
	s_delay_alu instid0(SALU_CYCLE_1)
	s_and_not1_b32 exec_lo, exec_lo, s21
	s_cbranch_execnz .LBB85_15
; %bb.16:
	s_or_b32 exec_lo, exec_lo, s21
.LBB85_17:
	s_delay_alu instid0(SALU_CYCLE_1)
	s_or_b32 exec_lo, exec_lo, s13
	v_lshlrev_b32_e32 v2, 2, v0
	s_mov_b32 s0, exec_lo
	ds_store_b32 v2, v1
	s_waitcnt lgkmcnt(0)
	s_waitcnt_vscnt null, 0x0
	s_barrier
	buffer_gl0_inv
	v_cmpx_gt_u32_e32 0x80, v0
	s_cbranch_execz .LBB85_19
; %bb.18:
	ds_load_2addr_stride64_b32 v[3:4], v2 offset1:2
	s_waitcnt lgkmcnt(0)
	v_add_nc_u32_e32 v1, v4, v3
	ds_store_b32 v2, v1
.LBB85_19:
	s_or_b32 exec_lo, exec_lo, s0
	s_delay_alu instid0(SALU_CYCLE_1)
	s_mov_b32 s0, exec_lo
	s_waitcnt lgkmcnt(0)
	s_barrier
	buffer_gl0_inv
	v_cmpx_gt_u32_e32 64, v0
	s_cbranch_execz .LBB85_21
; %bb.20:
	ds_load_2addr_stride64_b32 v[3:4], v2 offset1:1
	s_waitcnt lgkmcnt(0)
	v_add_nc_u32_e32 v1, v4, v3
	ds_store_b32 v2, v1
.LBB85_21:
	s_or_b32 exec_lo, exec_lo, s0
	s_delay_alu instid0(SALU_CYCLE_1)
	s_mov_b32 s0, exec_lo
	s_waitcnt lgkmcnt(0)
	s_barrier
	buffer_gl0_inv
	v_cmpx_gt_u32_e32 32, v0
	s_cbranch_execz .LBB85_23
; %bb.22:
	ds_load_2addr_b32 v[3:4], v2 offset1:32
	s_waitcnt lgkmcnt(0)
	v_add_nc_u32_e32 v1, v4, v3
	ds_store_b32 v2, v1
.LBB85_23:
	s_or_b32 exec_lo, exec_lo, s0
	s_delay_alu instid0(SALU_CYCLE_1)
	s_mov_b32 s0, exec_lo
	s_waitcnt lgkmcnt(0)
	s_barrier
	buffer_gl0_inv
	v_cmpx_gt_u32_e32 16, v0
	s_cbranch_execz .LBB85_25
; %bb.24:
	ds_load_2addr_b32 v[3:4], v2 offset1:16
	s_waitcnt lgkmcnt(0)
	v_add_nc_u32_e32 v1, v4, v3
	ds_store_b32 v2, v1
.LBB85_25:
	;; [unrolled: 14-line block ×5, first 2 shown]
	s_or_b32 exec_lo, exec_lo, s0
	v_cmp_eq_u32_e32 vcc_lo, 0, v0
	s_waitcnt lgkmcnt(0)
	s_barrier
	buffer_gl0_inv
	s_and_saveexec_b32 s0, vcc_lo
	s_cbranch_execz .LBB85_33
; %bb.32:
	v_mov_b32_e32 v2, 0
	ds_load_b64 v[0:1], v2
	s_waitcnt lgkmcnt(0)
	v_add_nc_u32_e32 v0, v1, v0
	ds_store_b32 v2, v0
.LBB85_33:
	s_or_b32 exec_lo, exec_lo, s0
	s_waitcnt lgkmcnt(0)
	s_barrier
	buffer_gl0_inv
	s_and_saveexec_b32 s0, vcc_lo
	s_cbranch_execz .LBB85_42
; %bb.34:
	s_cmp_eq_u32 s18, 0
	s_cbranch_scc1 .LBB85_40
; %bb.35:
	s_ashr_i32 s13, s12, 31
	v_mov_b32_e32 v0, 0
	s_lshl_b64 s[0:1], s[12:13], 2
	s_delay_alu instid0(SALU_CYCLE_1)
	s_add_u32 s0, s4, s0
	s_addc_u32 s1, s5, s1
	s_branch .LBB85_37
.LBB85_36:                              ;   in Loop: Header=BB85_37 Depth=1
	s_or_b32 exec_lo, exec_lo, s2
	s_waitcnt vmcnt(0)
	v_readfirstlane_b32 s2, v1
	s_delay_alu instid0(VALU_DEP_1)
	s_cmp_eq_u32 s2, s15
	s_cbranch_scc0 .LBB85_39
.LBB85_37:                              ; =>This Inner Loop Header: Depth=1
	v_mbcnt_lo_u32_b32 v1, exec_lo, 0
	s_delay_alu instid0(VALU_DEP_1)
	v_cmp_eq_u32_e32 vcc_lo, 0, v1
                                        ; implicit-def: $vgpr1
	s_and_saveexec_b32 s2, vcc_lo
	s_cbranch_execz .LBB85_36
; %bb.38:                               ;   in Loop: Header=BB85_37 Depth=1
	global_load_b32 v1, v0, s[0:1] glc
	s_branch .LBB85_36
.LBB85_39:
	v_mov_b32_e32 v0, 0
	global_load_b32 v1, v0, s[10:11]
	s_waitcnt vmcnt(0)
	v_xor_b32_e32 v1, 1, v1
	global_store_b32 v0, v1, s[10:11]
.LBB85_40:
	s_mov_b32 s0, exec_lo
	s_delay_alu instid0(SALU_CYCLE_1) | instskip(NEXT) | instid1(VALU_DEP_1)
	v_mbcnt_lo_u32_b32 v0, s0, 0
	v_cmp_eq_u32_e32 vcc_lo, 0, v0
	s_and_b32 s1, exec_lo, vcc_lo
	s_delay_alu instid0(SALU_CYCLE_1)
	s_mov_b32 exec_lo, s1
	s_cbranch_execz .LBB85_42
; %bb.41:
	v_mov_b32_e32 v0, 0
	s_add_u32 s2, s8, s6
	s_addc_u32 s3, s9, s7
	s_bcnt1_i32_b32 s0, s0
	ds_load_b32 v1, v0
	s_waitcnt lgkmcnt(0)
	v_mul_lo_u32 v1, v1, s0
	global_atomic_add_u32 v0, v1, s[2:3]
.LBB85_42:
	s_nop 0
	s_sendmsg sendmsg(MSG_DEALLOC_VGPRS)
	s_endpgm
	.section	.rodata,"a",@progbits
	.p2align	6, 0x0
	.amdhsa_kernel _ZN9rocsparseL27csrmvn_lrb_long_rows_kernelIiiaaiiEEvbT_PjPT0_S4_jNS_24const_host_device_scalarIT4_EEPKS1_PKS3_PKT1_PKT2_S7_PT3_21rocsparse_index_base_b
		.amdhsa_group_segment_fixed_size 1024
		.amdhsa_private_segment_fixed_size 0
		.amdhsa_kernarg_size 104
		.amdhsa_user_sgpr_count 15
		.amdhsa_user_sgpr_dispatch_ptr 0
		.amdhsa_user_sgpr_queue_ptr 0
		.amdhsa_user_sgpr_kernarg_segment_ptr 1
		.amdhsa_user_sgpr_dispatch_id 0
		.amdhsa_user_sgpr_private_segment_size 0
		.amdhsa_wavefront_size32 1
		.amdhsa_uses_dynamic_stack 0
		.amdhsa_enable_private_segment 0
		.amdhsa_system_sgpr_workgroup_id_x 1
		.amdhsa_system_sgpr_workgroup_id_y 0
		.amdhsa_system_sgpr_workgroup_id_z 0
		.amdhsa_system_sgpr_workgroup_info 0
		.amdhsa_system_vgpr_workitem_id 0
		.amdhsa_next_free_vgpr 8
		.amdhsa_next_free_sgpr 24
		.amdhsa_reserve_vcc 1
		.amdhsa_float_round_mode_32 0
		.amdhsa_float_round_mode_16_64 0
		.amdhsa_float_denorm_mode_32 3
		.amdhsa_float_denorm_mode_16_64 3
		.amdhsa_dx10_clamp 1
		.amdhsa_ieee_mode 1
		.amdhsa_fp16_overflow 0
		.amdhsa_workgroup_processor_mode 1
		.amdhsa_memory_ordered 1
		.amdhsa_forward_progress 0
		.amdhsa_shared_vgpr_count 0
		.amdhsa_exception_fp_ieee_invalid_op 0
		.amdhsa_exception_fp_denorm_src 0
		.amdhsa_exception_fp_ieee_div_zero 0
		.amdhsa_exception_fp_ieee_overflow 0
		.amdhsa_exception_fp_ieee_underflow 0
		.amdhsa_exception_fp_ieee_inexact 0
		.amdhsa_exception_int_div_zero 0
	.end_amdhsa_kernel
	.section	.text._ZN9rocsparseL27csrmvn_lrb_long_rows_kernelIiiaaiiEEvbT_PjPT0_S4_jNS_24const_host_device_scalarIT4_EEPKS1_PKS3_PKT1_PKT2_S7_PT3_21rocsparse_index_base_b,"axG",@progbits,_ZN9rocsparseL27csrmvn_lrb_long_rows_kernelIiiaaiiEEvbT_PjPT0_S4_jNS_24const_host_device_scalarIT4_EEPKS1_PKS3_PKT1_PKT2_S7_PT3_21rocsparse_index_base_b,comdat
.Lfunc_end85:
	.size	_ZN9rocsparseL27csrmvn_lrb_long_rows_kernelIiiaaiiEEvbT_PjPT0_S4_jNS_24const_host_device_scalarIT4_EEPKS1_PKS3_PKT1_PKT2_S7_PT3_21rocsparse_index_base_b, .Lfunc_end85-_ZN9rocsparseL27csrmvn_lrb_long_rows_kernelIiiaaiiEEvbT_PjPT0_S4_jNS_24const_host_device_scalarIT4_EEPKS1_PKS3_PKT1_PKT2_S7_PT3_21rocsparse_index_base_b
                                        ; -- End function
	.section	.AMDGPU.csdata,"",@progbits
; Kernel info:
; codeLenInByte = 1616
; NumSgprs: 26
; NumVgprs: 8
; ScratchSize: 0
; MemoryBound: 0
; FloatMode: 240
; IeeeMode: 1
; LDSByteSize: 1024 bytes/workgroup (compile time only)
; SGPRBlocks: 3
; VGPRBlocks: 0
; NumSGPRsForWavesPerEU: 26
; NumVGPRsForWavesPerEU: 8
; Occupancy: 16
; WaveLimiterHint : 1
; COMPUTE_PGM_RSRC2:SCRATCH_EN: 0
; COMPUTE_PGM_RSRC2:USER_SGPR: 15
; COMPUTE_PGM_RSRC2:TRAP_HANDLER: 0
; COMPUTE_PGM_RSRC2:TGID_X_EN: 1
; COMPUTE_PGM_RSRC2:TGID_Y_EN: 0
; COMPUTE_PGM_RSRC2:TGID_Z_EN: 0
; COMPUTE_PGM_RSRC2:TIDIG_COMP_CNT: 0
	.section	.text._ZN9rocsparseL28csrmvn_lrb_short_rows_kernelIliaaiiEEvbT_PT0_S3_jNS_24const_host_device_scalarIT4_EEPKS1_PKS2_PKT1_PKT2_S6_PT3_21rocsparse_index_base_b,"axG",@progbits,_ZN9rocsparseL28csrmvn_lrb_short_rows_kernelIliaaiiEEvbT_PT0_S3_jNS_24const_host_device_scalarIT4_EEPKS1_PKS2_PKT1_PKT2_S6_PT3_21rocsparse_index_base_b,comdat
	.globl	_ZN9rocsparseL28csrmvn_lrb_short_rows_kernelIliaaiiEEvbT_PT0_S3_jNS_24const_host_device_scalarIT4_EEPKS1_PKS2_PKT1_PKT2_S6_PT3_21rocsparse_index_base_b ; -- Begin function _ZN9rocsparseL28csrmvn_lrb_short_rows_kernelIliaaiiEEvbT_PT0_S3_jNS_24const_host_device_scalarIT4_EEPKS1_PKS2_PKT1_PKT2_S6_PT3_21rocsparse_index_base_b
	.p2align	8
	.type	_ZN9rocsparseL28csrmvn_lrb_short_rows_kernelIliaaiiEEvbT_PT0_S3_jNS_24const_host_device_scalarIT4_EEPKS1_PKS2_PKT1_PKT2_S6_PT3_21rocsparse_index_base_b,@function
_ZN9rocsparseL28csrmvn_lrb_short_rows_kernelIliaaiiEEvbT_PT0_S3_jNS_24const_host_device_scalarIT4_EEPKS1_PKS2_PKT1_PKT2_S6_PT3_21rocsparse_index_base_b: ; @_ZN9rocsparseL28csrmvn_lrb_short_rows_kernelIliaaiiEEvbT_PT0_S3_jNS_24const_host_device_scalarIT4_EEPKS1_PKS2_PKT1_PKT2_S6_PT3_21rocsparse_index_base_b
; %bb.0:
	s_clause 0x1
	s_load_b64 s[2:3], s[0:1], 0x60
	s_load_b64 s[6:7], s[0:1], 0x28
	s_mov_b32 s8, -1
                                        ; implicit-def: $sgpr14
	s_waitcnt lgkmcnt(0)
	s_bitcmp1_b32 s3, 0
	s_cselect_b32 s3, -1, 0
	s_delay_alu instid0(SALU_CYCLE_1) | instskip(NEXT) | instid1(SALU_CYCLE_1)
	s_xor_b32 s3, s3, -1
	s_and_b32 vcc_lo, exec_lo, s3
	s_cbranch_vccnz .LBB86_4
; %bb.1:
	s_load_b64 s[4:5], s[0:1], 0x50
	s_and_not1_b32 vcc_lo, exec_lo, s8
	s_cbranch_vccz .LBB86_5
.LBB86_2:
	s_and_b32 vcc_lo, exec_lo, s3
	s_cbranch_vccz .LBB86_6
.LBB86_3:
	s_waitcnt lgkmcnt(0)
	s_load_b32 s3, s[4:5], 0x0
	s_cbranch_execz .LBB86_7
	s_branch .LBB86_8
.LBB86_4:
	s_load_b32 s14, s[6:7], 0x0
	s_load_b64 s[4:5], s[0:1], 0x50
	s_cbranch_execnz .LBB86_2
.LBB86_5:
	s_waitcnt lgkmcnt(0)
	s_mov_b32 s14, s6
	s_and_b32 vcc_lo, exec_lo, s3
	s_cbranch_vccnz .LBB86_3
.LBB86_6:
	s_waitcnt lgkmcnt(0)
                                        ; implicit-def: $sgpr3
.LBB86_7:
	s_waitcnt lgkmcnt(0)
	s_mov_b32 s3, s4
.LBB86_8:
	s_cmp_lg_u32 s14, 0
	s_mov_b32 s13, 0
	s_cselect_b32 s4, -1, 0
	s_waitcnt lgkmcnt(0)
	s_cmp_lg_u32 s3, 1
	s_cselect_b32 s5, -1, 0
	s_delay_alu instid0(SALU_CYCLE_1) | instskip(NEXT) | instid1(SALU_CYCLE_1)
	s_or_b32 s4, s4, s5
	s_and_not1_b32 vcc_lo, exec_lo, s4
	s_cbranch_vccnz .LBB86_22
; %bb.9:
	s_clause 0x1
	s_load_b32 s12, s[0:1], 0x20
	s_load_b128 s[16:19], s[0:1], 0x10
	s_mov_b32 s7, s13
	s_waitcnt lgkmcnt(0)
	s_lshl_b64 s[4:5], s[12:13], 2
	s_delay_alu instid0(SALU_CYCLE_1) | instskip(SKIP_2) | instid1(SALU_CYCLE_1)
	s_add_u32 s4, s18, s4
	s_addc_u32 s5, s19, s5
	s_add_i32 s6, s12, 1
	s_lshl_b64 s[6:7], s[6:7], 2
	s_delay_alu instid0(SALU_CYCLE_1)
	s_add_u32 s6, s18, s6
	s_addc_u32 s7, s19, s7
	s_clause 0x1
	s_load_b32 s13, s[4:5], 0x0
	s_load_b32 s4, s[6:7], 0x0
	s_lshl_b32 s15, s15, 8
	s_delay_alu instid0(SALU_CYCLE_1) | instskip(SKIP_2) | instid1(SALU_CYCLE_1)
	s_add_i32 s5, s15, 0x100
	s_waitcnt lgkmcnt(0)
	s_sub_i32 s4, s4, s13
	s_min_u32 s18, s4, s5
	s_cmp_gt_u32 s12, 23
	s_cbranch_scc1 .LBB86_16
; %bb.10:
	s_load_b256 s[4:11], s[0:1], 0x30
	v_mov_b32_e32 v5, 0
	v_bfe_u32 v6, v0, 0, s12
	v_lshl_add_u32 v8, v0, 2, 0
	s_lshl_b32 s19, 0x100, s12
	s_mov_b32 s20, 0
	v_mov_b32_e32 v7, v5
	s_branch .LBB86_13
.LBB86_11:                              ;   in Loop: Header=BB86_13 Depth=1
	s_or_b32 exec_lo, exec_lo, s22
	ds_store_b32 v8, v3
.LBB86_12:                              ;   in Loop: Header=BB86_13 Depth=1
	s_or_b32 exec_lo, exec_lo, s21
	v_add_nc_u32_e32 v8, 0x400, v8
	s_addk_i32 s20, 0x100
	s_delay_alu instid0(SALU_CYCLE_1)
	s_cmp_ge_u32 s20, s19
	s_cbranch_scc1 .LBB86_16
.LBB86_13:                              ; =>This Inner Loop Header: Depth=1
	v_add_nc_u32_e32 v1, s20, v0
	s_mov_b32 s21, exec_lo
	s_delay_alu instid0(VALU_DEP_1) | instskip(NEXT) | instid1(VALU_DEP_1)
	v_lshrrev_b32_e32 v1, s12, v1
	v_add_nc_u32_e32 v1, s15, v1
	s_delay_alu instid0(VALU_DEP_1)
	v_cmpx_gt_u32_e64 s18, v1
	s_cbranch_execz .LBB86_12
; %bb.14:                               ;   in Loop: Header=BB86_13 Depth=1
	v_add_nc_u32_e32 v4, s13, v1
	s_delay_alu instid0(VALU_DEP_1) | instskip(NEXT) | instid1(VALU_DEP_1)
	v_lshlrev_b64 v[1:2], 2, v[4:5]
	v_add_co_u32 v1, vcc_lo, s16, v1
	s_delay_alu instid0(VALU_DEP_2) | instskip(SKIP_3) | instid1(VALU_DEP_1)
	v_add_co_ci_u32_e32 v2, vcc_lo, s17, v2, vcc_lo
	global_load_b32 v1, v[1:2], off
	s_waitcnt vmcnt(0)
	v_ashrrev_i32_e32 v2, 31, v1
	v_lshlrev_b64 v[1:2], 3, v[1:2]
	s_waitcnt lgkmcnt(0)
	s_delay_alu instid0(VALU_DEP_1) | instskip(NEXT) | instid1(VALU_DEP_2)
	v_add_co_u32 v1, vcc_lo, s4, v1
	v_add_co_ci_u32_e32 v2, vcc_lo, s5, v2, vcc_lo
	global_load_b128 v[1:4], v[1:2], off
	s_waitcnt vmcnt(0)
	v_sub_co_u32 v3, vcc_lo, v3, v1
	v_sub_co_ci_u32_e32 v4, vcc_lo, v4, v2, vcc_lo
	s_delay_alu instid0(VALU_DEP_1)
	v_cmp_gt_i64_e32 vcc_lo, v[3:4], v[6:7]
	v_mov_b32_e32 v3, 0
	s_and_saveexec_b32 s22, vcc_lo
	s_cbranch_execz .LBB86_11
; %bb.15:                               ;   in Loop: Header=BB86_13 Depth=1
	v_sub_co_u32 v1, vcc_lo, v1, s2
	v_subrev_co_ci_u32_e32 v2, vcc_lo, 0, v2, vcc_lo
	s_delay_alu instid0(VALU_DEP_2) | instskip(NEXT) | instid1(VALU_DEP_2)
	v_add_co_u32 v1, vcc_lo, v1, v6
	v_add_co_ci_u32_e32 v2, vcc_lo, 0, v2, vcc_lo
	s_delay_alu instid0(VALU_DEP_1) | instskip(NEXT) | instid1(VALU_DEP_1)
	v_lshlrev_b64 v[3:4], 2, v[1:2]
	v_add_co_u32 v3, vcc_lo, s6, v3
	s_delay_alu instid0(VALU_DEP_2)
	v_add_co_ci_u32_e32 v4, vcc_lo, s7, v4, vcc_lo
	v_add_co_u32 v1, vcc_lo, s8, v1
	v_add_co_ci_u32_e32 v2, vcc_lo, s9, v2, vcc_lo
	global_load_b32 v3, v[3:4], off
	global_load_i8 v9, v[1:2], off
	s_waitcnt vmcnt(1)
	v_subrev_nc_u32_e32 v3, s2, v3
	s_delay_alu instid0(VALU_DEP_1) | instskip(SKIP_1) | instid1(VALU_DEP_2)
	v_ashrrev_i32_e32 v4, 31, v3
	v_add_co_u32 v1, vcc_lo, s10, v3
	v_add_co_ci_u32_e32 v2, vcc_lo, s11, v4, vcc_lo
	global_load_i8 v1, v[1:2], off
	s_waitcnt vmcnt(1)
	v_mul_lo_u32 v2, s14, v9
	s_waitcnt vmcnt(0)
	s_delay_alu instid0(VALU_DEP_1)
	v_mul_lo_u32 v3, v2, v1
	s_branch .LBB86_11
.LBB86_16:
	s_sub_i32 s2, s18, s15
	s_waitcnt lgkmcnt(0)
	v_cmp_gt_u32_e32 vcc_lo, s2, v0
	s_barrier
	buffer_gl0_inv
	s_and_saveexec_b32 s2, vcc_lo
	s_cbranch_execz .LBB86_22
; %bb.17:
	v_add3_u32 v1, s13, s15, v0
	v_mov_b32_e32 v2, 0
	s_load_b64 s[0:1], s[0:1], 0x58
	v_lshlrev_b32_e32 v0, s12, v0
	s_mov_b32 s2, 1
	s_delay_alu instid0(VALU_DEP_2) | instskip(NEXT) | instid1(VALU_DEP_2)
	v_lshlrev_b64 v[3:4], 2, v[1:2]
	v_lshl_add_u32 v0, v0, 2, 0
	s_delay_alu instid0(VALU_DEP_2) | instskip(NEXT) | instid1(VALU_DEP_3)
	v_add_co_u32 v3, vcc_lo, s16, v3
	v_add_co_ci_u32_e32 v4, vcc_lo, s17, v4, vcc_lo
	global_load_b32 v3, v[3:4], off
.LBB86_18:                              ; =>This Inner Loop Header: Depth=1
	ds_load_b32 v1, v0
	v_add_nc_u32_e32 v0, 4, v0
	s_lshr_b32 s4, s2, s12
	s_add_i32 s2, s2, 1
	s_cmp_lg_u32 s4, 0
	s_waitcnt lgkmcnt(0)
	v_add_nc_u32_e32 v2, v1, v2
	s_cbranch_scc0 .LBB86_18
; %bb.19:
	s_waitcnt vmcnt(0)
	v_ashrrev_i32_e32 v4, 31, v3
	s_cmp_lg_u32 s3, 0
	s_delay_alu instid0(VALU_DEP_1)
	v_lshlrev_b64 v[0:1], 2, v[3:4]
	s_cbranch_scc0 .LBB86_21
; %bb.20:
	s_delay_alu instid0(VALU_DEP_1) | instskip(NEXT) | instid1(VALU_DEP_2)
	v_add_co_u32 v3, vcc_lo, s0, v0
	v_add_co_ci_u32_e32 v4, vcc_lo, s1, v1, vcc_lo
	global_load_b32 v5, v[3:4], off
	s_waitcnt vmcnt(0)
	v_mad_u64_u32 v[3:4], null, v5, s3, v[2:3]
	s_delay_alu instid0(VALU_DEP_1)
	v_mov_b32_e32 v2, v3
.LBB86_21:
	s_delay_alu instid0(VALU_DEP_1) | instskip(NEXT) | instid1(VALU_DEP_2)
	v_add_co_u32 v0, vcc_lo, s0, v0
	v_add_co_ci_u32_e32 v1, vcc_lo, s1, v1, vcc_lo
	global_store_b32 v[0:1], v2, off
.LBB86_22:
	s_nop 0
	s_sendmsg sendmsg(MSG_DEALLOC_VGPRS)
	s_endpgm
	.section	.rodata,"a",@progbits
	.p2align	6, 0x0
	.amdhsa_kernel _ZN9rocsparseL28csrmvn_lrb_short_rows_kernelIliaaiiEEvbT_PT0_S3_jNS_24const_host_device_scalarIT4_EEPKS1_PKS2_PKT1_PKT2_S6_PT3_21rocsparse_index_base_b
		.amdhsa_group_segment_fixed_size 0
		.amdhsa_private_segment_fixed_size 0
		.amdhsa_kernarg_size 104
		.amdhsa_user_sgpr_count 15
		.amdhsa_user_sgpr_dispatch_ptr 0
		.amdhsa_user_sgpr_queue_ptr 0
		.amdhsa_user_sgpr_kernarg_segment_ptr 1
		.amdhsa_user_sgpr_dispatch_id 0
		.amdhsa_user_sgpr_private_segment_size 0
		.amdhsa_wavefront_size32 1
		.amdhsa_uses_dynamic_stack 0
		.amdhsa_enable_private_segment 0
		.amdhsa_system_sgpr_workgroup_id_x 1
		.amdhsa_system_sgpr_workgroup_id_y 0
		.amdhsa_system_sgpr_workgroup_id_z 0
		.amdhsa_system_sgpr_workgroup_info 0
		.amdhsa_system_vgpr_workitem_id 0
		.amdhsa_next_free_vgpr 10
		.amdhsa_next_free_sgpr 23
		.amdhsa_reserve_vcc 1
		.amdhsa_float_round_mode_32 0
		.amdhsa_float_round_mode_16_64 0
		.amdhsa_float_denorm_mode_32 3
		.amdhsa_float_denorm_mode_16_64 3
		.amdhsa_dx10_clamp 1
		.amdhsa_ieee_mode 1
		.amdhsa_fp16_overflow 0
		.amdhsa_workgroup_processor_mode 1
		.amdhsa_memory_ordered 1
		.amdhsa_forward_progress 0
		.amdhsa_shared_vgpr_count 0
		.amdhsa_exception_fp_ieee_invalid_op 0
		.amdhsa_exception_fp_denorm_src 0
		.amdhsa_exception_fp_ieee_div_zero 0
		.amdhsa_exception_fp_ieee_overflow 0
		.amdhsa_exception_fp_ieee_underflow 0
		.amdhsa_exception_fp_ieee_inexact 0
		.amdhsa_exception_int_div_zero 0
	.end_amdhsa_kernel
	.section	.text._ZN9rocsparseL28csrmvn_lrb_short_rows_kernelIliaaiiEEvbT_PT0_S3_jNS_24const_host_device_scalarIT4_EEPKS1_PKS2_PKT1_PKT2_S6_PT3_21rocsparse_index_base_b,"axG",@progbits,_ZN9rocsparseL28csrmvn_lrb_short_rows_kernelIliaaiiEEvbT_PT0_S3_jNS_24const_host_device_scalarIT4_EEPKS1_PKS2_PKT1_PKT2_S6_PT3_21rocsparse_index_base_b,comdat
.Lfunc_end86:
	.size	_ZN9rocsparseL28csrmvn_lrb_short_rows_kernelIliaaiiEEvbT_PT0_S3_jNS_24const_host_device_scalarIT4_EEPKS1_PKS2_PKT1_PKT2_S6_PT3_21rocsparse_index_base_b, .Lfunc_end86-_ZN9rocsparseL28csrmvn_lrb_short_rows_kernelIliaaiiEEvbT_PT0_S3_jNS_24const_host_device_scalarIT4_EEPKS1_PKS2_PKT1_PKT2_S6_PT3_21rocsparse_index_base_b
                                        ; -- End function
	.section	.AMDGPU.csdata,"",@progbits
; Kernel info:
; codeLenInByte = 948
; NumSgprs: 25
; NumVgprs: 10
; ScratchSize: 0
; MemoryBound: 0
; FloatMode: 240
; IeeeMode: 1
; LDSByteSize: 0 bytes/workgroup (compile time only)
; SGPRBlocks: 3
; VGPRBlocks: 1
; NumSGPRsForWavesPerEU: 25
; NumVGPRsForWavesPerEU: 10
; Occupancy: 16
; WaveLimiterHint : 1
; COMPUTE_PGM_RSRC2:SCRATCH_EN: 0
; COMPUTE_PGM_RSRC2:USER_SGPR: 15
; COMPUTE_PGM_RSRC2:TRAP_HANDLER: 0
; COMPUTE_PGM_RSRC2:TGID_X_EN: 1
; COMPUTE_PGM_RSRC2:TGID_Y_EN: 0
; COMPUTE_PGM_RSRC2:TGID_Z_EN: 0
; COMPUTE_PGM_RSRC2:TIDIG_COMP_CNT: 0
	.section	.text._ZN9rocsparseL30csrmvn_lrb_short_rows_2_kernelIliaaiiEEvbT_PT0_S3_jNS_24const_host_device_scalarIT4_EEPKS1_PKS2_PKT1_PKT2_S6_PT3_21rocsparse_index_base_b,"axG",@progbits,_ZN9rocsparseL30csrmvn_lrb_short_rows_2_kernelIliaaiiEEvbT_PT0_S3_jNS_24const_host_device_scalarIT4_EEPKS1_PKS2_PKT1_PKT2_S6_PT3_21rocsparse_index_base_b,comdat
	.globl	_ZN9rocsparseL30csrmvn_lrb_short_rows_2_kernelIliaaiiEEvbT_PT0_S3_jNS_24const_host_device_scalarIT4_EEPKS1_PKS2_PKT1_PKT2_S6_PT3_21rocsparse_index_base_b ; -- Begin function _ZN9rocsparseL30csrmvn_lrb_short_rows_2_kernelIliaaiiEEvbT_PT0_S3_jNS_24const_host_device_scalarIT4_EEPKS1_PKS2_PKT1_PKT2_S6_PT3_21rocsparse_index_base_b
	.p2align	8
	.type	_ZN9rocsparseL30csrmvn_lrb_short_rows_2_kernelIliaaiiEEvbT_PT0_S3_jNS_24const_host_device_scalarIT4_EEPKS1_PKS2_PKT1_PKT2_S6_PT3_21rocsparse_index_base_b,@function
_ZN9rocsparseL30csrmvn_lrb_short_rows_2_kernelIliaaiiEEvbT_PT0_S3_jNS_24const_host_device_scalarIT4_EEPKS1_PKS2_PKT1_PKT2_S6_PT3_21rocsparse_index_base_b: ; @_ZN9rocsparseL30csrmvn_lrb_short_rows_2_kernelIliaaiiEEvbT_PT0_S3_jNS_24const_host_device_scalarIT4_EEPKS1_PKS2_PKT1_PKT2_S6_PT3_21rocsparse_index_base_b
; %bb.0:
	s_clause 0x1
	s_load_b64 s[16:17], s[0:1], 0x60
	s_load_b64 s[4:5], s[0:1], 0x28
	s_mov_b32 s7, -1
	s_waitcnt lgkmcnt(0)
	s_bitcmp1_b32 s17, 0
                                        ; implicit-def: $sgpr17
	s_cselect_b32 s2, -1, 0
	s_delay_alu instid0(SALU_CYCLE_1) | instskip(NEXT) | instid1(SALU_CYCLE_1)
	s_xor_b32 s6, s2, -1
	s_and_b32 vcc_lo, exec_lo, s6
	s_cbranch_vccnz .LBB87_4
; %bb.1:
	s_load_b64 s[2:3], s[0:1], 0x50
	s_and_not1_b32 vcc_lo, exec_lo, s7
	s_cbranch_vccz .LBB87_5
.LBB87_2:
	s_and_b32 vcc_lo, exec_lo, s6
	s_cbranch_vccz .LBB87_6
.LBB87_3:
	s_waitcnt lgkmcnt(0)
	s_load_b32 s14, s[2:3], 0x0
	s_cbranch_execz .LBB87_7
	s_branch .LBB87_8
.LBB87_4:
	s_load_b32 s17, s[4:5], 0x0
	s_load_b64 s[2:3], s[0:1], 0x50
	s_cbranch_execnz .LBB87_2
.LBB87_5:
	s_waitcnt lgkmcnt(0)
	s_mov_b32 s17, s4
	s_and_b32 vcc_lo, exec_lo, s6
	s_cbranch_vccnz .LBB87_3
.LBB87_6:
	s_waitcnt lgkmcnt(0)
                                        ; implicit-def: $sgpr14
.LBB87_7:
	s_waitcnt lgkmcnt(0)
	s_mov_b32 s14, s2
.LBB87_8:
	s_cmp_lg_u32 s17, 0
	s_mov_b32 s13, 0
	s_cselect_b32 s2, -1, 0
	s_waitcnt lgkmcnt(0)
	s_cmp_lg_u32 s14, 1
	s_cselect_b32 s3, -1, 0
	s_delay_alu instid0(SALU_CYCLE_1) | instskip(NEXT) | instid1(SALU_CYCLE_1)
	s_or_b32 s2, s2, s3
	s_and_not1_b32 vcc_lo, exec_lo, s2
	s_cbranch_vccnz .LBB87_34
; %bb.9:
	s_clause 0x1
	s_load_b32 s12, s[0:1], 0x20
	s_load_b128 s[8:11], s[0:1], 0x10
	s_mov_b32 s5, s13
	v_mov_b32_e32 v6, 0
	s_waitcnt lgkmcnt(0)
	s_lshl_b64 s[2:3], s[12:13], 2
	v_lshrrev_b32_e32 v1, s12, v0
	s_add_u32 s2, s10, s2
	s_addc_u32 s3, s11, s3
	s_add_i32 s4, s12, 1
	v_bfe_u32 v5, v0, 0, s12
	s_lshl_b64 s[4:5], s[4:5], 2
	s_delay_alu instid0(SALU_CYCLE_1)
	s_add_u32 s4, s10, s4
	s_addc_u32 s5, s11, s5
	s_clause 0x1
	s_load_b32 s18, s[2:3], 0x0
	s_load_b32 s19, s[4:5], 0x0
	s_clause 0x1
	s_load_b64 s[10:11], s[0:1], 0x58
	s_load_b256 s[0:7], s[0:1], 0x30
	s_lshr_b32 s13, 0x400, s12
	s_delay_alu instid0(SALU_CYCLE_1) | instskip(NEXT) | instid1(SALU_CYCLE_1)
	s_mul_i32 s15, s13, s15
	v_add_nc_u32_e32 v1, s15, v1
	s_add_i32 s20, s15, s13
	s_waitcnt lgkmcnt(0)
	s_sub_i32 s19, s19, s18
	s_delay_alu instid0(SALU_CYCLE_1)
	s_min_u32 s19, s19, s20
	s_mov_b32 s20, exec_lo
	v_cmpx_gt_u32_e64 s19, v1
	s_cbranch_execz .LBB87_13
; %bb.10:
	v_dual_mov_b32 v2, v6 :: v_dual_add_nc_u32 v1, s18, v1
	s_delay_alu instid0(VALU_DEP_1) | instskip(NEXT) | instid1(VALU_DEP_1)
	v_lshlrev_b64 v[1:2], 2, v[1:2]
	v_add_co_u32 v1, vcc_lo, s8, v1
	s_delay_alu instid0(VALU_DEP_2) | instskip(SKIP_3) | instid1(VALU_DEP_1)
	v_add_co_ci_u32_e32 v2, vcc_lo, s9, v2, vcc_lo
	global_load_b32 v1, v[1:2], off
	s_waitcnt vmcnt(0)
	v_ashrrev_i32_e32 v2, 31, v1
	v_lshlrev_b64 v[1:2], 3, v[1:2]
	s_delay_alu instid0(VALU_DEP_1) | instskip(NEXT) | instid1(VALU_DEP_2)
	v_add_co_u32 v1, vcc_lo, s0, v1
	v_add_co_ci_u32_e32 v2, vcc_lo, s1, v2, vcc_lo
	global_load_b128 v[1:4], v[1:2], off
	s_waitcnt vmcnt(0)
	v_sub_co_u32 v3, vcc_lo, v3, v1
	v_sub_co_ci_u32_e32 v4, vcc_lo, v4, v2, vcc_lo
	s_delay_alu instid0(VALU_DEP_1)
	v_cmp_gt_i64_e32 vcc_lo, v[3:4], v[5:6]
	v_mov_b32_e32 v3, v6
	s_and_saveexec_b32 s21, vcc_lo
	s_cbranch_execz .LBB87_12
; %bb.11:
	v_sub_co_u32 v1, vcc_lo, v1, s16
	v_subrev_co_ci_u32_e32 v2, vcc_lo, 0, v2, vcc_lo
	s_delay_alu instid0(VALU_DEP_2) | instskip(NEXT) | instid1(VALU_DEP_2)
	v_add_co_u32 v1, vcc_lo, v1, v5
	v_add_co_ci_u32_e32 v2, vcc_lo, 0, v2, vcc_lo
	s_delay_alu instid0(VALU_DEP_1) | instskip(NEXT) | instid1(VALU_DEP_1)
	v_lshlrev_b64 v[3:4], 2, v[1:2]
	v_add_co_u32 v3, vcc_lo, s2, v3
	s_delay_alu instid0(VALU_DEP_2)
	v_add_co_ci_u32_e32 v4, vcc_lo, s3, v4, vcc_lo
	v_add_co_u32 v1, vcc_lo, s4, v1
	v_add_co_ci_u32_e32 v2, vcc_lo, s5, v2, vcc_lo
	global_load_b32 v3, v[3:4], off
	global_load_i8 v7, v[1:2], off
	s_waitcnt vmcnt(1)
	v_subrev_nc_u32_e32 v3, s16, v3
	s_delay_alu instid0(VALU_DEP_1) | instskip(SKIP_1) | instid1(VALU_DEP_2)
	v_ashrrev_i32_e32 v4, 31, v3
	v_add_co_u32 v1, vcc_lo, s6, v3
	v_add_co_ci_u32_e32 v2, vcc_lo, s7, v4, vcc_lo
	global_load_i8 v1, v[1:2], off
	s_waitcnt vmcnt(1)
	v_mul_lo_u32 v2, s17, v7
	s_waitcnt vmcnt(0)
	s_delay_alu instid0(VALU_DEP_1)
	v_mul_lo_u32 v3, v2, v1
.LBB87_12:
	s_or_b32 exec_lo, exec_lo, s21
	v_lshlrev_b32_e32 v1, 2, v0
	ds_store_b32 v1, v3
.LBB87_13:
	s_or_b32 exec_lo, exec_lo, s20
	v_or_b32_e32 v1, 0x100, v0
	s_mov_b32 s20, exec_lo
	s_delay_alu instid0(VALU_DEP_1) | instskip(NEXT) | instid1(VALU_DEP_1)
	v_lshrrev_b32_e32 v1, s12, v1
	v_add_nc_u32_e32 v1, s15, v1
	s_delay_alu instid0(VALU_DEP_1)
	v_cmpx_gt_u32_e64 s19, v1
	s_cbranch_execz .LBB87_17
; %bb.14:
	v_dual_mov_b32 v8, 0 :: v_dual_add_nc_u32 v7, s18, v1
	s_mov_b32 s21, exec_lo
	s_delay_alu instid0(VALU_DEP_1) | instskip(NEXT) | instid1(VALU_DEP_1)
	v_lshlrev_b64 v[1:2], 2, v[7:8]
	v_add_co_u32 v1, vcc_lo, s8, v1
	s_delay_alu instid0(VALU_DEP_2) | instskip(SKIP_3) | instid1(VALU_DEP_1)
	v_add_co_ci_u32_e32 v2, vcc_lo, s9, v2, vcc_lo
	global_load_b32 v1, v[1:2], off
	s_waitcnt vmcnt(0)
	v_ashrrev_i32_e32 v2, 31, v1
	v_lshlrev_b64 v[1:2], 3, v[1:2]
	s_delay_alu instid0(VALU_DEP_1) | instskip(NEXT) | instid1(VALU_DEP_2)
	v_add_co_u32 v1, vcc_lo, s0, v1
	v_add_co_ci_u32_e32 v2, vcc_lo, s1, v2, vcc_lo
	global_load_b128 v[1:4], v[1:2], off
	s_waitcnt vmcnt(0)
	v_sub_co_u32 v3, vcc_lo, v3, v1
	v_sub_co_ci_u32_e32 v4, vcc_lo, v4, v2, vcc_lo
	s_delay_alu instid0(VALU_DEP_1)
	v_cmpx_gt_i64_e64 v[3:4], v[5:6]
	s_cbranch_execz .LBB87_16
; %bb.15:
	v_sub_co_u32 v1, vcc_lo, v1, s16
	v_subrev_co_ci_u32_e32 v2, vcc_lo, 0, v2, vcc_lo
	s_delay_alu instid0(VALU_DEP_2) | instskip(NEXT) | instid1(VALU_DEP_2)
	v_add_co_u32 v1, vcc_lo, v1, v5
	v_add_co_ci_u32_e32 v2, vcc_lo, 0, v2, vcc_lo
	s_delay_alu instid0(VALU_DEP_1) | instskip(NEXT) | instid1(VALU_DEP_1)
	v_lshlrev_b64 v[3:4], 2, v[1:2]
	v_add_co_u32 v3, vcc_lo, s2, v3
	s_delay_alu instid0(VALU_DEP_2)
	v_add_co_ci_u32_e32 v4, vcc_lo, s3, v4, vcc_lo
	v_add_co_u32 v1, vcc_lo, s4, v1
	v_add_co_ci_u32_e32 v2, vcc_lo, s5, v2, vcc_lo
	global_load_b32 v3, v[3:4], off
	global_load_i8 v7, v[1:2], off
	s_waitcnt vmcnt(1)
	v_subrev_nc_u32_e32 v3, s16, v3
	s_delay_alu instid0(VALU_DEP_1) | instskip(SKIP_1) | instid1(VALU_DEP_2)
	v_ashrrev_i32_e32 v4, 31, v3
	v_add_co_u32 v1, vcc_lo, s6, v3
	v_add_co_ci_u32_e32 v2, vcc_lo, s7, v4, vcc_lo
	global_load_i8 v1, v[1:2], off
	s_waitcnt vmcnt(1)
	v_mul_lo_u32 v2, s17, v7
	s_waitcnt vmcnt(0)
	s_delay_alu instid0(VALU_DEP_1)
	v_mul_lo_u32 v8, v2, v1
.LBB87_16:
	s_or_b32 exec_lo, exec_lo, s21
	v_lshlrev_b32_e32 v1, 2, v0
	ds_store_b32 v1, v8 offset:1024
.LBB87_17:
	s_or_b32 exec_lo, exec_lo, s20
	v_or_b32_e32 v1, 0x200, v0
	s_mov_b32 s20, exec_lo
	s_delay_alu instid0(VALU_DEP_1) | instskip(NEXT) | instid1(VALU_DEP_1)
	v_lshrrev_b32_e32 v1, s12, v1
	v_add_nc_u32_e32 v1, s15, v1
	s_delay_alu instid0(VALU_DEP_1)
	v_cmpx_gt_u32_e64 s19, v1
	s_cbranch_execz .LBB87_21
; %bb.18:
	v_dual_mov_b32 v8, 0 :: v_dual_add_nc_u32 v7, s18, v1
	s_mov_b32 s21, exec_lo
	s_delay_alu instid0(VALU_DEP_1) | instskip(NEXT) | instid1(VALU_DEP_1)
	v_lshlrev_b64 v[1:2], 2, v[7:8]
	v_add_co_u32 v1, vcc_lo, s8, v1
	s_delay_alu instid0(VALU_DEP_2) | instskip(SKIP_3) | instid1(VALU_DEP_1)
	v_add_co_ci_u32_e32 v2, vcc_lo, s9, v2, vcc_lo
	global_load_b32 v1, v[1:2], off
	s_waitcnt vmcnt(0)
	v_ashrrev_i32_e32 v2, 31, v1
	v_lshlrev_b64 v[1:2], 3, v[1:2]
	s_delay_alu instid0(VALU_DEP_1) | instskip(NEXT) | instid1(VALU_DEP_2)
	v_add_co_u32 v1, vcc_lo, s0, v1
	v_add_co_ci_u32_e32 v2, vcc_lo, s1, v2, vcc_lo
	global_load_b128 v[1:4], v[1:2], off
	s_waitcnt vmcnt(0)
	v_sub_co_u32 v3, vcc_lo, v3, v1
	v_sub_co_ci_u32_e32 v4, vcc_lo, v4, v2, vcc_lo
	s_delay_alu instid0(VALU_DEP_1)
	v_cmpx_gt_i64_e64 v[3:4], v[5:6]
	s_cbranch_execz .LBB87_20
; %bb.19:
	v_sub_co_u32 v1, vcc_lo, v1, s16
	v_subrev_co_ci_u32_e32 v2, vcc_lo, 0, v2, vcc_lo
	s_delay_alu instid0(VALU_DEP_2) | instskip(NEXT) | instid1(VALU_DEP_2)
	v_add_co_u32 v1, vcc_lo, v1, v5
	v_add_co_ci_u32_e32 v2, vcc_lo, 0, v2, vcc_lo
	s_delay_alu instid0(VALU_DEP_1) | instskip(NEXT) | instid1(VALU_DEP_1)
	v_lshlrev_b64 v[3:4], 2, v[1:2]
	v_add_co_u32 v3, vcc_lo, s2, v3
	s_delay_alu instid0(VALU_DEP_2)
	v_add_co_ci_u32_e32 v4, vcc_lo, s3, v4, vcc_lo
	v_add_co_u32 v1, vcc_lo, s4, v1
	v_add_co_ci_u32_e32 v2, vcc_lo, s5, v2, vcc_lo
	global_load_b32 v3, v[3:4], off
	global_load_i8 v7, v[1:2], off
	s_waitcnt vmcnt(1)
	v_subrev_nc_u32_e32 v3, s16, v3
	s_delay_alu instid0(VALU_DEP_1) | instskip(SKIP_1) | instid1(VALU_DEP_2)
	v_ashrrev_i32_e32 v4, 31, v3
	v_add_co_u32 v1, vcc_lo, s6, v3
	v_add_co_ci_u32_e32 v2, vcc_lo, s7, v4, vcc_lo
	global_load_i8 v1, v[1:2], off
	s_waitcnt vmcnt(1)
	v_mul_lo_u32 v2, s17, v7
	s_waitcnt vmcnt(0)
	s_delay_alu instid0(VALU_DEP_1)
	v_mul_lo_u32 v8, v2, v1
.LBB87_20:
	s_or_b32 exec_lo, exec_lo, s21
	v_lshlrev_b32_e32 v1, 2, v0
	ds_store_b32 v1, v8 offset:2048
.LBB87_21:
	s_or_b32 exec_lo, exec_lo, s20
	v_or_b32_e32 v1, 0x300, v0
	s_mov_b32 s20, exec_lo
	s_delay_alu instid0(VALU_DEP_1) | instskip(NEXT) | instid1(VALU_DEP_1)
	v_lshrrev_b32_e32 v1, s12, v1
	v_add_nc_u32_e32 v1, s15, v1
	s_delay_alu instid0(VALU_DEP_1)
	v_cmpx_gt_u32_e64 s19, v1
	s_cbranch_execz .LBB87_25
; %bb.22:
	v_dual_mov_b32 v8, 0 :: v_dual_add_nc_u32 v7, s18, v1
	s_delay_alu instid0(VALU_DEP_1) | instskip(NEXT) | instid1(VALU_DEP_1)
	v_lshlrev_b64 v[1:2], 2, v[7:8]
	v_add_co_u32 v1, vcc_lo, s8, v1
	s_delay_alu instid0(VALU_DEP_2) | instskip(SKIP_3) | instid1(VALU_DEP_1)
	v_add_co_ci_u32_e32 v2, vcc_lo, s9, v2, vcc_lo
	global_load_b32 v1, v[1:2], off
	s_waitcnt vmcnt(0)
	v_ashrrev_i32_e32 v2, 31, v1
	v_lshlrev_b64 v[1:2], 3, v[1:2]
	s_delay_alu instid0(VALU_DEP_1) | instskip(NEXT) | instid1(VALU_DEP_2)
	v_add_co_u32 v1, vcc_lo, s0, v1
	v_add_co_ci_u32_e32 v2, vcc_lo, s1, v2, vcc_lo
	s_mov_b32 s0, exec_lo
	global_load_b128 v[1:4], v[1:2], off
	s_waitcnt vmcnt(0)
	v_sub_co_u32 v3, vcc_lo, v3, v1
	v_sub_co_ci_u32_e32 v4, vcc_lo, v4, v2, vcc_lo
	s_delay_alu instid0(VALU_DEP_1)
	v_cmpx_gt_i64_e64 v[3:4], v[5:6]
	s_cbranch_execz .LBB87_24
; %bb.23:
	v_sub_co_u32 v1, vcc_lo, v1, s16
	v_subrev_co_ci_u32_e32 v2, vcc_lo, 0, v2, vcc_lo
	s_delay_alu instid0(VALU_DEP_2) | instskip(NEXT) | instid1(VALU_DEP_2)
	v_add_co_u32 v1, vcc_lo, v1, v5
	v_add_co_ci_u32_e32 v2, vcc_lo, 0, v2, vcc_lo
	s_delay_alu instid0(VALU_DEP_1) | instskip(NEXT) | instid1(VALU_DEP_1)
	v_lshlrev_b64 v[3:4], 2, v[1:2]
	v_add_co_u32 v3, vcc_lo, s2, v3
	s_delay_alu instid0(VALU_DEP_2)
	v_add_co_ci_u32_e32 v4, vcc_lo, s3, v4, vcc_lo
	v_add_co_u32 v1, vcc_lo, s4, v1
	v_add_co_ci_u32_e32 v2, vcc_lo, s5, v2, vcc_lo
	global_load_b32 v3, v[3:4], off
	global_load_i8 v5, v[1:2], off
	s_waitcnt vmcnt(1)
	v_subrev_nc_u32_e32 v3, s16, v3
	s_delay_alu instid0(VALU_DEP_1) | instskip(SKIP_1) | instid1(VALU_DEP_2)
	v_ashrrev_i32_e32 v4, 31, v3
	v_add_co_u32 v1, vcc_lo, s6, v3
	v_add_co_ci_u32_e32 v2, vcc_lo, s7, v4, vcc_lo
	global_load_i8 v1, v[1:2], off
	s_waitcnt vmcnt(1)
	v_mul_lo_u32 v2, s17, v5
	s_waitcnt vmcnt(0)
	s_delay_alu instid0(VALU_DEP_1)
	v_mul_lo_u32 v8, v2, v1
.LBB87_24:
	s_or_b32 exec_lo, exec_lo, s0
	v_lshlrev_b32_e32 v1, 2, v0
	ds_store_b32 v1, v8 offset:3072
.LBB87_25:
	s_or_b32 exec_lo, exec_lo, s20
	s_cmp_lt_u32 s12, 11
	s_waitcnt lgkmcnt(0)
	s_barrier
	buffer_gl0_inv
	s_cbranch_scc0 .LBB87_34
; %bb.26:
	s_sub_i32 s0, s19, s15
	s_add_i32 s18, s18, s15
	v_mov_b32_e32 v2, 0
	s_cmp_lg_u32 s14, 0
	s_mov_b32 s1, 0
	s_cselect_b32 s2, -1, 0
	s_set_inst_prefetch_distance 0x1
	s_branch .LBB87_29
	.p2align	6
.LBB87_27:                              ;   in Loop: Header=BB87_29 Depth=1
	s_delay_alu instid0(VALU_DEP_1) | instskip(NEXT) | instid1(VALU_DEP_2)
	v_add_co_u32 v3, vcc_lo, s10, v3
	v_add_co_ci_u32_e32 v4, vcc_lo, s11, v4, vcc_lo
	global_store_b32 v[3:4], v1, off
.LBB87_28:                              ;   in Loop: Header=BB87_29 Depth=1
	s_or_b32 exec_lo, exec_lo, s3
	s_addk_i32 s1, 0x100
	s_delay_alu instid0(SALU_CYCLE_1)
	s_cmp_lt_u32 s1, s13
	s_cbranch_scc0 .LBB87_34
.LBB87_29:                              ; =>This Loop Header: Depth=1
                                        ;     Child Loop BB87_31 Depth 2
	v_add_nc_u32_e32 v4, s1, v0
	s_mov_b32 s3, exec_lo
	s_delay_alu instid0(VALU_DEP_1)
	v_cmpx_gt_u32_e64 s0, v4
	s_cbranch_execz .LBB87_28
; %bb.30:                               ;   in Loop: Header=BB87_29 Depth=1
	v_add_nc_u32_e32 v1, s18, v4
	s_mov_b32 s4, 1
	s_delay_alu instid0(VALU_DEP_1) | instskip(SKIP_1) | instid1(VALU_DEP_1)
	v_lshlrev_b64 v[5:6], 2, v[1:2]
	v_lshlrev_b32_e32 v1, s12, v4
	v_dual_mov_b32 v1, 0 :: v_dual_lshlrev_b32 v4, 2, v1
	s_delay_alu instid0(VALU_DEP_3) | instskip(NEXT) | instid1(VALU_DEP_4)
	v_add_co_u32 v5, vcc_lo, s8, v5
	v_add_co_ci_u32_e32 v6, vcc_lo, s9, v6, vcc_lo
	global_load_b32 v3, v[5:6], off
.LBB87_31:                              ;   Parent Loop BB87_29 Depth=1
                                        ; =>  This Inner Loop Header: Depth=2
	ds_load_b32 v5, v4
	v_add_nc_u32_e32 v4, 4, v4
	s_lshr_b32 s5, s4, s12
	s_add_i32 s4, s4, 1
	s_cmp_lg_u32 s5, 0
	s_waitcnt lgkmcnt(0)
	v_add_nc_u32_e32 v1, v5, v1
	s_cbranch_scc0 .LBB87_31
; %bb.32:                               ;   in Loop: Header=BB87_29 Depth=1
	s_waitcnt vmcnt(0)
	v_ashrrev_i32_e32 v4, 31, v3
	s_and_b32 vcc_lo, exec_lo, s2
	s_delay_alu instid0(VALU_DEP_1)
	v_lshlrev_b64 v[3:4], 2, v[3:4]
	s_cbranch_vccz .LBB87_27
; %bb.33:                               ;   in Loop: Header=BB87_29 Depth=1
	s_delay_alu instid0(VALU_DEP_1) | instskip(NEXT) | instid1(VALU_DEP_2)
	v_add_co_u32 v5, vcc_lo, s10, v3
	v_add_co_ci_u32_e32 v6, vcc_lo, s11, v4, vcc_lo
	global_load_b32 v7, v[5:6], off
	s_waitcnt vmcnt(0)
	v_mad_u64_u32 v[5:6], null, v7, s14, v[1:2]
	s_delay_alu instid0(VALU_DEP_1)
	v_mov_b32_e32 v1, v5
	s_branch .LBB87_27
.LBB87_34:
	s_set_inst_prefetch_distance 0x2
	s_nop 0
	s_sendmsg sendmsg(MSG_DEALLOC_VGPRS)
	s_endpgm
	.section	.rodata,"a",@progbits
	.p2align	6, 0x0
	.amdhsa_kernel _ZN9rocsparseL30csrmvn_lrb_short_rows_2_kernelIliaaiiEEvbT_PT0_S3_jNS_24const_host_device_scalarIT4_EEPKS1_PKS2_PKT1_PKT2_S6_PT3_21rocsparse_index_base_b
		.amdhsa_group_segment_fixed_size 4096
		.amdhsa_private_segment_fixed_size 0
		.amdhsa_kernarg_size 104
		.amdhsa_user_sgpr_count 15
		.amdhsa_user_sgpr_dispatch_ptr 0
		.amdhsa_user_sgpr_queue_ptr 0
		.amdhsa_user_sgpr_kernarg_segment_ptr 1
		.amdhsa_user_sgpr_dispatch_id 0
		.amdhsa_user_sgpr_private_segment_size 0
		.amdhsa_wavefront_size32 1
		.amdhsa_uses_dynamic_stack 0
		.amdhsa_enable_private_segment 0
		.amdhsa_system_sgpr_workgroup_id_x 1
		.amdhsa_system_sgpr_workgroup_id_y 0
		.amdhsa_system_sgpr_workgroup_id_z 0
		.amdhsa_system_sgpr_workgroup_info 0
		.amdhsa_system_vgpr_workitem_id 0
		.amdhsa_next_free_vgpr 9
		.amdhsa_next_free_sgpr 22
		.amdhsa_reserve_vcc 1
		.amdhsa_float_round_mode_32 0
		.amdhsa_float_round_mode_16_64 0
		.amdhsa_float_denorm_mode_32 3
		.amdhsa_float_denorm_mode_16_64 3
		.amdhsa_dx10_clamp 1
		.amdhsa_ieee_mode 1
		.amdhsa_fp16_overflow 0
		.amdhsa_workgroup_processor_mode 1
		.amdhsa_memory_ordered 1
		.amdhsa_forward_progress 0
		.amdhsa_shared_vgpr_count 0
		.amdhsa_exception_fp_ieee_invalid_op 0
		.amdhsa_exception_fp_denorm_src 0
		.amdhsa_exception_fp_ieee_div_zero 0
		.amdhsa_exception_fp_ieee_overflow 0
		.amdhsa_exception_fp_ieee_underflow 0
		.amdhsa_exception_fp_ieee_inexact 0
		.amdhsa_exception_int_div_zero 0
	.end_amdhsa_kernel
	.section	.text._ZN9rocsparseL30csrmvn_lrb_short_rows_2_kernelIliaaiiEEvbT_PT0_S3_jNS_24const_host_device_scalarIT4_EEPKS1_PKS2_PKT1_PKT2_S6_PT3_21rocsparse_index_base_b,"axG",@progbits,_ZN9rocsparseL30csrmvn_lrb_short_rows_2_kernelIliaaiiEEvbT_PT0_S3_jNS_24const_host_device_scalarIT4_EEPKS1_PKS2_PKT1_PKT2_S6_PT3_21rocsparse_index_base_b,comdat
.Lfunc_end87:
	.size	_ZN9rocsparseL30csrmvn_lrb_short_rows_2_kernelIliaaiiEEvbT_PT0_S3_jNS_24const_host_device_scalarIT4_EEPKS1_PKS2_PKT1_PKT2_S6_PT3_21rocsparse_index_base_b, .Lfunc_end87-_ZN9rocsparseL30csrmvn_lrb_short_rows_2_kernelIliaaiiEEvbT_PT0_S3_jNS_24const_host_device_scalarIT4_EEPKS1_PKS2_PKT1_PKT2_S6_PT3_21rocsparse_index_base_b
                                        ; -- End function
	.section	.AMDGPU.csdata,"",@progbits
; Kernel info:
; codeLenInByte = 1936
; NumSgprs: 24
; NumVgprs: 9
; ScratchSize: 0
; MemoryBound: 0
; FloatMode: 240
; IeeeMode: 1
; LDSByteSize: 4096 bytes/workgroup (compile time only)
; SGPRBlocks: 2
; VGPRBlocks: 1
; NumSGPRsForWavesPerEU: 24
; NumVGPRsForWavesPerEU: 9
; Occupancy: 16
; WaveLimiterHint : 1
; COMPUTE_PGM_RSRC2:SCRATCH_EN: 0
; COMPUTE_PGM_RSRC2:USER_SGPR: 15
; COMPUTE_PGM_RSRC2:TRAP_HANDLER: 0
; COMPUTE_PGM_RSRC2:TGID_X_EN: 1
; COMPUTE_PGM_RSRC2:TGID_Y_EN: 0
; COMPUTE_PGM_RSRC2:TGID_Z_EN: 0
; COMPUTE_PGM_RSRC2:TIDIG_COMP_CNT: 0
	.section	.text._ZN9rocsparseL41csrmvn_lrb_medium_rows_warp_reduce_kernelILj256ELj32EliaaiiEEvbT1_lPT2_S3_jNS_24const_host_device_scalarIT6_EEPKS1_PKS2_PKT3_PKT4_S6_PT5_21rocsparse_index_base_b,"axG",@progbits,_ZN9rocsparseL41csrmvn_lrb_medium_rows_warp_reduce_kernelILj256ELj32EliaaiiEEvbT1_lPT2_S3_jNS_24const_host_device_scalarIT6_EEPKS1_PKS2_PKT3_PKT4_S6_PT5_21rocsparse_index_base_b,comdat
	.globl	_ZN9rocsparseL41csrmvn_lrb_medium_rows_warp_reduce_kernelILj256ELj32EliaaiiEEvbT1_lPT2_S3_jNS_24const_host_device_scalarIT6_EEPKS1_PKS2_PKT3_PKT4_S6_PT5_21rocsparse_index_base_b ; -- Begin function _ZN9rocsparseL41csrmvn_lrb_medium_rows_warp_reduce_kernelILj256ELj32EliaaiiEEvbT1_lPT2_S3_jNS_24const_host_device_scalarIT6_EEPKS1_PKS2_PKT3_PKT4_S6_PT5_21rocsparse_index_base_b
	.p2align	8
	.type	_ZN9rocsparseL41csrmvn_lrb_medium_rows_warp_reduce_kernelILj256ELj32EliaaiiEEvbT1_lPT2_S3_jNS_24const_host_device_scalarIT6_EEPKS1_PKS2_PKT3_PKT4_S6_PT5_21rocsparse_index_base_b,@function
_ZN9rocsparseL41csrmvn_lrb_medium_rows_warp_reduce_kernelILj256ELj32EliaaiiEEvbT1_lPT2_S3_jNS_24const_host_device_scalarIT6_EEPKS1_PKS2_PKT3_PKT4_S6_PT5_21rocsparse_index_base_b: ; @_ZN9rocsparseL41csrmvn_lrb_medium_rows_warp_reduce_kernelILj256ELj32EliaaiiEEvbT1_lPT2_S3_jNS_24const_host_device_scalarIT6_EEPKS1_PKS2_PKT3_PKT4_S6_PT5_21rocsparse_index_base_b
; %bb.0:
	s_clause 0x1
	s_load_b64 s[2:3], s[0:1], 0x68
	s_load_b64 s[6:7], s[0:1], 0x30
	s_mov_b32 s8, -1
                                        ; implicit-def: $sgpr14
	s_waitcnt lgkmcnt(0)
	s_bitcmp1_b32 s3, 0
	s_cselect_b32 s3, -1, 0
	s_delay_alu instid0(SALU_CYCLE_1) | instskip(NEXT) | instid1(SALU_CYCLE_1)
	s_xor_b32 s3, s3, -1
	s_and_b32 vcc_lo, exec_lo, s3
	s_cbranch_vccnz .LBB88_4
; %bb.1:
	s_load_b64 s[4:5], s[0:1], 0x58
	s_and_not1_b32 vcc_lo, exec_lo, s8
	s_cbranch_vccz .LBB88_5
.LBB88_2:
	s_and_b32 vcc_lo, exec_lo, s3
	s_cbranch_vccz .LBB88_6
.LBB88_3:
	s_waitcnt lgkmcnt(0)
	s_load_b32 s3, s[4:5], 0x0
	s_cbranch_execz .LBB88_7
	s_branch .LBB88_8
.LBB88_4:
	s_load_b32 s14, s[6:7], 0x0
	s_load_b64 s[4:5], s[0:1], 0x58
	s_cbranch_execnz .LBB88_2
.LBB88_5:
	s_waitcnt lgkmcnt(0)
	s_mov_b32 s14, s6
	s_and_b32 vcc_lo, exec_lo, s3
	s_cbranch_vccnz .LBB88_3
.LBB88_6:
	s_waitcnt lgkmcnt(0)
                                        ; implicit-def: $sgpr3
.LBB88_7:
	s_waitcnt lgkmcnt(0)
	s_mov_b32 s3, s4
.LBB88_8:
	s_cmp_lg_u32 s14, 0
	s_cselect_b32 s4, -1, 0
	s_waitcnt lgkmcnt(0)
	s_cmp_lg_u32 s3, 1
	s_cselect_b32 s5, -1, 0
	s_delay_alu instid0(SALU_CYCLE_1) | instskip(NEXT) | instid1(SALU_CYCLE_1)
	s_or_b32 s4, s4, s5
	s_and_not1_b32 vcc_lo, exec_lo, s4
	s_cbranch_vccnz .LBB88_18
; %bb.9:
	s_load_b64 s[4:5], s[0:1], 0x10
	v_lshrrev_b32_e32 v1, 5, v0
	s_delay_alu instid0(VALU_DEP_1) | instskip(NEXT) | instid1(VALU_DEP_1)
	v_lshl_or_b32 v1, s15, 3, v1
	v_ashrrev_i32_e32 v2, 31, v1
	s_waitcnt lgkmcnt(0)
	s_delay_alu instid0(VALU_DEP_1)
	v_cmp_gt_i64_e32 vcc_lo, s[4:5], v[1:2]
	s_and_saveexec_b32 s4, vcc_lo
	s_cbranch_execz .LBB88_18
; %bb.10:
	s_clause 0x1
	s_load_b32 s10, s[0:1], 0x28
	s_load_b128 s[4:7], s[0:1], 0x18
	s_mov_b32 s11, 0
	v_and_b32_e32 v9, 31, v0
	s_waitcnt lgkmcnt(0)
	s_lshl_b64 s[8:9], s[10:11], 2
	s_mov_b32 s10, exec_lo
	s_add_u32 s6, s6, s8
	s_addc_u32 s7, s7, s9
	s_load_b64 s[8:9], s[0:1], 0x60
	s_load_b32 s6, s[6:7], 0x0
	s_waitcnt lgkmcnt(0)
	v_add_nc_u32_e32 v1, s6, v1
	s_delay_alu instid0(VALU_DEP_1) | instskip(NEXT) | instid1(VALU_DEP_1)
	v_ashrrev_i32_e32 v2, 31, v1
	v_lshlrev_b64 v[1:2], 2, v[1:2]
	s_delay_alu instid0(VALU_DEP_1) | instskip(NEXT) | instid1(VALU_DEP_2)
	v_add_co_u32 v1, vcc_lo, s4, v1
	v_add_co_ci_u32_e32 v2, vcc_lo, s5, v2, vcc_lo
	s_load_b64 s[4:5], s[0:1], 0x38
	global_load_b32 v1, v[1:2], off
	s_waitcnt vmcnt(0)
	v_ashrrev_i32_e32 v2, 31, v1
	s_delay_alu instid0(VALU_DEP_1) | instskip(SKIP_1) | instid1(VALU_DEP_1)
	v_lshlrev_b64 v[3:4], 3, v[1:2]
	s_waitcnt lgkmcnt(0)
	v_add_co_u32 v3, vcc_lo, s4, v3
	s_delay_alu instid0(VALU_DEP_2) | instskip(SKIP_1) | instid1(VALU_DEP_1)
	v_add_co_ci_u32_e32 v4, vcc_lo, s5, v4, vcc_lo
	v_sub_co_u32 v0, s4, v9, s2
	v_sub_co_ci_u32_e64 v10, null, 0, 0, s4
	global_load_b128 v[5:8], v[3:4], off
	s_waitcnt vmcnt(0)
	v_sub_co_u32 v3, vcc_lo, v7, s2
	v_subrev_co_ci_u32_e32 v4, vcc_lo, 0, v8, vcc_lo
	v_add_co_u32 v5, vcc_lo, v5, v0
	v_add_co_ci_u32_e32 v6, vcc_lo, v6, v10, vcc_lo
	v_mov_b32_e32 v0, 0
	s_delay_alu instid0(VALU_DEP_2)
	v_cmpx_lt_i64_e64 v[5:6], v[3:4]
	s_cbranch_execz .LBB88_14
; %bb.11:
	s_clause 0x1
	s_load_b128 s[4:7], s[0:1], 0x40
	s_load_b64 s[12:13], s[0:1], 0x50
	v_lshlrev_b64 v[7:8], 2, v[5:6]
	v_mov_b32_e32 v0, 0
	s_waitcnt lgkmcnt(0)
	s_delay_alu instid0(VALU_DEP_2) | instskip(NEXT) | instid1(VALU_DEP_3)
	v_add_co_u32 v7, vcc_lo, s4, v7
	v_add_co_ci_u32_e32 v8, vcc_lo, s5, v8, vcc_lo
	.p2align	6
.LBB88_12:                              ; =>This Inner Loop Header: Depth=1
	global_load_b32 v11, v[7:8], off
	v_add_co_u32 v10, vcc_lo, s6, v5
	v_add_co_u32 v7, s0, 0x80, v7
	s_delay_alu instid0(VALU_DEP_1) | instskip(SKIP_3) | instid1(VALU_DEP_2)
	v_add_co_ci_u32_e64 v8, s0, 0, v8, s0
	s_waitcnt vmcnt(0)
	v_subrev_nc_u32_e32 v12, s2, v11
	v_add_co_ci_u32_e32 v11, vcc_lo, s7, v6, vcc_lo
	v_ashrrev_i32_e32 v13, 31, v12
	global_load_i8 v14, v[10:11], off
	v_add_co_u32 v10, vcc_lo, s12, v12
	v_add_co_ci_u32_e32 v11, vcc_lo, s13, v13, vcc_lo
	v_add_co_u32 v5, vcc_lo, v5, 32
	v_add_co_ci_u32_e32 v6, vcc_lo, 0, v6, vcc_lo
	global_load_i8 v12, v[10:11], off
	v_cmp_ge_i64_e32 vcc_lo, v[5:6], v[3:4]
	s_or_b32 s11, vcc_lo, s11
	s_waitcnt vmcnt(1)
	v_mul_lo_u32 v13, s14, v14
	s_waitcnt vmcnt(0)
	s_delay_alu instid0(VALU_DEP_1) | instskip(NEXT) | instid1(VALU_DEP_1)
	v_mad_u64_u32 v[10:11], null, v13, v12, v[0:1]
	v_mov_b32_e32 v0, v10
	s_and_not1_b32 exec_lo, exec_lo, s11
	s_cbranch_execnz .LBB88_12
; %bb.13:
	s_or_b32 exec_lo, exec_lo, s11
.LBB88_14:
	s_delay_alu instid0(SALU_CYCLE_1) | instskip(SKIP_1) | instid1(VALU_DEP_1)
	s_or_b32 exec_lo, exec_lo, s10
	v_mbcnt_lo_u32_b32 v3, -1, 0
	v_xor_b32_e32 v4, 16, v3
	v_xor_b32_e32 v5, 8, v3
	s_delay_alu instid0(VALU_DEP_2) | instskip(SKIP_1) | instid1(VALU_DEP_3)
	v_cmp_gt_i32_e32 vcc_lo, 32, v4
	v_cndmask_b32_e32 v4, v3, v4, vcc_lo
	v_cmp_gt_i32_e32 vcc_lo, 32, v5
	v_cndmask_b32_e32 v5, v3, v5, vcc_lo
	s_delay_alu instid0(VALU_DEP_1) | instskip(NEXT) | instid1(VALU_DEP_4)
	v_lshlrev_b32_e32 v5, 2, v5
	v_lshlrev_b32_e32 v4, 2, v4
	ds_bpermute_b32 v4, v4, v0
	s_waitcnt lgkmcnt(0)
	v_add_nc_u32_e32 v0, v4, v0
	ds_bpermute_b32 v4, v5, v0
	v_xor_b32_e32 v5, 4, v3
	s_delay_alu instid0(VALU_DEP_1) | instskip(SKIP_1) | instid1(VALU_DEP_1)
	v_cmp_gt_i32_e32 vcc_lo, 32, v5
	v_cndmask_b32_e32 v5, v3, v5, vcc_lo
	v_lshlrev_b32_e32 v5, 2, v5
	s_waitcnt lgkmcnt(0)
	v_add_nc_u32_e32 v0, v4, v0
	ds_bpermute_b32 v4, v5, v0
	v_xor_b32_e32 v5, 2, v3
	s_delay_alu instid0(VALU_DEP_1) | instskip(SKIP_1) | instid1(VALU_DEP_1)
	v_cmp_gt_i32_e32 vcc_lo, 32, v5
	v_cndmask_b32_e32 v5, v3, v5, vcc_lo
	v_lshlrev_b32_e32 v5, 2, v5
	s_waitcnt lgkmcnt(0)
	v_add_nc_u32_e32 v0, v4, v0
	ds_bpermute_b32 v4, v5, v0
	v_xor_b32_e32 v5, 1, v3
	s_delay_alu instid0(VALU_DEP_1) | instskip(SKIP_2) | instid1(VALU_DEP_2)
	v_cmp_gt_i32_e32 vcc_lo, 32, v5
	v_cndmask_b32_e32 v3, v3, v5, vcc_lo
	v_cmp_eq_u32_e32 vcc_lo, 31, v9
	v_lshlrev_b32_e32 v3, 2, v3
	s_waitcnt lgkmcnt(0)
	v_add_nc_u32_e32 v0, v4, v0
	ds_bpermute_b32 v3, v3, v0
	s_and_b32 exec_lo, exec_lo, vcc_lo
	s_cbranch_execz .LBB88_18
; %bb.15:
	v_lshlrev_b64 v[1:2], 2, v[1:2]
	s_waitcnt lgkmcnt(0)
	v_add_nc_u32_e32 v0, v3, v0
	s_cmp_eq_u32 s3, 0
	s_cbranch_scc1 .LBB88_17
; %bb.16:
	s_delay_alu instid0(VALU_DEP_2) | instskip(SKIP_4) | instid1(VALU_DEP_1)
	v_add_co_u32 v3, vcc_lo, s8, v1
	v_add_co_ci_u32_e32 v4, vcc_lo, s9, v2, vcc_lo
	global_load_b32 v5, v[3:4], off
	s_waitcnt vmcnt(0)
	v_mad_u64_u32 v[3:4], null, v5, s3, v[0:1]
	v_mov_b32_e32 v0, v3
.LBB88_17:
	s_delay_alu instid0(VALU_DEP_2)
	v_add_co_u32 v1, vcc_lo, s8, v1
	v_add_co_ci_u32_e32 v2, vcc_lo, s9, v2, vcc_lo
	global_store_b32 v[1:2], v0, off
.LBB88_18:
	s_nop 0
	s_sendmsg sendmsg(MSG_DEALLOC_VGPRS)
	s_endpgm
	.section	.rodata,"a",@progbits
	.p2align	6, 0x0
	.amdhsa_kernel _ZN9rocsparseL41csrmvn_lrb_medium_rows_warp_reduce_kernelILj256ELj32EliaaiiEEvbT1_lPT2_S3_jNS_24const_host_device_scalarIT6_EEPKS1_PKS2_PKT3_PKT4_S6_PT5_21rocsparse_index_base_b
		.amdhsa_group_segment_fixed_size 0
		.amdhsa_private_segment_fixed_size 0
		.amdhsa_kernarg_size 112
		.amdhsa_user_sgpr_count 15
		.amdhsa_user_sgpr_dispatch_ptr 0
		.amdhsa_user_sgpr_queue_ptr 0
		.amdhsa_user_sgpr_kernarg_segment_ptr 1
		.amdhsa_user_sgpr_dispatch_id 0
		.amdhsa_user_sgpr_private_segment_size 0
		.amdhsa_wavefront_size32 1
		.amdhsa_uses_dynamic_stack 0
		.amdhsa_enable_private_segment 0
		.amdhsa_system_sgpr_workgroup_id_x 1
		.amdhsa_system_sgpr_workgroup_id_y 0
		.amdhsa_system_sgpr_workgroup_id_z 0
		.amdhsa_system_sgpr_workgroup_info 0
		.amdhsa_system_vgpr_workitem_id 0
		.amdhsa_next_free_vgpr 15
		.amdhsa_next_free_sgpr 16
		.amdhsa_reserve_vcc 1
		.amdhsa_float_round_mode_32 0
		.amdhsa_float_round_mode_16_64 0
		.amdhsa_float_denorm_mode_32 3
		.amdhsa_float_denorm_mode_16_64 3
		.amdhsa_dx10_clamp 1
		.amdhsa_ieee_mode 1
		.amdhsa_fp16_overflow 0
		.amdhsa_workgroup_processor_mode 1
		.amdhsa_memory_ordered 1
		.amdhsa_forward_progress 0
		.amdhsa_shared_vgpr_count 0
		.amdhsa_exception_fp_ieee_invalid_op 0
		.amdhsa_exception_fp_denorm_src 0
		.amdhsa_exception_fp_ieee_div_zero 0
		.amdhsa_exception_fp_ieee_overflow 0
		.amdhsa_exception_fp_ieee_underflow 0
		.amdhsa_exception_fp_ieee_inexact 0
		.amdhsa_exception_int_div_zero 0
	.end_amdhsa_kernel
	.section	.text._ZN9rocsparseL41csrmvn_lrb_medium_rows_warp_reduce_kernelILj256ELj32EliaaiiEEvbT1_lPT2_S3_jNS_24const_host_device_scalarIT6_EEPKS1_PKS2_PKT3_PKT4_S6_PT5_21rocsparse_index_base_b,"axG",@progbits,_ZN9rocsparseL41csrmvn_lrb_medium_rows_warp_reduce_kernelILj256ELj32EliaaiiEEvbT1_lPT2_S3_jNS_24const_host_device_scalarIT6_EEPKS1_PKS2_PKT3_PKT4_S6_PT5_21rocsparse_index_base_b,comdat
.Lfunc_end88:
	.size	_ZN9rocsparseL41csrmvn_lrb_medium_rows_warp_reduce_kernelILj256ELj32EliaaiiEEvbT1_lPT2_S3_jNS_24const_host_device_scalarIT6_EEPKS1_PKS2_PKT3_PKT4_S6_PT5_21rocsparse_index_base_b, .Lfunc_end88-_ZN9rocsparseL41csrmvn_lrb_medium_rows_warp_reduce_kernelILj256ELj32EliaaiiEEvbT1_lPT2_S3_jNS_24const_host_device_scalarIT6_EEPKS1_PKS2_PKT3_PKT4_S6_PT5_21rocsparse_index_base_b
                                        ; -- End function
	.section	.AMDGPU.csdata,"",@progbits
; Kernel info:
; codeLenInByte = 960
; NumSgprs: 18
; NumVgprs: 15
; ScratchSize: 0
; MemoryBound: 0
; FloatMode: 240
; IeeeMode: 1
; LDSByteSize: 0 bytes/workgroup (compile time only)
; SGPRBlocks: 2
; VGPRBlocks: 1
; NumSGPRsForWavesPerEU: 18
; NumVGPRsForWavesPerEU: 15
; Occupancy: 16
; WaveLimiterHint : 1
; COMPUTE_PGM_RSRC2:SCRATCH_EN: 0
; COMPUTE_PGM_RSRC2:USER_SGPR: 15
; COMPUTE_PGM_RSRC2:TRAP_HANDLER: 0
; COMPUTE_PGM_RSRC2:TGID_X_EN: 1
; COMPUTE_PGM_RSRC2:TGID_Y_EN: 0
; COMPUTE_PGM_RSRC2:TGID_Z_EN: 0
; COMPUTE_PGM_RSRC2:TIDIG_COMP_CNT: 0
	.section	.text._ZN9rocsparseL41csrmvn_lrb_medium_rows_warp_reduce_kernelILj256ELj64EliaaiiEEvbT1_lPT2_S3_jNS_24const_host_device_scalarIT6_EEPKS1_PKS2_PKT3_PKT4_S6_PT5_21rocsparse_index_base_b,"axG",@progbits,_ZN9rocsparseL41csrmvn_lrb_medium_rows_warp_reduce_kernelILj256ELj64EliaaiiEEvbT1_lPT2_S3_jNS_24const_host_device_scalarIT6_EEPKS1_PKS2_PKT3_PKT4_S6_PT5_21rocsparse_index_base_b,comdat
	.globl	_ZN9rocsparseL41csrmvn_lrb_medium_rows_warp_reduce_kernelILj256ELj64EliaaiiEEvbT1_lPT2_S3_jNS_24const_host_device_scalarIT6_EEPKS1_PKS2_PKT3_PKT4_S6_PT5_21rocsparse_index_base_b ; -- Begin function _ZN9rocsparseL41csrmvn_lrb_medium_rows_warp_reduce_kernelILj256ELj64EliaaiiEEvbT1_lPT2_S3_jNS_24const_host_device_scalarIT6_EEPKS1_PKS2_PKT3_PKT4_S6_PT5_21rocsparse_index_base_b
	.p2align	8
	.type	_ZN9rocsparseL41csrmvn_lrb_medium_rows_warp_reduce_kernelILj256ELj64EliaaiiEEvbT1_lPT2_S3_jNS_24const_host_device_scalarIT6_EEPKS1_PKS2_PKT3_PKT4_S6_PT5_21rocsparse_index_base_b,@function
_ZN9rocsparseL41csrmvn_lrb_medium_rows_warp_reduce_kernelILj256ELj64EliaaiiEEvbT1_lPT2_S3_jNS_24const_host_device_scalarIT6_EEPKS1_PKS2_PKT3_PKT4_S6_PT5_21rocsparse_index_base_b: ; @_ZN9rocsparseL41csrmvn_lrb_medium_rows_warp_reduce_kernelILj256ELj64EliaaiiEEvbT1_lPT2_S3_jNS_24const_host_device_scalarIT6_EEPKS1_PKS2_PKT3_PKT4_S6_PT5_21rocsparse_index_base_b
; %bb.0:
	s_clause 0x1
	s_load_b64 s[2:3], s[0:1], 0x68
	s_load_b64 s[6:7], s[0:1], 0x30
	s_mov_b32 s8, -1
                                        ; implicit-def: $sgpr14
	s_waitcnt lgkmcnt(0)
	s_bitcmp1_b32 s3, 0
	s_cselect_b32 s3, -1, 0
	s_delay_alu instid0(SALU_CYCLE_1) | instskip(NEXT) | instid1(SALU_CYCLE_1)
	s_xor_b32 s3, s3, -1
	s_and_b32 vcc_lo, exec_lo, s3
	s_cbranch_vccnz .LBB89_4
; %bb.1:
	s_load_b64 s[4:5], s[0:1], 0x58
	s_and_not1_b32 vcc_lo, exec_lo, s8
	s_cbranch_vccz .LBB89_5
.LBB89_2:
	s_and_b32 vcc_lo, exec_lo, s3
	s_cbranch_vccz .LBB89_6
.LBB89_3:
	s_waitcnt lgkmcnt(0)
	s_load_b32 s3, s[4:5], 0x0
	s_cbranch_execz .LBB89_7
	s_branch .LBB89_8
.LBB89_4:
	s_load_b32 s14, s[6:7], 0x0
	s_load_b64 s[4:5], s[0:1], 0x58
	s_cbranch_execnz .LBB89_2
.LBB89_5:
	s_waitcnt lgkmcnt(0)
	s_mov_b32 s14, s6
	s_and_b32 vcc_lo, exec_lo, s3
	s_cbranch_vccnz .LBB89_3
.LBB89_6:
	s_waitcnt lgkmcnt(0)
                                        ; implicit-def: $sgpr3
.LBB89_7:
	s_waitcnt lgkmcnt(0)
	s_mov_b32 s3, s4
.LBB89_8:
	s_cmp_lg_u32 s14, 0
	s_cselect_b32 s4, -1, 0
	s_waitcnt lgkmcnt(0)
	s_cmp_lg_u32 s3, 1
	s_cselect_b32 s5, -1, 0
	s_delay_alu instid0(SALU_CYCLE_1) | instskip(NEXT) | instid1(SALU_CYCLE_1)
	s_or_b32 s4, s4, s5
	s_and_not1_b32 vcc_lo, exec_lo, s4
	s_cbranch_vccnz .LBB89_18
; %bb.9:
	s_load_b64 s[4:5], s[0:1], 0x10
	v_lshrrev_b32_e32 v1, 6, v0
	s_delay_alu instid0(VALU_DEP_1) | instskip(NEXT) | instid1(VALU_DEP_1)
	v_lshl_or_b32 v1, s15, 2, v1
	v_ashrrev_i32_e32 v2, 31, v1
	s_waitcnt lgkmcnt(0)
	s_delay_alu instid0(VALU_DEP_1)
	v_cmp_gt_i64_e32 vcc_lo, s[4:5], v[1:2]
	s_and_saveexec_b32 s4, vcc_lo
	s_cbranch_execz .LBB89_18
; %bb.10:
	s_clause 0x1
	s_load_b32 s10, s[0:1], 0x28
	s_load_b128 s[4:7], s[0:1], 0x18
	s_mov_b32 s11, 0
	v_and_b32_e32 v9, 63, v0
	s_waitcnt lgkmcnt(0)
	s_lshl_b64 s[8:9], s[10:11], 2
	s_mov_b32 s10, exec_lo
	s_add_u32 s6, s6, s8
	s_addc_u32 s7, s7, s9
	s_load_b64 s[8:9], s[0:1], 0x60
	s_load_b32 s6, s[6:7], 0x0
	s_waitcnt lgkmcnt(0)
	v_add_nc_u32_e32 v1, s6, v1
	s_delay_alu instid0(VALU_DEP_1) | instskip(NEXT) | instid1(VALU_DEP_1)
	v_ashrrev_i32_e32 v2, 31, v1
	v_lshlrev_b64 v[1:2], 2, v[1:2]
	s_delay_alu instid0(VALU_DEP_1) | instskip(NEXT) | instid1(VALU_DEP_2)
	v_add_co_u32 v1, vcc_lo, s4, v1
	v_add_co_ci_u32_e32 v2, vcc_lo, s5, v2, vcc_lo
	s_load_b64 s[4:5], s[0:1], 0x38
	global_load_b32 v1, v[1:2], off
	s_waitcnt vmcnt(0)
	v_ashrrev_i32_e32 v2, 31, v1
	s_delay_alu instid0(VALU_DEP_1) | instskip(SKIP_1) | instid1(VALU_DEP_1)
	v_lshlrev_b64 v[3:4], 3, v[1:2]
	s_waitcnt lgkmcnt(0)
	v_add_co_u32 v3, vcc_lo, s4, v3
	s_delay_alu instid0(VALU_DEP_2) | instskip(SKIP_1) | instid1(VALU_DEP_1)
	v_add_co_ci_u32_e32 v4, vcc_lo, s5, v4, vcc_lo
	v_sub_co_u32 v0, s4, v9, s2
	v_sub_co_ci_u32_e64 v10, null, 0, 0, s4
	global_load_b128 v[5:8], v[3:4], off
	s_waitcnt vmcnt(0)
	v_sub_co_u32 v3, vcc_lo, v7, s2
	v_subrev_co_ci_u32_e32 v4, vcc_lo, 0, v8, vcc_lo
	v_add_co_u32 v5, vcc_lo, v5, v0
	v_add_co_ci_u32_e32 v6, vcc_lo, v6, v10, vcc_lo
	v_mov_b32_e32 v0, 0
	s_delay_alu instid0(VALU_DEP_2)
	v_cmpx_lt_i64_e64 v[5:6], v[3:4]
	s_cbranch_execz .LBB89_14
; %bb.11:
	s_clause 0x1
	s_load_b128 s[4:7], s[0:1], 0x40
	s_load_b64 s[12:13], s[0:1], 0x50
	v_lshlrev_b64 v[7:8], 2, v[5:6]
	v_mov_b32_e32 v0, 0
	s_waitcnt lgkmcnt(0)
	s_delay_alu instid0(VALU_DEP_2) | instskip(NEXT) | instid1(VALU_DEP_3)
	v_add_co_u32 v7, vcc_lo, s4, v7
	v_add_co_ci_u32_e32 v8, vcc_lo, s5, v8, vcc_lo
	.p2align	6
.LBB89_12:                              ; =>This Inner Loop Header: Depth=1
	global_load_b32 v11, v[7:8], off
	v_add_co_u32 v10, vcc_lo, s6, v5
	v_add_co_u32 v7, s0, 0x100, v7
	s_delay_alu instid0(VALU_DEP_1) | instskip(SKIP_3) | instid1(VALU_DEP_2)
	v_add_co_ci_u32_e64 v8, s0, 0, v8, s0
	s_waitcnt vmcnt(0)
	v_subrev_nc_u32_e32 v12, s2, v11
	v_add_co_ci_u32_e32 v11, vcc_lo, s7, v6, vcc_lo
	v_ashrrev_i32_e32 v13, 31, v12
	global_load_i8 v14, v[10:11], off
	v_add_co_u32 v10, vcc_lo, s12, v12
	v_add_co_ci_u32_e32 v11, vcc_lo, s13, v13, vcc_lo
	v_add_co_u32 v5, vcc_lo, v5, 64
	v_add_co_ci_u32_e32 v6, vcc_lo, 0, v6, vcc_lo
	global_load_i8 v12, v[10:11], off
	v_cmp_ge_i64_e32 vcc_lo, v[5:6], v[3:4]
	s_or_b32 s11, vcc_lo, s11
	s_waitcnt vmcnt(1)
	v_mul_lo_u32 v13, s14, v14
	s_waitcnt vmcnt(0)
	s_delay_alu instid0(VALU_DEP_1) | instskip(NEXT) | instid1(VALU_DEP_1)
	v_mad_u64_u32 v[10:11], null, v13, v12, v[0:1]
	v_mov_b32_e32 v0, v10
	s_and_not1_b32 exec_lo, exec_lo, s11
	s_cbranch_execnz .LBB89_12
; %bb.13:
	s_or_b32 exec_lo, exec_lo, s11
.LBB89_14:
	s_delay_alu instid0(SALU_CYCLE_1) | instskip(SKIP_1) | instid1(VALU_DEP_1)
	s_or_b32 exec_lo, exec_lo, s10
	v_mbcnt_lo_u32_b32 v3, -1, 0
	v_or_b32_e32 v4, 32, v3
	v_xor_b32_e32 v5, 16, v3
	s_delay_alu instid0(VALU_DEP_2) | instskip(SKIP_1) | instid1(VALU_DEP_3)
	v_cmp_gt_i32_e32 vcc_lo, 32, v4
	v_cndmask_b32_e32 v4, v3, v4, vcc_lo
	v_cmp_gt_i32_e32 vcc_lo, 32, v5
	v_cndmask_b32_e32 v5, v3, v5, vcc_lo
	s_delay_alu instid0(VALU_DEP_1) | instskip(NEXT) | instid1(VALU_DEP_4)
	v_lshlrev_b32_e32 v5, 2, v5
	v_lshlrev_b32_e32 v4, 2, v4
	ds_bpermute_b32 v4, v4, v0
	s_waitcnt lgkmcnt(0)
	v_add_nc_u32_e32 v0, v4, v0
	ds_bpermute_b32 v4, v5, v0
	v_xor_b32_e32 v5, 8, v3
	s_delay_alu instid0(VALU_DEP_1) | instskip(SKIP_1) | instid1(VALU_DEP_1)
	v_cmp_gt_i32_e32 vcc_lo, 32, v5
	v_cndmask_b32_e32 v5, v3, v5, vcc_lo
	v_lshlrev_b32_e32 v5, 2, v5
	s_waitcnt lgkmcnt(0)
	v_add_nc_u32_e32 v0, v4, v0
	ds_bpermute_b32 v4, v5, v0
	v_xor_b32_e32 v5, 4, v3
	s_delay_alu instid0(VALU_DEP_1) | instskip(SKIP_1) | instid1(VALU_DEP_1)
	v_cmp_gt_i32_e32 vcc_lo, 32, v5
	v_cndmask_b32_e32 v5, v3, v5, vcc_lo
	v_lshlrev_b32_e32 v5, 2, v5
	;; [unrolled: 8-line block ×3, first 2 shown]
	s_waitcnt lgkmcnt(0)
	v_add_nc_u32_e32 v0, v4, v0
	ds_bpermute_b32 v4, v5, v0
	v_xor_b32_e32 v5, 1, v3
	s_delay_alu instid0(VALU_DEP_1) | instskip(SKIP_2) | instid1(VALU_DEP_2)
	v_cmp_gt_i32_e32 vcc_lo, 32, v5
	v_cndmask_b32_e32 v3, v3, v5, vcc_lo
	v_cmp_eq_u32_e32 vcc_lo, 63, v9
	v_lshlrev_b32_e32 v3, 2, v3
	s_waitcnt lgkmcnt(0)
	v_add_nc_u32_e32 v0, v4, v0
	ds_bpermute_b32 v3, v3, v0
	s_and_b32 exec_lo, exec_lo, vcc_lo
	s_cbranch_execz .LBB89_18
; %bb.15:
	v_lshlrev_b64 v[1:2], 2, v[1:2]
	s_waitcnt lgkmcnt(0)
	v_add_nc_u32_e32 v0, v3, v0
	s_cmp_eq_u32 s3, 0
	s_cbranch_scc1 .LBB89_17
; %bb.16:
	s_delay_alu instid0(VALU_DEP_2) | instskip(SKIP_4) | instid1(VALU_DEP_1)
	v_add_co_u32 v3, vcc_lo, s8, v1
	v_add_co_ci_u32_e32 v4, vcc_lo, s9, v2, vcc_lo
	global_load_b32 v5, v[3:4], off
	s_waitcnt vmcnt(0)
	v_mad_u64_u32 v[3:4], null, v5, s3, v[0:1]
	v_mov_b32_e32 v0, v3
.LBB89_17:
	s_delay_alu instid0(VALU_DEP_2)
	v_add_co_u32 v1, vcc_lo, s8, v1
	v_add_co_ci_u32_e32 v2, vcc_lo, s9, v2, vcc_lo
	global_store_b32 v[1:2], v0, off
.LBB89_18:
	s_nop 0
	s_sendmsg sendmsg(MSG_DEALLOC_VGPRS)
	s_endpgm
	.section	.rodata,"a",@progbits
	.p2align	6, 0x0
	.amdhsa_kernel _ZN9rocsparseL41csrmvn_lrb_medium_rows_warp_reduce_kernelILj256ELj64EliaaiiEEvbT1_lPT2_S3_jNS_24const_host_device_scalarIT6_EEPKS1_PKS2_PKT3_PKT4_S6_PT5_21rocsparse_index_base_b
		.amdhsa_group_segment_fixed_size 0
		.amdhsa_private_segment_fixed_size 0
		.amdhsa_kernarg_size 112
		.amdhsa_user_sgpr_count 15
		.amdhsa_user_sgpr_dispatch_ptr 0
		.amdhsa_user_sgpr_queue_ptr 0
		.amdhsa_user_sgpr_kernarg_segment_ptr 1
		.amdhsa_user_sgpr_dispatch_id 0
		.amdhsa_user_sgpr_private_segment_size 0
		.amdhsa_wavefront_size32 1
		.amdhsa_uses_dynamic_stack 0
		.amdhsa_enable_private_segment 0
		.amdhsa_system_sgpr_workgroup_id_x 1
		.amdhsa_system_sgpr_workgroup_id_y 0
		.amdhsa_system_sgpr_workgroup_id_z 0
		.amdhsa_system_sgpr_workgroup_info 0
		.amdhsa_system_vgpr_workitem_id 0
		.amdhsa_next_free_vgpr 15
		.amdhsa_next_free_sgpr 16
		.amdhsa_reserve_vcc 1
		.amdhsa_float_round_mode_32 0
		.amdhsa_float_round_mode_16_64 0
		.amdhsa_float_denorm_mode_32 3
		.amdhsa_float_denorm_mode_16_64 3
		.amdhsa_dx10_clamp 1
		.amdhsa_ieee_mode 1
		.amdhsa_fp16_overflow 0
		.amdhsa_workgroup_processor_mode 1
		.amdhsa_memory_ordered 1
		.amdhsa_forward_progress 0
		.amdhsa_shared_vgpr_count 0
		.amdhsa_exception_fp_ieee_invalid_op 0
		.amdhsa_exception_fp_denorm_src 0
		.amdhsa_exception_fp_ieee_div_zero 0
		.amdhsa_exception_fp_ieee_overflow 0
		.amdhsa_exception_fp_ieee_underflow 0
		.amdhsa_exception_fp_ieee_inexact 0
		.amdhsa_exception_int_div_zero 0
	.end_amdhsa_kernel
	.section	.text._ZN9rocsparseL41csrmvn_lrb_medium_rows_warp_reduce_kernelILj256ELj64EliaaiiEEvbT1_lPT2_S3_jNS_24const_host_device_scalarIT6_EEPKS1_PKS2_PKT3_PKT4_S6_PT5_21rocsparse_index_base_b,"axG",@progbits,_ZN9rocsparseL41csrmvn_lrb_medium_rows_warp_reduce_kernelILj256ELj64EliaaiiEEvbT1_lPT2_S3_jNS_24const_host_device_scalarIT6_EEPKS1_PKS2_PKT3_PKT4_S6_PT5_21rocsparse_index_base_b,comdat
.Lfunc_end89:
	.size	_ZN9rocsparseL41csrmvn_lrb_medium_rows_warp_reduce_kernelILj256ELj64EliaaiiEEvbT1_lPT2_S3_jNS_24const_host_device_scalarIT6_EEPKS1_PKS2_PKT3_PKT4_S6_PT5_21rocsparse_index_base_b, .Lfunc_end89-_ZN9rocsparseL41csrmvn_lrb_medium_rows_warp_reduce_kernelILj256ELj64EliaaiiEEvbT1_lPT2_S3_jNS_24const_host_device_scalarIT6_EEPKS1_PKS2_PKT3_PKT4_S6_PT5_21rocsparse_index_base_b
                                        ; -- End function
	.section	.AMDGPU.csdata,"",@progbits
; Kernel info:
; codeLenInByte = 996
; NumSgprs: 18
; NumVgprs: 15
; ScratchSize: 0
; MemoryBound: 0
; FloatMode: 240
; IeeeMode: 1
; LDSByteSize: 0 bytes/workgroup (compile time only)
; SGPRBlocks: 2
; VGPRBlocks: 1
; NumSGPRsForWavesPerEU: 18
; NumVGPRsForWavesPerEU: 15
; Occupancy: 16
; WaveLimiterHint : 1
; COMPUTE_PGM_RSRC2:SCRATCH_EN: 0
; COMPUTE_PGM_RSRC2:USER_SGPR: 15
; COMPUTE_PGM_RSRC2:TRAP_HANDLER: 0
; COMPUTE_PGM_RSRC2:TGID_X_EN: 1
; COMPUTE_PGM_RSRC2:TGID_Y_EN: 0
; COMPUTE_PGM_RSRC2:TGID_Z_EN: 0
; COMPUTE_PGM_RSRC2:TIDIG_COMP_CNT: 0
	.section	.text._ZN9rocsparseL29csrmvn_lrb_medium_rows_kernelILj256EliaaiiEEvbT0_PT1_S3_jNS_24const_host_device_scalarIT5_EEPKS1_PKS2_PKT2_PKT3_S6_PT4_21rocsparse_index_base_b,"axG",@progbits,_ZN9rocsparseL29csrmvn_lrb_medium_rows_kernelILj256EliaaiiEEvbT0_PT1_S3_jNS_24const_host_device_scalarIT5_EEPKS1_PKS2_PKT2_PKT3_S6_PT4_21rocsparse_index_base_b,comdat
	.globl	_ZN9rocsparseL29csrmvn_lrb_medium_rows_kernelILj256EliaaiiEEvbT0_PT1_S3_jNS_24const_host_device_scalarIT5_EEPKS1_PKS2_PKT2_PKT3_S6_PT4_21rocsparse_index_base_b ; -- Begin function _ZN9rocsparseL29csrmvn_lrb_medium_rows_kernelILj256EliaaiiEEvbT0_PT1_S3_jNS_24const_host_device_scalarIT5_EEPKS1_PKS2_PKT2_PKT3_S6_PT4_21rocsparse_index_base_b
	.p2align	8
	.type	_ZN9rocsparseL29csrmvn_lrb_medium_rows_kernelILj256EliaaiiEEvbT0_PT1_S3_jNS_24const_host_device_scalarIT5_EEPKS1_PKS2_PKT2_PKT3_S6_PT4_21rocsparse_index_base_b,@function
_ZN9rocsparseL29csrmvn_lrb_medium_rows_kernelILj256EliaaiiEEvbT0_PT1_S3_jNS_24const_host_device_scalarIT5_EEPKS1_PKS2_PKT2_PKT3_S6_PT4_21rocsparse_index_base_b: ; @_ZN9rocsparseL29csrmvn_lrb_medium_rows_kernelILj256EliaaiiEEvbT0_PT1_S3_jNS_24const_host_device_scalarIT5_EEPKS1_PKS2_PKT2_PKT3_S6_PT4_21rocsparse_index_base_b
; %bb.0:
	s_clause 0x1
	s_load_b64 s[10:11], s[0:1], 0x60
	s_load_b64 s[4:5], s[0:1], 0x28
	s_mov_b32 s7, -1
                                        ; implicit-def: $sgpr16
	s_waitcnt lgkmcnt(0)
	s_bitcmp1_b32 s11, 0
	s_cselect_b32 s2, -1, 0
	s_delay_alu instid0(SALU_CYCLE_1) | instskip(NEXT) | instid1(SALU_CYCLE_1)
	s_xor_b32 s6, s2, -1
	s_and_b32 vcc_lo, exec_lo, s6
	s_cbranch_vccnz .LBB90_4
; %bb.1:
	s_load_b64 s[2:3], s[0:1], 0x50
	s_and_not1_b32 vcc_lo, exec_lo, s7
	s_cbranch_vccz .LBB90_5
.LBB90_2:
	s_and_b32 vcc_lo, exec_lo, s6
	s_cbranch_vccz .LBB90_6
.LBB90_3:
	s_waitcnt lgkmcnt(0)
	s_load_b32 s11, s[2:3], 0x0
	s_cbranch_execz .LBB90_7
	s_branch .LBB90_8
.LBB90_4:
	s_load_b32 s16, s[4:5], 0x0
	s_load_b64 s[2:3], s[0:1], 0x50
	s_cbranch_execnz .LBB90_2
.LBB90_5:
	s_waitcnt lgkmcnt(0)
	s_mov_b32 s16, s4
	s_and_b32 vcc_lo, exec_lo, s6
	s_cbranch_vccnz .LBB90_3
.LBB90_6:
	s_waitcnt lgkmcnt(0)
                                        ; implicit-def: $sgpr11
.LBB90_7:
	s_waitcnt lgkmcnt(0)
	s_mov_b32 s11, s2
.LBB90_8:
	s_cmp_lg_u32 s16, 0
	s_cselect_b32 s2, -1, 0
	s_waitcnt lgkmcnt(0)
	s_cmp_lg_u32 s11, 1
	s_cselect_b32 s3, -1, 0
	s_delay_alu instid0(SALU_CYCLE_1)
	s_or_b32 s2, s2, s3
	s_mov_b32 s3, 0
	s_and_not1_b32 vcc_lo, exec_lo, s2
	s_cbranch_vccnz .LBB90_33
; %bb.9:
	s_clause 0x1
	s_load_b32 s2, s[0:1], 0x20
	s_load_b128 s[4:7], s[0:1], 0x10
	v_sub_co_u32 v1, s12, v0, s10
	s_delay_alu instid0(VALU_DEP_1) | instskip(SKIP_4) | instid1(SALU_CYCLE_1)
	v_sub_co_ci_u32_e64 v2, null, 0, 0, s12
	v_mov_b32_e32 v3, 0
	s_mov_b32 s17, exec_lo
	s_waitcnt lgkmcnt(0)
	s_lshl_b64 s[2:3], s[2:3], 2
	s_add_u32 s2, s6, s2
	s_addc_u32 s3, s7, s3
	s_load_b32 s2, s[2:3], 0x0
	s_waitcnt lgkmcnt(0)
	s_add_i32 s2, s2, s15
	s_delay_alu instid0(SALU_CYCLE_1) | instskip(NEXT) | instid1(SALU_CYCLE_1)
	s_ashr_i32 s3, s2, 31
	s_lshl_b64 s[2:3], s[2:3], 2
	s_delay_alu instid0(SALU_CYCLE_1)
	s_add_u32 s2, s4, s2
	s_addc_u32 s3, s5, s3
	s_load_b32 s2, s[2:3], 0x0
	s_load_b64 s[4:5], s[0:1], 0x30
	s_waitcnt lgkmcnt(0)
	s_ashr_i32 s3, s2, 31
	s_delay_alu instid0(SALU_CYCLE_1) | instskip(NEXT) | instid1(SALU_CYCLE_1)
	s_lshl_b64 s[6:7], s[2:3], 3
	s_add_u32 s4, s4, s6
	s_addc_u32 s5, s5, s7
	s_load_b128 s[4:7], s[4:5], 0x0
	s_load_b64 s[8:9], s[0:1], 0x58
	s_waitcnt lgkmcnt(0)
	v_add_co_u32 v1, vcc_lo, s4, v1
	v_add_co_ci_u32_e32 v2, vcc_lo, s5, v2, vcc_lo
	s_sub_u32 s12, s6, s10
	s_subb_u32 s13, s7, 0
	s_delay_alu instid0(VALU_DEP_1) | instid1(SALU_CYCLE_1)
	v_cmpx_gt_i64_e64 s[12:13], v[1:2]
	s_cbranch_execz .LBB90_13
; %bb.10:
	s_clause 0x1
	s_load_b128 s[4:7], s[0:1], 0x38
	s_load_b64 s[14:15], s[0:1], 0x48
	v_lshlrev_b64 v[4:5], 2, v[1:2]
	v_mov_b32_e32 v3, 0
	s_mov_b32 s1, 0
	s_waitcnt lgkmcnt(0)
	s_delay_alu instid0(VALU_DEP_2) | instskip(NEXT) | instid1(VALU_DEP_3)
	v_add_co_u32 v4, vcc_lo, s4, v4
	v_add_co_ci_u32_e32 v5, vcc_lo, s5, v5, vcc_lo
	.p2align	6
.LBB90_11:                              ; =>This Inner Loop Header: Depth=1
	global_load_b32 v7, v[4:5], off
	v_add_co_u32 v6, vcc_lo, s6, v1
	s_waitcnt vmcnt(0)
	v_subrev_nc_u32_e32 v8, s10, v7
	v_add_co_ci_u32_e32 v7, vcc_lo, s7, v2, vcc_lo
	s_delay_alu instid0(VALU_DEP_2)
	v_ashrrev_i32_e32 v9, 31, v8
	global_load_i8 v10, v[6:7], off
	v_add_co_u32 v6, vcc_lo, s14, v8
	v_add_co_ci_u32_e32 v7, vcc_lo, s15, v9, vcc_lo
	v_add_co_u32 v1, vcc_lo, 0x100, v1
	v_add_co_ci_u32_e32 v2, vcc_lo, 0, v2, vcc_lo
	global_load_i8 v8, v[6:7], off
	v_cmp_le_i64_e32 vcc_lo, s[12:13], v[1:2]
	s_or_b32 s1, vcc_lo, s1
	s_waitcnt vmcnt(1)
	v_mul_lo_u32 v9, s16, v10
	s_waitcnt vmcnt(0)
	s_delay_alu instid0(VALU_DEP_1) | instskip(SKIP_1) | instid1(VALU_DEP_1)
	v_mad_u64_u32 v[6:7], null, v9, v8, v[3:4]
	v_add_co_u32 v4, s0, 0x400, v4
	v_add_co_ci_u32_e64 v5, s0, 0, v5, s0
	s_delay_alu instid0(VALU_DEP_3)
	v_mov_b32_e32 v3, v6
	s_and_not1_b32 exec_lo, exec_lo, s1
	s_cbranch_execnz .LBB90_11
; %bb.12:
	s_or_b32 exec_lo, exec_lo, s1
.LBB90_13:
	s_delay_alu instid0(SALU_CYCLE_1)
	s_or_b32 exec_lo, exec_lo, s17
	v_lshlrev_b32_e32 v1, 2, v0
	s_mov_b32 s0, exec_lo
	ds_store_b32 v1, v3
	s_waitcnt lgkmcnt(0)
	s_barrier
	buffer_gl0_inv
	v_cmpx_gt_u32_e32 0x80, v0
	s_cbranch_execz .LBB90_15
; %bb.14:
	ds_load_2addr_stride64_b32 v[2:3], v1 offset1:2
	s_waitcnt lgkmcnt(0)
	v_add_nc_u32_e32 v2, v3, v2
	ds_store_b32 v1, v2
.LBB90_15:
	s_or_b32 exec_lo, exec_lo, s0
	s_delay_alu instid0(SALU_CYCLE_1)
	s_mov_b32 s0, exec_lo
	s_waitcnt lgkmcnt(0)
	s_barrier
	buffer_gl0_inv
	v_cmpx_gt_u32_e32 64, v0
	s_cbranch_execz .LBB90_17
; %bb.16:
	ds_load_2addr_stride64_b32 v[2:3], v1 offset1:1
	s_waitcnt lgkmcnt(0)
	v_add_nc_u32_e32 v2, v3, v2
	ds_store_b32 v1, v2
.LBB90_17:
	s_or_b32 exec_lo, exec_lo, s0
	s_delay_alu instid0(SALU_CYCLE_1)
	s_mov_b32 s0, exec_lo
	s_waitcnt lgkmcnt(0)
	s_barrier
	buffer_gl0_inv
	v_cmpx_gt_u32_e32 32, v0
	s_cbranch_execz .LBB90_19
; %bb.18:
	ds_load_2addr_b32 v[2:3], v1 offset1:32
	s_waitcnt lgkmcnt(0)
	v_add_nc_u32_e32 v2, v3, v2
	ds_store_b32 v1, v2
.LBB90_19:
	s_or_b32 exec_lo, exec_lo, s0
	s_delay_alu instid0(SALU_CYCLE_1)
	s_mov_b32 s0, exec_lo
	s_waitcnt lgkmcnt(0)
	s_barrier
	buffer_gl0_inv
	v_cmpx_gt_u32_e32 16, v0
	s_cbranch_execz .LBB90_21
; %bb.20:
	ds_load_2addr_b32 v[2:3], v1 offset1:16
	s_waitcnt lgkmcnt(0)
	v_add_nc_u32_e32 v2, v3, v2
	ds_store_b32 v1, v2
.LBB90_21:
	;; [unrolled: 14-line block ×5, first 2 shown]
	s_or_b32 exec_lo, exec_lo, s0
	v_cmp_eq_u32_e32 vcc_lo, 0, v0
	s_waitcnt lgkmcnt(0)
	s_barrier
	buffer_gl0_inv
	s_and_saveexec_b32 s0, vcc_lo
	s_cbranch_execz .LBB90_29
; %bb.28:
	v_mov_b32_e32 v2, 0
	ds_load_b64 v[0:1], v2
	s_waitcnt lgkmcnt(0)
	v_add_nc_u32_e32 v0, v1, v0
	ds_store_b32 v2, v0
.LBB90_29:
	s_or_b32 exec_lo, exec_lo, s0
	s_waitcnt lgkmcnt(0)
	s_barrier
	buffer_gl0_inv
	s_and_saveexec_b32 s0, vcc_lo
	s_cbranch_execz .LBB90_33
; %bb.30:
	v_mov_b32_e32 v0, 0
	s_cmp_eq_u32 s11, 0
	ds_load_b32 v1, v0
	s_cbranch_scc1 .LBB90_32
; %bb.31:
	s_lshl_b64 s[0:1], s[2:3], 2
	s_delay_alu instid0(SALU_CYCLE_1) | instskip(SKIP_4) | instid1(SALU_CYCLE_1)
	s_add_u32 s0, s8, s0
	s_addc_u32 s1, s9, s1
	s_load_b32 s0, s[0:1], 0x0
	s_waitcnt lgkmcnt(0)
	s_mul_i32 s0, s0, s11
	v_add_nc_u32_e32 v1, s0, v1
.LBB90_32:
	s_lshl_b64 s[0:1], s[2:3], 2
	s_delay_alu instid0(SALU_CYCLE_1)
	s_add_u32 s0, s8, s0
	s_addc_u32 s1, s9, s1
	s_waitcnt lgkmcnt(0)
	global_store_b32 v0, v1, s[0:1]
.LBB90_33:
	s_nop 0
	s_sendmsg sendmsg(MSG_DEALLOC_VGPRS)
	s_endpgm
	.section	.rodata,"a",@progbits
	.p2align	6, 0x0
	.amdhsa_kernel _ZN9rocsparseL29csrmvn_lrb_medium_rows_kernelILj256EliaaiiEEvbT0_PT1_S3_jNS_24const_host_device_scalarIT5_EEPKS1_PKS2_PKT2_PKT3_S6_PT4_21rocsparse_index_base_b
		.amdhsa_group_segment_fixed_size 1024
		.amdhsa_private_segment_fixed_size 0
		.amdhsa_kernarg_size 104
		.amdhsa_user_sgpr_count 15
		.amdhsa_user_sgpr_dispatch_ptr 0
		.amdhsa_user_sgpr_queue_ptr 0
		.amdhsa_user_sgpr_kernarg_segment_ptr 1
		.amdhsa_user_sgpr_dispatch_id 0
		.amdhsa_user_sgpr_private_segment_size 0
		.amdhsa_wavefront_size32 1
		.amdhsa_uses_dynamic_stack 0
		.amdhsa_enable_private_segment 0
		.amdhsa_system_sgpr_workgroup_id_x 1
		.amdhsa_system_sgpr_workgroup_id_y 0
		.amdhsa_system_sgpr_workgroup_id_z 0
		.amdhsa_system_sgpr_workgroup_info 0
		.amdhsa_system_vgpr_workitem_id 0
		.amdhsa_next_free_vgpr 11
		.amdhsa_next_free_sgpr 18
		.amdhsa_reserve_vcc 1
		.amdhsa_float_round_mode_32 0
		.amdhsa_float_round_mode_16_64 0
		.amdhsa_float_denorm_mode_32 3
		.amdhsa_float_denorm_mode_16_64 3
		.amdhsa_dx10_clamp 1
		.amdhsa_ieee_mode 1
		.amdhsa_fp16_overflow 0
		.amdhsa_workgroup_processor_mode 1
		.amdhsa_memory_ordered 1
		.amdhsa_forward_progress 0
		.amdhsa_shared_vgpr_count 0
		.amdhsa_exception_fp_ieee_invalid_op 0
		.amdhsa_exception_fp_denorm_src 0
		.amdhsa_exception_fp_ieee_div_zero 0
		.amdhsa_exception_fp_ieee_overflow 0
		.amdhsa_exception_fp_ieee_underflow 0
		.amdhsa_exception_fp_ieee_inexact 0
		.amdhsa_exception_int_div_zero 0
	.end_amdhsa_kernel
	.section	.text._ZN9rocsparseL29csrmvn_lrb_medium_rows_kernelILj256EliaaiiEEvbT0_PT1_S3_jNS_24const_host_device_scalarIT5_EEPKS1_PKS2_PKT2_PKT3_S6_PT4_21rocsparse_index_base_b,"axG",@progbits,_ZN9rocsparseL29csrmvn_lrb_medium_rows_kernelILj256EliaaiiEEvbT0_PT1_S3_jNS_24const_host_device_scalarIT5_EEPKS1_PKS2_PKT2_PKT3_S6_PT4_21rocsparse_index_base_b,comdat
.Lfunc_end90:
	.size	_ZN9rocsparseL29csrmvn_lrb_medium_rows_kernelILj256EliaaiiEEvbT0_PT1_S3_jNS_24const_host_device_scalarIT5_EEPKS1_PKS2_PKT2_PKT3_S6_PT4_21rocsparse_index_base_b, .Lfunc_end90-_ZN9rocsparseL29csrmvn_lrb_medium_rows_kernelILj256EliaaiiEEvbT0_PT1_S3_jNS_24const_host_device_scalarIT5_EEPKS1_PKS2_PKT2_PKT3_S6_PT4_21rocsparse_index_base_b
                                        ; -- End function
	.section	.AMDGPU.csdata,"",@progbits
; Kernel info:
; codeLenInByte = 1216
; NumSgprs: 20
; NumVgprs: 11
; ScratchSize: 0
; MemoryBound: 0
; FloatMode: 240
; IeeeMode: 1
; LDSByteSize: 1024 bytes/workgroup (compile time only)
; SGPRBlocks: 2
; VGPRBlocks: 1
; NumSGPRsForWavesPerEU: 20
; NumVGPRsForWavesPerEU: 11
; Occupancy: 16
; WaveLimiterHint : 1
; COMPUTE_PGM_RSRC2:SCRATCH_EN: 0
; COMPUTE_PGM_RSRC2:USER_SGPR: 15
; COMPUTE_PGM_RSRC2:TRAP_HANDLER: 0
; COMPUTE_PGM_RSRC2:TGID_X_EN: 1
; COMPUTE_PGM_RSRC2:TGID_Y_EN: 0
; COMPUTE_PGM_RSRC2:TGID_Z_EN: 0
; COMPUTE_PGM_RSRC2:TIDIG_COMP_CNT: 0
	.section	.text._ZN9rocsparseL27csrmvn_lrb_long_rows_kernelIliaaiiEEvbT_PjPT0_S4_jNS_24const_host_device_scalarIT4_EEPKS1_PKS3_PKT1_PKT2_S7_PT3_21rocsparse_index_base_b,"axG",@progbits,_ZN9rocsparseL27csrmvn_lrb_long_rows_kernelIliaaiiEEvbT_PjPT0_S4_jNS_24const_host_device_scalarIT4_EEPKS1_PKS3_PKT1_PKT2_S7_PT3_21rocsparse_index_base_b,comdat
	.globl	_ZN9rocsparseL27csrmvn_lrb_long_rows_kernelIliaaiiEEvbT_PjPT0_S4_jNS_24const_host_device_scalarIT4_EEPKS1_PKS3_PKT1_PKT2_S7_PT3_21rocsparse_index_base_b ; -- Begin function _ZN9rocsparseL27csrmvn_lrb_long_rows_kernelIliaaiiEEvbT_PjPT0_S4_jNS_24const_host_device_scalarIT4_EEPKS1_PKS3_PKT1_PKT2_S7_PT3_21rocsparse_index_base_b
	.p2align	8
	.type	_ZN9rocsparseL27csrmvn_lrb_long_rows_kernelIliaaiiEEvbT_PjPT0_S4_jNS_24const_host_device_scalarIT4_EEPKS1_PKS3_PKT1_PKT2_S7_PT3_21rocsparse_index_base_b,@function
_ZN9rocsparseL27csrmvn_lrb_long_rows_kernelIliaaiiEEvbT_PjPT0_S4_jNS_24const_host_device_scalarIT4_EEPKS1_PKS3_PKT1_PKT2_S7_PT3_21rocsparse_index_base_b: ; @_ZN9rocsparseL27csrmvn_lrb_long_rows_kernelIliaaiiEEvbT_PjPT0_S4_jNS_24const_host_device_scalarIT4_EEPKS1_PKS3_PKT1_PKT2_S7_PT3_21rocsparse_index_base_b
; %bb.0:
	s_clause 0x1
	s_load_b64 s[16:17], s[0:1], 0x68
	s_load_b64 s[4:5], s[0:1], 0x30
	s_mov_b32 s8, s15
	s_mov_b32 s7, -1
                                        ; implicit-def: $sgpr25
	s_waitcnt lgkmcnt(0)
	s_bitcmp1_b32 s17, 0
	s_cselect_b32 s2, -1, 0
	s_delay_alu instid0(SALU_CYCLE_1) | instskip(NEXT) | instid1(SALU_CYCLE_1)
	s_xor_b32 s6, s2, -1
	s_and_b32 vcc_lo, exec_lo, s6
	s_cbranch_vccnz .LBB91_4
; %bb.1:
	s_load_b64 s[2:3], s[0:1], 0x58
	s_and_not1_b32 vcc_lo, exec_lo, s7
	s_cbranch_vccz .LBB91_5
.LBB91_2:
	s_and_b32 vcc_lo, exec_lo, s6
	s_cbranch_vccz .LBB91_6
.LBB91_3:
	s_waitcnt lgkmcnt(0)
	s_load_b32 s15, s[2:3], 0x0
	s_cbranch_execz .LBB91_7
	s_branch .LBB91_8
.LBB91_4:
	s_load_b32 s25, s[4:5], 0x0
	s_load_b64 s[2:3], s[0:1], 0x58
	s_cbranch_execnz .LBB91_2
.LBB91_5:
	s_waitcnt lgkmcnt(0)
	s_mov_b32 s25, s4
	s_and_b32 vcc_lo, exec_lo, s6
	s_cbranch_vccnz .LBB91_3
.LBB91_6:
	s_waitcnt lgkmcnt(0)
                                        ; implicit-def: $sgpr15
.LBB91_7:
	s_waitcnt lgkmcnt(0)
	s_mov_b32 s15, s2
.LBB91_8:
	s_cmp_lg_u32 s25, 0
	s_cselect_b32 s2, -1, 0
	s_waitcnt lgkmcnt(0)
	s_cmp_lg_u32 s15, 1
	s_cselect_b32 s3, -1, 0
	s_delay_alu instid0(SALU_CYCLE_1)
	s_or_b32 s2, s2, s3
	s_mov_b32 s3, 0
	s_and_not1_b32 vcc_lo, exec_lo, s2
	s_cbranch_vccnz .LBB91_42
; %bb.9:
	s_clause 0x1
	s_load_b32 s2, s[0:1], 0x28
	s_load_b64 s[4:5], s[0:1], 0x20
	s_waitcnt lgkmcnt(0)
	s_lshl_b64 s[6:7], s[2:3], 2
	s_delay_alu instid0(SALU_CYCLE_1)
	s_add_u32 s4, s4, s6
	s_addc_u32 s5, s5, s7
	s_lshl_b32 s2, -1, s2
	s_load_b32 s10, s[4:5], 0x0
	s_not_b32 s2, s2
	s_load_b128 s[4:7], s[0:1], 0x10
	s_mul_hi_u32 s2, s2, 0x2aaaaaab
	s_delay_alu instid0(SALU_CYCLE_1) | instskip(NEXT) | instid1(SALU_CYCLE_1)
	s_lshr_b32 s2, s2, 7
	s_add_i32 s9, s2, 1
	s_not_b32 s2, s2
	v_cvt_f32_u32_e32 v1, s9
	s_delay_alu instid0(VALU_DEP_1) | instskip(SKIP_2) | instid1(VALU_DEP_1)
	v_rcp_iflag_f32_e32 v1, v1
	s_waitcnt_depctr 0xfff
	v_mul_f32_e32 v1, 0x4f7ffffe, v1
	v_cvt_u32_f32_e32 v1, v1
	s_delay_alu instid0(VALU_DEP_1) | instskip(NEXT) | instid1(VALU_DEP_1)
	v_readfirstlane_b32 s3, v1
	s_mul_i32 s2, s2, s3
	s_delay_alu instid0(SALU_CYCLE_1) | instskip(NEXT) | instid1(SALU_CYCLE_1)
	s_mul_hi_u32 s2, s3, s2
	s_add_i32 s3, s3, s2
	s_delay_alu instid0(SALU_CYCLE_1) | instskip(NEXT) | instid1(SALU_CYCLE_1)
	s_mul_hi_u32 s2, s8, s3
	s_mul_i32 s3, s2, s9
	s_add_i32 s11, s2, 1
	s_sub_i32 s3, s8, s3
	s_delay_alu instid0(SALU_CYCLE_1)
	s_sub_i32 s12, s3, s9
	s_cmp_ge_u32 s3, s9
	s_cselect_b32 s2, s11, s2
	s_cselect_b32 s3, s12, s3
	s_add_i32 s11, s2, 1
	s_cmp_ge_u32 s3, s9
	s_cselect_b32 s11, s11, s2
	s_waitcnt lgkmcnt(0)
	s_add_i32 s2, s11, s10
	s_mul_i32 s14, s11, s9
	s_ashr_i32 s3, s2, 31
	s_sub_i32 s24, s8, s14
	s_lshl_b64 s[2:3], s[2:3], 2
	v_or_b32_e32 v1, s24, v0
	s_add_u32 s2, s6, s2
	s_addc_u32 s3, s7, s3
	s_load_b32 s2, s[2:3], 0x0
	s_load_b64 s[6:7], s[0:1], 0x38
	v_cmp_eq_u32_e32 vcc_lo, 0, v1
	v_mov_b32_e32 v1, 0
	s_waitcnt lgkmcnt(0)
	s_ashr_i32 s3, s2, 31
	s_delay_alu instid0(SALU_CYCLE_1) | instskip(NEXT) | instid1(SALU_CYCLE_1)
	s_lshl_b64 s[10:11], s[2:3], 3
	s_add_u32 s10, s6, s10
	s_addc_u32 s11, s7, s11
	s_ashr_i32 s9, s8, 31
	s_load_b64 s[6:7], s[0:1], 0x60
	s_lshl_b64 s[8:9], s[8:9], 2
	s_delay_alu instid0(SALU_CYCLE_1)
	s_add_u32 s12, s4, s8
	s_addc_u32 s13, s5, s9
	s_load_b128 s[8:11], s[10:11], 0x0
	s_load_b32 s17, s[12:13], 0x0
	s_and_saveexec_b32 s18, vcc_lo
	s_cbranch_execz .LBB91_13
; %bb.10:
	s_lshl_b64 s[20:21], s[2:3], 2
	s_mov_b32 s19, exec_lo
	s_waitcnt lgkmcnt(0)
	s_add_u32 s20, s6, s20
	s_addc_u32 s21, s7, s21
	v_mbcnt_lo_u32_b32 v1, s19, 0
	s_load_b32 s20, s[20:21], 0x0
	s_add_i32 s15, s15, -1
	s_mov_b32 s21, exec_lo
	s_waitcnt vmcnt(0) expcnt(0) lgkmcnt(0)
	s_mul_i32 s20, s20, s15
	v_cmpx_eq_u32_e32 0, v1
	s_cbranch_execz .LBB91_12
; %bb.11:
	s_ashr_i32 s15, s14, 31
	s_delay_alu instid0(SALU_CYCLE_1) | instskip(NEXT) | instid1(SALU_CYCLE_1)
	s_lshl_b64 s[22:23], s[14:15], 2
	s_add_u32 s22, s4, s22
	s_addc_u32 s23, s5, s23
	s_bcnt1_i32_b32 s15, s19
	s_delay_alu instid0(SALU_CYCLE_1) | instskip(NEXT) | instid1(SALU_CYCLE_1)
	s_and_b32 s15, s15, 1
	v_dual_mov_b32 v1, 0 :: v_dual_mov_b32 v2, s15
	global_atomic_xor_b32 v1, v2, s[22:23]
.LBB91_12:
	s_or_b32 exec_lo, exec_lo, s21
	v_mov_b32_e32 v1, s20
.LBB91_13:
	s_or_b32 exec_lo, exec_lo, s18
	s_mul_i32 s18, s24, 3
	s_mov_b32 s19, 0
	s_delay_alu instid0(SALU_CYCLE_1)
	s_lshl_b64 s[20:21], s[18:19], 8
	s_waitcnt lgkmcnt(0)
	s_sub_u32 s8, s8, s16
	s_subb_u32 s9, s9, 0
	s_add_u32 s15, s8, s20
	s_addc_u32 s18, s9, s21
	s_sub_u32 s8, s10, s16
	s_subb_u32 s9, s11, 0
	s_add_u32 s10, s15, 0x300
	s_addc_u32 s11, s18, 0
	v_add_co_u32 v2, s15, s15, v0
	v_cmp_lt_i64_e64 s20, s[10:11], s[8:9]
	v_add_co_ci_u32_e64 v3, null, s18, 0, s15
	s_delay_alu instid0(VALU_DEP_2)
	s_and_b32 s15, s20, exec_lo
	s_cselect_b32 s21, s11, s9
	s_cselect_b32 s20, s10, s8
	s_mov_b32 s15, exec_lo
	v_cmpx_gt_i64_e64 s[20:21], v[2:3]
	s_cbranch_execz .LBB91_17
; %bb.14:
	s_clause 0x1
	s_load_b128 s[8:11], s[0:1], 0x40
	s_load_b64 s[22:23], s[0:1], 0x50
	v_lshlrev_b64 v[4:5], 2, v[2:3]
	s_waitcnt lgkmcnt(0)
	s_delay_alu instid0(VALU_DEP_1) | instskip(NEXT) | instid1(VALU_DEP_2)
	v_add_co_u32 v4, vcc_lo, s8, v4
	v_add_co_ci_u32_e32 v5, vcc_lo, s9, v5, vcc_lo
	.p2align	6
.LBB91_15:                              ; =>This Inner Loop Header: Depth=1
	global_load_b32 v7, v[4:5], off
	v_add_co_u32 v6, vcc_lo, s10, v2
	v_add_co_u32 v4, s0, 0x400, v4
	s_delay_alu instid0(VALU_DEP_1) | instskip(SKIP_3) | instid1(VALU_DEP_2)
	v_add_co_ci_u32_e64 v5, s0, 0, v5, s0
	s_waitcnt vmcnt(0)
	v_subrev_nc_u32_e32 v8, s16, v7
	v_add_co_ci_u32_e32 v7, vcc_lo, s11, v3, vcc_lo
	v_ashrrev_i32_e32 v9, 31, v8
	global_load_i8 v10, v[6:7], off
	v_add_co_u32 v6, vcc_lo, s22, v8
	v_add_co_ci_u32_e32 v7, vcc_lo, s23, v9, vcc_lo
	v_add_co_u32 v2, vcc_lo, 0x100, v2
	v_add_co_ci_u32_e32 v3, vcc_lo, 0, v3, vcc_lo
	global_load_i8 v8, v[6:7], off
	v_cmp_le_i64_e32 vcc_lo, s[20:21], v[2:3]
	s_or_b32 s19, vcc_lo, s19
	s_waitcnt vmcnt(1)
	v_mul_lo_u32 v9, s25, v10
	s_waitcnt vmcnt(0)
	s_delay_alu instid0(VALU_DEP_1) | instskip(NEXT) | instid1(VALU_DEP_1)
	v_mad_u64_u32 v[6:7], null, v9, v8, v[1:2]
	v_mov_b32_e32 v1, v6
	s_and_not1_b32 exec_lo, exec_lo, s19
	s_cbranch_execnz .LBB91_15
; %bb.16:
	s_or_b32 exec_lo, exec_lo, s19
.LBB91_17:
	s_delay_alu instid0(SALU_CYCLE_1)
	s_or_b32 exec_lo, exec_lo, s15
	v_lshlrev_b32_e32 v2, 2, v0
	s_mov_b32 s0, exec_lo
	ds_store_b32 v2, v1
	s_waitcnt lgkmcnt(0)
	s_waitcnt_vscnt null, 0x0
	s_barrier
	buffer_gl0_inv
	v_cmpx_gt_u32_e32 0x80, v0
	s_cbranch_execz .LBB91_19
; %bb.18:
	ds_load_2addr_stride64_b32 v[3:4], v2 offset1:2
	s_waitcnt lgkmcnt(0)
	v_add_nc_u32_e32 v1, v4, v3
	ds_store_b32 v2, v1
.LBB91_19:
	s_or_b32 exec_lo, exec_lo, s0
	s_delay_alu instid0(SALU_CYCLE_1)
	s_mov_b32 s0, exec_lo
	s_waitcnt lgkmcnt(0)
	s_barrier
	buffer_gl0_inv
	v_cmpx_gt_u32_e32 64, v0
	s_cbranch_execz .LBB91_21
; %bb.20:
	ds_load_2addr_stride64_b32 v[3:4], v2 offset1:1
	s_waitcnt lgkmcnt(0)
	v_add_nc_u32_e32 v1, v4, v3
	ds_store_b32 v2, v1
.LBB91_21:
	s_or_b32 exec_lo, exec_lo, s0
	s_delay_alu instid0(SALU_CYCLE_1)
	s_mov_b32 s0, exec_lo
	s_waitcnt lgkmcnt(0)
	s_barrier
	buffer_gl0_inv
	v_cmpx_gt_u32_e32 32, v0
	s_cbranch_execz .LBB91_23
; %bb.22:
	ds_load_2addr_b32 v[3:4], v2 offset1:32
	s_waitcnt lgkmcnt(0)
	v_add_nc_u32_e32 v1, v4, v3
	ds_store_b32 v2, v1
.LBB91_23:
	s_or_b32 exec_lo, exec_lo, s0
	s_delay_alu instid0(SALU_CYCLE_1)
	s_mov_b32 s0, exec_lo
	s_waitcnt lgkmcnt(0)
	s_barrier
	buffer_gl0_inv
	v_cmpx_gt_u32_e32 16, v0
	s_cbranch_execz .LBB91_25
; %bb.24:
	ds_load_2addr_b32 v[3:4], v2 offset1:16
	s_waitcnt lgkmcnt(0)
	v_add_nc_u32_e32 v1, v4, v3
	ds_store_b32 v2, v1
.LBB91_25:
	;; [unrolled: 14-line block ×5, first 2 shown]
	s_or_b32 exec_lo, exec_lo, s0
	v_cmp_eq_u32_e32 vcc_lo, 0, v0
	s_waitcnt lgkmcnt(0)
	s_barrier
	buffer_gl0_inv
	s_and_saveexec_b32 s0, vcc_lo
	s_cbranch_execz .LBB91_33
; %bb.32:
	v_mov_b32_e32 v2, 0
	ds_load_b64 v[0:1], v2
	s_waitcnt lgkmcnt(0)
	v_add_nc_u32_e32 v0, v1, v0
	ds_store_b32 v2, v0
.LBB91_33:
	s_or_b32 exec_lo, exec_lo, s0
	s_waitcnt lgkmcnt(0)
	s_barrier
	buffer_gl0_inv
	s_and_saveexec_b32 s0, vcc_lo
	s_cbranch_execz .LBB91_42
; %bb.34:
	s_cmp_eq_u32 s24, 0
	s_cbranch_scc1 .LBB91_40
; %bb.35:
	s_ashr_i32 s15, s14, 31
	v_mov_b32_e32 v0, 0
	s_lshl_b64 s[0:1], s[14:15], 2
	s_delay_alu instid0(SALU_CYCLE_1)
	s_add_u32 s0, s4, s0
	s_addc_u32 s1, s5, s1
	s_branch .LBB91_37
.LBB91_36:                              ;   in Loop: Header=BB91_37 Depth=1
	s_or_b32 exec_lo, exec_lo, s4
	s_waitcnt vmcnt(0)
	v_readfirstlane_b32 s4, v1
	s_delay_alu instid0(VALU_DEP_1)
	s_cmp_eq_u32 s4, s17
	s_cbranch_scc0 .LBB91_39
.LBB91_37:                              ; =>This Inner Loop Header: Depth=1
	v_mbcnt_lo_u32_b32 v1, exec_lo, 0
	s_delay_alu instid0(VALU_DEP_1)
	v_cmp_eq_u32_e32 vcc_lo, 0, v1
                                        ; implicit-def: $vgpr1
	s_and_saveexec_b32 s4, vcc_lo
	s_cbranch_execz .LBB91_36
; %bb.38:                               ;   in Loop: Header=BB91_37 Depth=1
	global_load_b32 v1, v0, s[0:1] glc
	s_branch .LBB91_36
.LBB91_39:
	v_mov_b32_e32 v0, 0
	global_load_b32 v1, v0, s[12:13]
	s_waitcnt vmcnt(0)
	v_xor_b32_e32 v1, 1, v1
	global_store_b32 v0, v1, s[12:13]
.LBB91_40:
	s_mov_b32 s0, exec_lo
	s_delay_alu instid0(SALU_CYCLE_1) | instskip(NEXT) | instid1(VALU_DEP_1)
	v_mbcnt_lo_u32_b32 v0, s0, 0
	v_cmp_eq_u32_e32 vcc_lo, 0, v0
	s_and_b32 s1, exec_lo, vcc_lo
	s_delay_alu instid0(SALU_CYCLE_1)
	s_mov_b32 exec_lo, s1
	s_cbranch_execz .LBB91_42
; %bb.41:
	v_mov_b32_e32 v0, 0
	s_lshl_b64 s[2:3], s[2:3], 2
	s_delay_alu instid0(SALU_CYCLE_1)
	s_add_u32 s2, s6, s2
	s_addc_u32 s3, s7, s3
	ds_load_b32 v1, v0
	s_bcnt1_i32_b32 s0, s0
	s_waitcnt lgkmcnt(0)
	v_mul_lo_u32 v1, v1, s0
	global_atomic_add_u32 v0, v1, s[2:3]
.LBB91_42:
	s_nop 0
	s_sendmsg sendmsg(MSG_DEALLOC_VGPRS)
	s_endpgm
	.section	.rodata,"a",@progbits
	.p2align	6, 0x0
	.amdhsa_kernel _ZN9rocsparseL27csrmvn_lrb_long_rows_kernelIliaaiiEEvbT_PjPT0_S4_jNS_24const_host_device_scalarIT4_EEPKS1_PKS3_PKT1_PKT2_S7_PT3_21rocsparse_index_base_b
		.amdhsa_group_segment_fixed_size 1024
		.amdhsa_private_segment_fixed_size 0
		.amdhsa_kernarg_size 112
		.amdhsa_user_sgpr_count 15
		.amdhsa_user_sgpr_dispatch_ptr 0
		.amdhsa_user_sgpr_queue_ptr 0
		.amdhsa_user_sgpr_kernarg_segment_ptr 1
		.amdhsa_user_sgpr_dispatch_id 0
		.amdhsa_user_sgpr_private_segment_size 0
		.amdhsa_wavefront_size32 1
		.amdhsa_uses_dynamic_stack 0
		.amdhsa_enable_private_segment 0
		.amdhsa_system_sgpr_workgroup_id_x 1
		.amdhsa_system_sgpr_workgroup_id_y 0
		.amdhsa_system_sgpr_workgroup_id_z 0
		.amdhsa_system_sgpr_workgroup_info 0
		.amdhsa_system_vgpr_workitem_id 0
		.amdhsa_next_free_vgpr 11
		.amdhsa_next_free_sgpr 26
		.amdhsa_reserve_vcc 1
		.amdhsa_float_round_mode_32 0
		.amdhsa_float_round_mode_16_64 0
		.amdhsa_float_denorm_mode_32 3
		.amdhsa_float_denorm_mode_16_64 3
		.amdhsa_dx10_clamp 1
		.amdhsa_ieee_mode 1
		.amdhsa_fp16_overflow 0
		.amdhsa_workgroup_processor_mode 1
		.amdhsa_memory_ordered 1
		.amdhsa_forward_progress 0
		.amdhsa_shared_vgpr_count 0
		.amdhsa_exception_fp_ieee_invalid_op 0
		.amdhsa_exception_fp_denorm_src 0
		.amdhsa_exception_fp_ieee_div_zero 0
		.amdhsa_exception_fp_ieee_overflow 0
		.amdhsa_exception_fp_ieee_underflow 0
		.amdhsa_exception_fp_ieee_inexact 0
		.amdhsa_exception_int_div_zero 0
	.end_amdhsa_kernel
	.section	.text._ZN9rocsparseL27csrmvn_lrb_long_rows_kernelIliaaiiEEvbT_PjPT0_S4_jNS_24const_host_device_scalarIT4_EEPKS1_PKS3_PKT1_PKT2_S7_PT3_21rocsparse_index_base_b,"axG",@progbits,_ZN9rocsparseL27csrmvn_lrb_long_rows_kernelIliaaiiEEvbT_PjPT0_S4_jNS_24const_host_device_scalarIT4_EEPKS1_PKS3_PKT1_PKT2_S7_PT3_21rocsparse_index_base_b,comdat
.Lfunc_end91:
	.size	_ZN9rocsparseL27csrmvn_lrb_long_rows_kernelIliaaiiEEvbT_PjPT0_S4_jNS_24const_host_device_scalarIT4_EEPKS1_PKS3_PKT1_PKT2_S7_PT3_21rocsparse_index_base_b, .Lfunc_end91-_ZN9rocsparseL27csrmvn_lrb_long_rows_kernelIliaaiiEEvbT_PjPT0_S4_jNS_24const_host_device_scalarIT4_EEPKS1_PKS3_PKT1_PKT2_S7_PT3_21rocsparse_index_base_b
                                        ; -- End function
	.section	.AMDGPU.csdata,"",@progbits
; Kernel info:
; codeLenInByte = 1700
; NumSgprs: 28
; NumVgprs: 11
; ScratchSize: 0
; MemoryBound: 0
; FloatMode: 240
; IeeeMode: 1
; LDSByteSize: 1024 bytes/workgroup (compile time only)
; SGPRBlocks: 3
; VGPRBlocks: 1
; NumSGPRsForWavesPerEU: 28
; NumVGPRsForWavesPerEU: 11
; Occupancy: 16
; WaveLimiterHint : 1
; COMPUTE_PGM_RSRC2:SCRATCH_EN: 0
; COMPUTE_PGM_RSRC2:USER_SGPR: 15
; COMPUTE_PGM_RSRC2:TRAP_HANDLER: 0
; COMPUTE_PGM_RSRC2:TGID_X_EN: 1
; COMPUTE_PGM_RSRC2:TGID_Y_EN: 0
; COMPUTE_PGM_RSRC2:TGID_Z_EN: 0
; COMPUTE_PGM_RSRC2:TIDIG_COMP_CNT: 0
	.section	.text._ZN9rocsparseL28csrmvn_lrb_short_rows_kernelIllaaiiEEvbT_PT0_S3_jNS_24const_host_device_scalarIT4_EEPKS1_PKS2_PKT1_PKT2_S6_PT3_21rocsparse_index_base_b,"axG",@progbits,_ZN9rocsparseL28csrmvn_lrb_short_rows_kernelIllaaiiEEvbT_PT0_S3_jNS_24const_host_device_scalarIT4_EEPKS1_PKS2_PKT1_PKT2_S6_PT3_21rocsparse_index_base_b,comdat
	.globl	_ZN9rocsparseL28csrmvn_lrb_short_rows_kernelIllaaiiEEvbT_PT0_S3_jNS_24const_host_device_scalarIT4_EEPKS1_PKS2_PKT1_PKT2_S6_PT3_21rocsparse_index_base_b ; -- Begin function _ZN9rocsparseL28csrmvn_lrb_short_rows_kernelIllaaiiEEvbT_PT0_S3_jNS_24const_host_device_scalarIT4_EEPKS1_PKS2_PKT1_PKT2_S6_PT3_21rocsparse_index_base_b
	.p2align	8
	.type	_ZN9rocsparseL28csrmvn_lrb_short_rows_kernelIllaaiiEEvbT_PT0_S3_jNS_24const_host_device_scalarIT4_EEPKS1_PKS2_PKT1_PKT2_S6_PT3_21rocsparse_index_base_b,@function
_ZN9rocsparseL28csrmvn_lrb_short_rows_kernelIllaaiiEEvbT_PT0_S3_jNS_24const_host_device_scalarIT4_EEPKS1_PKS2_PKT1_PKT2_S6_PT3_21rocsparse_index_base_b: ; @_ZN9rocsparseL28csrmvn_lrb_short_rows_kernelIllaaiiEEvbT_PT0_S3_jNS_24const_host_device_scalarIT4_EEPKS1_PKS2_PKT1_PKT2_S6_PT3_21rocsparse_index_base_b
; %bb.0:
	s_clause 0x1
	s_load_b64 s[2:3], s[0:1], 0x60
	s_load_b64 s[6:7], s[0:1], 0x28
	s_mov_b32 s8, -1
                                        ; implicit-def: $sgpr20
	s_waitcnt lgkmcnt(0)
	s_bitcmp1_b32 s3, 0
	s_cselect_b32 s3, -1, 0
	s_delay_alu instid0(SALU_CYCLE_1) | instskip(NEXT) | instid1(SALU_CYCLE_1)
	s_xor_b32 s3, s3, -1
	s_and_b32 vcc_lo, exec_lo, s3
	s_cbranch_vccnz .LBB92_4
; %bb.1:
	s_load_b64 s[4:5], s[0:1], 0x50
	s_and_not1_b32 vcc_lo, exec_lo, s8
	s_cbranch_vccz .LBB92_5
.LBB92_2:
	s_and_b32 vcc_lo, exec_lo, s3
	s_cbranch_vccz .LBB92_6
.LBB92_3:
	s_waitcnt lgkmcnt(0)
	s_load_b32 s3, s[4:5], 0x0
	s_cbranch_execz .LBB92_7
	s_branch .LBB92_8
.LBB92_4:
	s_load_b32 s20, s[6:7], 0x0
	s_load_b64 s[4:5], s[0:1], 0x50
	s_cbranch_execnz .LBB92_2
.LBB92_5:
	s_waitcnt lgkmcnt(0)
	s_mov_b32 s20, s6
	s_and_b32 vcc_lo, exec_lo, s3
	s_cbranch_vccnz .LBB92_3
.LBB92_6:
	s_waitcnt lgkmcnt(0)
                                        ; implicit-def: $sgpr3
.LBB92_7:
	s_waitcnt lgkmcnt(0)
	s_mov_b32 s3, s4
.LBB92_8:
	s_cmp_lg_u32 s20, 0
	s_mov_b32 s13, 0
	s_cselect_b32 s4, -1, 0
	s_waitcnt lgkmcnt(0)
	s_cmp_lg_u32 s3, 1
	s_cselect_b32 s5, -1, 0
	s_delay_alu instid0(SALU_CYCLE_1) | instskip(NEXT) | instid1(SALU_CYCLE_1)
	s_or_b32 s4, s4, s5
	s_and_not1_b32 vcc_lo, exec_lo, s4
	s_cbranch_vccnz .LBB92_22
; %bb.9:
	s_clause 0x1
	s_load_b32 s12, s[0:1], 0x20
	s_load_b128 s[16:19], s[0:1], 0x10
	s_mov_b32 s7, s13
	s_waitcnt lgkmcnt(0)
	s_lshl_b64 s[4:5], s[12:13], 3
	s_delay_alu instid0(SALU_CYCLE_1) | instskip(SKIP_2) | instid1(SALU_CYCLE_1)
	s_add_u32 s4, s18, s4
	s_addc_u32 s5, s19, s5
	s_add_i32 s6, s12, 1
	s_lshl_b64 s[6:7], s[6:7], 3
	s_delay_alu instid0(SALU_CYCLE_1)
	s_add_u32 s6, s18, s6
	s_addc_u32 s7, s19, s7
	s_clause 0x1
	s_load_b64 s[18:19], s[4:5], 0x0
	s_load_b32 s4, s[6:7], 0x0
	s_lshl_b32 s14, s15, 8
	s_delay_alu instid0(SALU_CYCLE_1) | instskip(SKIP_2) | instid1(SALU_CYCLE_1)
	s_add_i32 s5, s14, 0x100
	s_waitcnt lgkmcnt(0)
	s_sub_i32 s4, s4, s18
	s_min_u32 s13, s4, s5
	s_cmp_gt_u32 s12, 23
	s_cbranch_scc1 .LBB92_16
; %bb.10:
	s_load_b256 s[4:11], s[0:1], 0x30
	v_mov_b32_e32 v5, 0
	s_lshl_b64 s[22:23], s[18:19], 3
	v_bfe_u32 v6, v0, 0, s12
	v_lshl_add_u32 v8, v0, 2, 0
	s_lshl_b32 s15, 0x100, s12
	v_mov_b32_e32 v7, v5
	s_add_u32 s21, s16, s22
	s_addc_u32 s22, s17, s23
	s_mov_b32 s23, 0
	s_branch .LBB92_13
.LBB92_11:                              ;   in Loop: Header=BB92_13 Depth=1
	s_or_b32 exec_lo, exec_lo, s25
	ds_store_b32 v8, v3
.LBB92_12:                              ;   in Loop: Header=BB92_13 Depth=1
	s_or_b32 exec_lo, exec_lo, s24
	v_add_nc_u32_e32 v8, 0x400, v8
	s_addk_i32 s23, 0x100
	s_delay_alu instid0(SALU_CYCLE_1)
	s_cmp_ge_u32 s23, s15
	s_cbranch_scc1 .LBB92_16
.LBB92_13:                              ; =>This Inner Loop Header: Depth=1
	v_add_nc_u32_e32 v1, s23, v0
	s_mov_b32 s24, exec_lo
	s_delay_alu instid0(VALU_DEP_1) | instskip(NEXT) | instid1(VALU_DEP_1)
	v_lshrrev_b32_e32 v1, s12, v1
	v_add_nc_u32_e32 v4, s14, v1
	s_delay_alu instid0(VALU_DEP_1)
	v_cmpx_gt_u32_e64 s13, v4
	s_cbranch_execz .LBB92_12
; %bb.14:                               ;   in Loop: Header=BB92_13 Depth=1
	v_lshlrev_b64 v[1:2], 3, v[4:5]
	s_delay_alu instid0(VALU_DEP_1) | instskip(NEXT) | instid1(VALU_DEP_2)
	v_add_co_u32 v1, vcc_lo, s21, v1
	v_add_co_ci_u32_e32 v2, vcc_lo, s22, v2, vcc_lo
	global_load_b64 v[1:2], v[1:2], off
	s_waitcnt vmcnt(0)
	v_lshlrev_b64 v[1:2], 3, v[1:2]
	s_waitcnt lgkmcnt(0)
	s_delay_alu instid0(VALU_DEP_1) | instskip(NEXT) | instid1(VALU_DEP_2)
	v_add_co_u32 v1, vcc_lo, s4, v1
	v_add_co_ci_u32_e32 v2, vcc_lo, s5, v2, vcc_lo
	global_load_b128 v[1:4], v[1:2], off
	s_waitcnt vmcnt(0)
	v_sub_co_u32 v3, vcc_lo, v3, v1
	v_sub_co_ci_u32_e32 v4, vcc_lo, v4, v2, vcc_lo
	s_delay_alu instid0(VALU_DEP_1)
	v_cmp_gt_i64_e32 vcc_lo, v[3:4], v[6:7]
	v_mov_b32_e32 v3, 0
	s_and_saveexec_b32 s25, vcc_lo
	s_cbranch_execz .LBB92_11
; %bb.15:                               ;   in Loop: Header=BB92_13 Depth=1
	v_sub_co_u32 v1, vcc_lo, v1, s2
	v_subrev_co_ci_u32_e32 v2, vcc_lo, 0, v2, vcc_lo
	s_delay_alu instid0(VALU_DEP_2) | instskip(NEXT) | instid1(VALU_DEP_2)
	v_add_co_u32 v1, vcc_lo, v1, v6
	v_add_co_ci_u32_e32 v2, vcc_lo, 0, v2, vcc_lo
	s_delay_alu instid0(VALU_DEP_1) | instskip(NEXT) | instid1(VALU_DEP_1)
	v_lshlrev_b64 v[3:4], 3, v[1:2]
	v_add_co_u32 v3, vcc_lo, s6, v3
	s_delay_alu instid0(VALU_DEP_2)
	v_add_co_ci_u32_e32 v4, vcc_lo, s7, v4, vcc_lo
	v_add_co_u32 v1, vcc_lo, s8, v1
	v_add_co_ci_u32_e32 v2, vcc_lo, s9, v2, vcc_lo
	global_load_b64 v[3:4], v[3:4], off
	global_load_i8 v9, v[1:2], off
	s_waitcnt vmcnt(1)
	v_sub_co_u32 v3, vcc_lo, v3, s2
	v_subrev_co_ci_u32_e32 v4, vcc_lo, 0, v4, vcc_lo
	s_delay_alu instid0(VALU_DEP_2) | instskip(NEXT) | instid1(VALU_DEP_2)
	v_add_co_u32 v1, vcc_lo, s10, v3
	v_add_co_ci_u32_e32 v2, vcc_lo, s11, v4, vcc_lo
	global_load_i8 v1, v[1:2], off
	s_waitcnt vmcnt(1)
	v_mul_lo_u32 v2, s20, v9
	s_waitcnt vmcnt(0)
	s_delay_alu instid0(VALU_DEP_1)
	v_mul_lo_u32 v3, v2, v1
	s_branch .LBB92_11
.LBB92_16:
	s_sub_i32 s2, s13, s14
	s_waitcnt lgkmcnt(0)
	v_cmp_gt_u32_e32 vcc_lo, s2, v0
	s_barrier
	buffer_gl0_inv
	s_and_saveexec_b32 s2, vcc_lo
	s_cbranch_execz .LBB92_22
; %bb.17:
	s_lshl_b64 s[4:5], s[18:19], 3
	s_mov_b32 s15, 0
	s_add_u32 s2, s16, s4
	s_addc_u32 s6, s17, s5
	s_lshl_b64 s[4:5], s[14:15], 3
	v_lshlrev_b32_e32 v1, 3, v0
	v_lshlrev_b32_e32 v0, s12, v0
	s_add_u32 s4, s2, s4
	s_addc_u32 s5, s6, s5
	s_load_b64 s[0:1], s[0:1], 0x58
	s_mov_b32 s2, 1
	v_lshl_add_u32 v3, v0, 2, 0
	v_mov_b32_e32 v0, 0
	global_load_b64 v[1:2], v1, s[4:5]
.LBB92_18:                              ; =>This Inner Loop Header: Depth=1
	ds_load_b32 v4, v3
	v_add_nc_u32_e32 v3, 4, v3
	s_lshr_b32 s4, s2, s12
	s_add_i32 s2, s2, 1
	s_cmp_lg_u32 s4, 0
	s_waitcnt lgkmcnt(0)
	v_add_nc_u32_e32 v0, v4, v0
	s_cbranch_scc0 .LBB92_18
; %bb.19:
	s_waitcnt vmcnt(0)
	v_lshlrev_b64 v[1:2], 2, v[1:2]
	s_cmp_lg_u32 s3, 0
	s_cbranch_scc0 .LBB92_21
; %bb.20:
	s_delay_alu instid0(VALU_DEP_1) | instskip(NEXT) | instid1(VALU_DEP_2)
	v_add_co_u32 v3, vcc_lo, s0, v1
	v_add_co_ci_u32_e32 v4, vcc_lo, s1, v2, vcc_lo
	global_load_b32 v5, v[3:4], off
	s_waitcnt vmcnt(0)
	v_mad_u64_u32 v[3:4], null, v5, s3, v[0:1]
	s_delay_alu instid0(VALU_DEP_1)
	v_mov_b32_e32 v0, v3
.LBB92_21:
	s_delay_alu instid0(VALU_DEP_1) | instskip(NEXT) | instid1(VALU_DEP_2)
	v_add_co_u32 v1, vcc_lo, s0, v1
	v_add_co_ci_u32_e32 v2, vcc_lo, s1, v2, vcc_lo
	global_store_b32 v[1:2], v0, off
.LBB92_22:
	s_nop 0
	s_sendmsg sendmsg(MSG_DEALLOC_VGPRS)
	s_endpgm
	.section	.rodata,"a",@progbits
	.p2align	6, 0x0
	.amdhsa_kernel _ZN9rocsparseL28csrmvn_lrb_short_rows_kernelIllaaiiEEvbT_PT0_S3_jNS_24const_host_device_scalarIT4_EEPKS1_PKS2_PKT1_PKT2_S6_PT3_21rocsparse_index_base_b
		.amdhsa_group_segment_fixed_size 0
		.amdhsa_private_segment_fixed_size 0
		.amdhsa_kernarg_size 104
		.amdhsa_user_sgpr_count 15
		.amdhsa_user_sgpr_dispatch_ptr 0
		.amdhsa_user_sgpr_queue_ptr 0
		.amdhsa_user_sgpr_kernarg_segment_ptr 1
		.amdhsa_user_sgpr_dispatch_id 0
		.amdhsa_user_sgpr_private_segment_size 0
		.amdhsa_wavefront_size32 1
		.amdhsa_uses_dynamic_stack 0
		.amdhsa_enable_private_segment 0
		.amdhsa_system_sgpr_workgroup_id_x 1
		.amdhsa_system_sgpr_workgroup_id_y 0
		.amdhsa_system_sgpr_workgroup_id_z 0
		.amdhsa_system_sgpr_workgroup_info 0
		.amdhsa_system_vgpr_workitem_id 0
		.amdhsa_next_free_vgpr 10
		.amdhsa_next_free_sgpr 26
		.amdhsa_reserve_vcc 1
		.amdhsa_float_round_mode_32 0
		.amdhsa_float_round_mode_16_64 0
		.amdhsa_float_denorm_mode_32 3
		.amdhsa_float_denorm_mode_16_64 3
		.amdhsa_dx10_clamp 1
		.amdhsa_ieee_mode 1
		.amdhsa_fp16_overflow 0
		.amdhsa_workgroup_processor_mode 1
		.amdhsa_memory_ordered 1
		.amdhsa_forward_progress 0
		.amdhsa_shared_vgpr_count 0
		.amdhsa_exception_fp_ieee_invalid_op 0
		.amdhsa_exception_fp_denorm_src 0
		.amdhsa_exception_fp_ieee_div_zero 0
		.amdhsa_exception_fp_ieee_overflow 0
		.amdhsa_exception_fp_ieee_underflow 0
		.amdhsa_exception_fp_ieee_inexact 0
		.amdhsa_exception_int_div_zero 0
	.end_amdhsa_kernel
	.section	.text._ZN9rocsparseL28csrmvn_lrb_short_rows_kernelIllaaiiEEvbT_PT0_S3_jNS_24const_host_device_scalarIT4_EEPKS1_PKS2_PKT1_PKT2_S6_PT3_21rocsparse_index_base_b,"axG",@progbits,_ZN9rocsparseL28csrmvn_lrb_short_rows_kernelIllaaiiEEvbT_PT0_S3_jNS_24const_host_device_scalarIT4_EEPKS1_PKS2_PKT1_PKT2_S6_PT3_21rocsparse_index_base_b,comdat
.Lfunc_end92:
	.size	_ZN9rocsparseL28csrmvn_lrb_short_rows_kernelIllaaiiEEvbT_PT0_S3_jNS_24const_host_device_scalarIT4_EEPKS1_PKS2_PKT1_PKT2_S6_PT3_21rocsparse_index_base_b, .Lfunc_end92-_ZN9rocsparseL28csrmvn_lrb_short_rows_kernelIllaaiiEEvbT_PT0_S3_jNS_24const_host_device_scalarIT4_EEPKS1_PKS2_PKT1_PKT2_S6_PT3_21rocsparse_index_base_b
                                        ; -- End function
	.section	.AMDGPU.csdata,"",@progbits
; Kernel info:
; codeLenInByte = 940
; NumSgprs: 28
; NumVgprs: 10
; ScratchSize: 0
; MemoryBound: 0
; FloatMode: 240
; IeeeMode: 1
; LDSByteSize: 0 bytes/workgroup (compile time only)
; SGPRBlocks: 3
; VGPRBlocks: 1
; NumSGPRsForWavesPerEU: 28
; NumVGPRsForWavesPerEU: 10
; Occupancy: 16
; WaveLimiterHint : 1
; COMPUTE_PGM_RSRC2:SCRATCH_EN: 0
; COMPUTE_PGM_RSRC2:USER_SGPR: 15
; COMPUTE_PGM_RSRC2:TRAP_HANDLER: 0
; COMPUTE_PGM_RSRC2:TGID_X_EN: 1
; COMPUTE_PGM_RSRC2:TGID_Y_EN: 0
; COMPUTE_PGM_RSRC2:TGID_Z_EN: 0
; COMPUTE_PGM_RSRC2:TIDIG_COMP_CNT: 0
	.section	.text._ZN9rocsparseL30csrmvn_lrb_short_rows_2_kernelIllaaiiEEvbT_PT0_S3_jNS_24const_host_device_scalarIT4_EEPKS1_PKS2_PKT1_PKT2_S6_PT3_21rocsparse_index_base_b,"axG",@progbits,_ZN9rocsparseL30csrmvn_lrb_short_rows_2_kernelIllaaiiEEvbT_PT0_S3_jNS_24const_host_device_scalarIT4_EEPKS1_PKS2_PKT1_PKT2_S6_PT3_21rocsparse_index_base_b,comdat
	.globl	_ZN9rocsparseL30csrmvn_lrb_short_rows_2_kernelIllaaiiEEvbT_PT0_S3_jNS_24const_host_device_scalarIT4_EEPKS1_PKS2_PKT1_PKT2_S6_PT3_21rocsparse_index_base_b ; -- Begin function _ZN9rocsparseL30csrmvn_lrb_short_rows_2_kernelIllaaiiEEvbT_PT0_S3_jNS_24const_host_device_scalarIT4_EEPKS1_PKS2_PKT1_PKT2_S6_PT3_21rocsparse_index_base_b
	.p2align	8
	.type	_ZN9rocsparseL30csrmvn_lrb_short_rows_2_kernelIllaaiiEEvbT_PT0_S3_jNS_24const_host_device_scalarIT4_EEPKS1_PKS2_PKT1_PKT2_S6_PT3_21rocsparse_index_base_b,@function
_ZN9rocsparseL30csrmvn_lrb_short_rows_2_kernelIllaaiiEEvbT_PT0_S3_jNS_24const_host_device_scalarIT4_EEPKS1_PKS2_PKT1_PKT2_S6_PT3_21rocsparse_index_base_b: ; @_ZN9rocsparseL30csrmvn_lrb_short_rows_2_kernelIllaaiiEEvbT_PT0_S3_jNS_24const_host_device_scalarIT4_EEPKS1_PKS2_PKT1_PKT2_S6_PT3_21rocsparse_index_base_b
; %bb.0:
	s_clause 0x1
	s_load_b64 s[12:13], s[0:1], 0x60
	s_load_b64 s[4:5], s[0:1], 0x28
	s_mov_b32 s7, -1
                                        ; implicit-def: $sgpr16
	s_waitcnt lgkmcnt(0)
	s_bitcmp1_b32 s13, 0
	s_cselect_b32 s2, -1, 0
	s_delay_alu instid0(SALU_CYCLE_1) | instskip(NEXT) | instid1(SALU_CYCLE_1)
	s_xor_b32 s6, s2, -1
	s_and_b32 vcc_lo, exec_lo, s6
	s_cbranch_vccnz .LBB93_4
; %bb.1:
	s_load_b64 s[2:3], s[0:1], 0x50
	s_and_not1_b32 vcc_lo, exec_lo, s7
	s_cbranch_vccz .LBB93_5
.LBB93_2:
	s_and_b32 vcc_lo, exec_lo, s6
	s_cbranch_vccz .LBB93_6
.LBB93_3:
	s_waitcnt lgkmcnt(0)
	s_load_b32 s13, s[2:3], 0x0
	s_cbranch_execz .LBB93_7
	s_branch .LBB93_8
.LBB93_4:
	s_load_b32 s16, s[4:5], 0x0
	s_load_b64 s[2:3], s[0:1], 0x50
	s_cbranch_execnz .LBB93_2
.LBB93_5:
	s_waitcnt lgkmcnt(0)
	s_mov_b32 s16, s4
	s_and_b32 vcc_lo, exec_lo, s6
	s_cbranch_vccnz .LBB93_3
.LBB93_6:
	s_waitcnt lgkmcnt(0)
                                        ; implicit-def: $sgpr13
.LBB93_7:
	s_waitcnt lgkmcnt(0)
	s_mov_b32 s13, s2
.LBB93_8:
	s_cmp_lg_u32 s16, 0
	s_mov_b32 s9, 0
	s_cselect_b32 s2, -1, 0
	s_waitcnt lgkmcnt(0)
	s_cmp_lg_u32 s13, 1
	s_cselect_b32 s3, -1, 0
	s_delay_alu instid0(SALU_CYCLE_1) | instskip(NEXT) | instid1(SALU_CYCLE_1)
	s_or_b32 s2, s2, s3
	s_and_not1_b32 vcc_lo, exec_lo, s2
	s_cbranch_vccnz .LBB93_34
; %bb.9:
	s_clause 0x1
	s_load_b32 s8, s[0:1], 0x20
	s_load_b128 s[20:23], s[0:1], 0x10
	s_mov_b32 s5, s9
	v_mov_b32_e32 v6, 0
	s_waitcnt lgkmcnt(0)
	s_lshl_b64 s[2:3], s[8:9], 3
	v_lshrrev_b32_e32 v1, s8, v0
	s_add_u32 s2, s22, s2
	s_addc_u32 s3, s23, s3
	s_add_i32 s4, s8, 1
	v_bfe_u32 v5, v0, 0, s8
	s_lshl_b64 s[4:5], s[4:5], 3
	s_delay_alu instid0(SALU_CYCLE_1)
	s_add_u32 s4, s22, s4
	s_addc_u32 s5, s23, s5
	s_clause 0x1
	s_load_b64 s[18:19], s[2:3], 0x0
	s_load_b32 s17, s[4:5], 0x0
	s_clause 0x1
	s_load_b64 s[10:11], s[0:1], 0x58
	s_load_b256 s[0:7], s[0:1], 0x30
	s_lshr_b32 s9, 0x400, s8
	s_delay_alu instid0(SALU_CYCLE_1) | instskip(NEXT) | instid1(SALU_CYCLE_1)
	s_mul_i32 s14, s9, s15
	s_add_i32 s15, s14, s9
	v_add_nc_u32_e32 v1, s14, v1
	s_waitcnt lgkmcnt(0)
	s_sub_i32 s17, s17, s18
	s_lshl_b64 s[18:19], s[18:19], 3
	s_min_u32 s17, s17, s15
	s_add_u32 s18, s20, s18
	s_addc_u32 s19, s21, s19
	s_mov_b32 s15, exec_lo
	v_cmpx_gt_u32_e64 s17, v1
	s_cbranch_execz .LBB93_13
; %bb.10:
	v_mov_b32_e32 v2, v6
	s_delay_alu instid0(VALU_DEP_1) | instskip(NEXT) | instid1(VALU_DEP_1)
	v_lshlrev_b64 v[1:2], 3, v[1:2]
	v_add_co_u32 v1, vcc_lo, s18, v1
	s_delay_alu instid0(VALU_DEP_2) | instskip(SKIP_3) | instid1(VALU_DEP_1)
	v_add_co_ci_u32_e32 v2, vcc_lo, s19, v2, vcc_lo
	global_load_b64 v[1:2], v[1:2], off
	s_waitcnt vmcnt(0)
	v_lshlrev_b64 v[1:2], 3, v[1:2]
	v_add_co_u32 v1, vcc_lo, s0, v1
	s_delay_alu instid0(VALU_DEP_2) | instskip(SKIP_4) | instid1(VALU_DEP_1)
	v_add_co_ci_u32_e32 v2, vcc_lo, s1, v2, vcc_lo
	global_load_b128 v[1:4], v[1:2], off
	s_waitcnt vmcnt(0)
	v_sub_co_u32 v3, vcc_lo, v3, v1
	v_sub_co_ci_u32_e32 v4, vcc_lo, v4, v2, vcc_lo
	v_cmp_gt_i64_e32 vcc_lo, v[3:4], v[5:6]
	v_mov_b32_e32 v3, v6
	s_and_saveexec_b32 s20, vcc_lo
	s_cbranch_execz .LBB93_12
; %bb.11:
	v_sub_co_u32 v1, vcc_lo, v1, s12
	v_subrev_co_ci_u32_e32 v2, vcc_lo, 0, v2, vcc_lo
	s_delay_alu instid0(VALU_DEP_2) | instskip(NEXT) | instid1(VALU_DEP_2)
	v_add_co_u32 v1, vcc_lo, v1, v5
	v_add_co_ci_u32_e32 v2, vcc_lo, 0, v2, vcc_lo
	s_delay_alu instid0(VALU_DEP_1) | instskip(NEXT) | instid1(VALU_DEP_1)
	v_lshlrev_b64 v[3:4], 3, v[1:2]
	v_add_co_u32 v3, vcc_lo, s2, v3
	s_delay_alu instid0(VALU_DEP_2)
	v_add_co_ci_u32_e32 v4, vcc_lo, s3, v4, vcc_lo
	v_add_co_u32 v1, vcc_lo, s4, v1
	v_add_co_ci_u32_e32 v2, vcc_lo, s5, v2, vcc_lo
	global_load_b64 v[3:4], v[3:4], off
	global_load_i8 v7, v[1:2], off
	s_waitcnt vmcnt(1)
	v_sub_co_u32 v3, vcc_lo, v3, s12
	v_subrev_co_ci_u32_e32 v4, vcc_lo, 0, v4, vcc_lo
	s_delay_alu instid0(VALU_DEP_2) | instskip(NEXT) | instid1(VALU_DEP_2)
	v_add_co_u32 v1, vcc_lo, s6, v3
	v_add_co_ci_u32_e32 v2, vcc_lo, s7, v4, vcc_lo
	global_load_i8 v1, v[1:2], off
	s_waitcnt vmcnt(1)
	v_mul_lo_u32 v2, s16, v7
	s_waitcnt vmcnt(0)
	s_delay_alu instid0(VALU_DEP_1)
	v_mul_lo_u32 v3, v2, v1
.LBB93_12:
	s_or_b32 exec_lo, exec_lo, s20
	v_lshlrev_b32_e32 v1, 2, v0
	ds_store_b32 v1, v3
.LBB93_13:
	s_or_b32 exec_lo, exec_lo, s15
	v_or_b32_e32 v1, 0x100, v0
	s_mov_b32 s15, exec_lo
	s_delay_alu instid0(VALU_DEP_1) | instskip(NEXT) | instid1(VALU_DEP_1)
	v_lshrrev_b32_e32 v1, s8, v1
	v_add_nc_u32_e32 v7, s14, v1
	s_delay_alu instid0(VALU_DEP_1)
	v_cmpx_gt_u32_e64 s17, v7
	s_cbranch_execz .LBB93_17
; %bb.14:
	v_mov_b32_e32 v8, 0
	s_mov_b32 s20, exec_lo
	s_delay_alu instid0(VALU_DEP_1) | instskip(NEXT) | instid1(VALU_DEP_1)
	v_lshlrev_b64 v[1:2], 3, v[7:8]
	v_add_co_u32 v1, vcc_lo, s18, v1
	s_delay_alu instid0(VALU_DEP_2) | instskip(SKIP_3) | instid1(VALU_DEP_1)
	v_add_co_ci_u32_e32 v2, vcc_lo, s19, v2, vcc_lo
	global_load_b64 v[1:2], v[1:2], off
	s_waitcnt vmcnt(0)
	v_lshlrev_b64 v[1:2], 3, v[1:2]
	v_add_co_u32 v1, vcc_lo, s0, v1
	s_delay_alu instid0(VALU_DEP_2) | instskip(SKIP_4) | instid1(VALU_DEP_1)
	v_add_co_ci_u32_e32 v2, vcc_lo, s1, v2, vcc_lo
	global_load_b128 v[1:4], v[1:2], off
	s_waitcnt vmcnt(0)
	v_sub_co_u32 v3, vcc_lo, v3, v1
	v_sub_co_ci_u32_e32 v4, vcc_lo, v4, v2, vcc_lo
	v_cmpx_gt_i64_e64 v[3:4], v[5:6]
	s_cbranch_execz .LBB93_16
; %bb.15:
	v_sub_co_u32 v1, vcc_lo, v1, s12
	v_subrev_co_ci_u32_e32 v2, vcc_lo, 0, v2, vcc_lo
	s_delay_alu instid0(VALU_DEP_2) | instskip(NEXT) | instid1(VALU_DEP_2)
	v_add_co_u32 v1, vcc_lo, v1, v5
	v_add_co_ci_u32_e32 v2, vcc_lo, 0, v2, vcc_lo
	s_delay_alu instid0(VALU_DEP_1) | instskip(NEXT) | instid1(VALU_DEP_1)
	v_lshlrev_b64 v[3:4], 3, v[1:2]
	v_add_co_u32 v3, vcc_lo, s2, v3
	s_delay_alu instid0(VALU_DEP_2)
	v_add_co_ci_u32_e32 v4, vcc_lo, s3, v4, vcc_lo
	v_add_co_u32 v1, vcc_lo, s4, v1
	v_add_co_ci_u32_e32 v2, vcc_lo, s5, v2, vcc_lo
	global_load_b64 v[3:4], v[3:4], off
	global_load_i8 v7, v[1:2], off
	s_waitcnt vmcnt(1)
	v_sub_co_u32 v3, vcc_lo, v3, s12
	v_subrev_co_ci_u32_e32 v4, vcc_lo, 0, v4, vcc_lo
	s_delay_alu instid0(VALU_DEP_2) | instskip(NEXT) | instid1(VALU_DEP_2)
	v_add_co_u32 v1, vcc_lo, s6, v3
	v_add_co_ci_u32_e32 v2, vcc_lo, s7, v4, vcc_lo
	global_load_i8 v1, v[1:2], off
	s_waitcnt vmcnt(1)
	v_mul_lo_u32 v2, s16, v7
	s_waitcnt vmcnt(0)
	s_delay_alu instid0(VALU_DEP_1)
	v_mul_lo_u32 v8, v2, v1
.LBB93_16:
	s_or_b32 exec_lo, exec_lo, s20
	v_lshlrev_b32_e32 v1, 2, v0
	ds_store_b32 v1, v8 offset:1024
.LBB93_17:
	s_or_b32 exec_lo, exec_lo, s15
	v_or_b32_e32 v1, 0x200, v0
	s_mov_b32 s15, exec_lo
	s_delay_alu instid0(VALU_DEP_1) | instskip(NEXT) | instid1(VALU_DEP_1)
	v_lshrrev_b32_e32 v1, s8, v1
	v_add_nc_u32_e32 v7, s14, v1
	s_delay_alu instid0(VALU_DEP_1)
	v_cmpx_gt_u32_e64 s17, v7
	s_cbranch_execz .LBB93_21
; %bb.18:
	v_mov_b32_e32 v8, 0
	s_mov_b32 s20, exec_lo
	s_delay_alu instid0(VALU_DEP_1) | instskip(NEXT) | instid1(VALU_DEP_1)
	v_lshlrev_b64 v[1:2], 3, v[7:8]
	v_add_co_u32 v1, vcc_lo, s18, v1
	s_delay_alu instid0(VALU_DEP_2) | instskip(SKIP_3) | instid1(VALU_DEP_1)
	v_add_co_ci_u32_e32 v2, vcc_lo, s19, v2, vcc_lo
	global_load_b64 v[1:2], v[1:2], off
	s_waitcnt vmcnt(0)
	v_lshlrev_b64 v[1:2], 3, v[1:2]
	v_add_co_u32 v1, vcc_lo, s0, v1
	s_delay_alu instid0(VALU_DEP_2) | instskip(SKIP_4) | instid1(VALU_DEP_1)
	v_add_co_ci_u32_e32 v2, vcc_lo, s1, v2, vcc_lo
	global_load_b128 v[1:4], v[1:2], off
	s_waitcnt vmcnt(0)
	v_sub_co_u32 v3, vcc_lo, v3, v1
	v_sub_co_ci_u32_e32 v4, vcc_lo, v4, v2, vcc_lo
	v_cmpx_gt_i64_e64 v[3:4], v[5:6]
	s_cbranch_execz .LBB93_20
; %bb.19:
	v_sub_co_u32 v1, vcc_lo, v1, s12
	v_subrev_co_ci_u32_e32 v2, vcc_lo, 0, v2, vcc_lo
	s_delay_alu instid0(VALU_DEP_2) | instskip(NEXT) | instid1(VALU_DEP_2)
	v_add_co_u32 v1, vcc_lo, v1, v5
	v_add_co_ci_u32_e32 v2, vcc_lo, 0, v2, vcc_lo
	s_delay_alu instid0(VALU_DEP_1) | instskip(NEXT) | instid1(VALU_DEP_1)
	v_lshlrev_b64 v[3:4], 3, v[1:2]
	v_add_co_u32 v3, vcc_lo, s2, v3
	s_delay_alu instid0(VALU_DEP_2)
	v_add_co_ci_u32_e32 v4, vcc_lo, s3, v4, vcc_lo
	v_add_co_u32 v1, vcc_lo, s4, v1
	v_add_co_ci_u32_e32 v2, vcc_lo, s5, v2, vcc_lo
	global_load_b64 v[3:4], v[3:4], off
	global_load_i8 v7, v[1:2], off
	s_waitcnt vmcnt(1)
	v_sub_co_u32 v3, vcc_lo, v3, s12
	v_subrev_co_ci_u32_e32 v4, vcc_lo, 0, v4, vcc_lo
	s_delay_alu instid0(VALU_DEP_2) | instskip(NEXT) | instid1(VALU_DEP_2)
	v_add_co_u32 v1, vcc_lo, s6, v3
	v_add_co_ci_u32_e32 v2, vcc_lo, s7, v4, vcc_lo
	global_load_i8 v1, v[1:2], off
	s_waitcnt vmcnt(1)
	v_mul_lo_u32 v2, s16, v7
	s_waitcnt vmcnt(0)
	s_delay_alu instid0(VALU_DEP_1)
	v_mul_lo_u32 v8, v2, v1
.LBB93_20:
	s_or_b32 exec_lo, exec_lo, s20
	v_lshlrev_b32_e32 v1, 2, v0
	ds_store_b32 v1, v8 offset:2048
.LBB93_21:
	s_or_b32 exec_lo, exec_lo, s15
	v_or_b32_e32 v1, 0x300, v0
	s_mov_b32 s15, exec_lo
	s_delay_alu instid0(VALU_DEP_1) | instskip(NEXT) | instid1(VALU_DEP_1)
	v_lshrrev_b32_e32 v1, s8, v1
	v_add_nc_u32_e32 v7, s14, v1
	s_delay_alu instid0(VALU_DEP_1)
	v_cmpx_gt_u32_e64 s17, v7
	s_cbranch_execz .LBB93_25
; %bb.22:
	v_mov_b32_e32 v8, 0
	s_delay_alu instid0(VALU_DEP_1) | instskip(NEXT) | instid1(VALU_DEP_1)
	v_lshlrev_b64 v[1:2], 3, v[7:8]
	v_add_co_u32 v1, vcc_lo, s18, v1
	s_delay_alu instid0(VALU_DEP_2) | instskip(SKIP_3) | instid1(VALU_DEP_1)
	v_add_co_ci_u32_e32 v2, vcc_lo, s19, v2, vcc_lo
	global_load_b64 v[1:2], v[1:2], off
	s_waitcnt vmcnt(0)
	v_lshlrev_b64 v[1:2], 3, v[1:2]
	v_add_co_u32 v1, vcc_lo, s0, v1
	s_delay_alu instid0(VALU_DEP_2)
	v_add_co_ci_u32_e32 v2, vcc_lo, s1, v2, vcc_lo
	s_mov_b32 s0, exec_lo
	global_load_b128 v[1:4], v[1:2], off
	s_waitcnt vmcnt(0)
	v_sub_co_u32 v3, vcc_lo, v3, v1
	v_sub_co_ci_u32_e32 v4, vcc_lo, v4, v2, vcc_lo
	s_delay_alu instid0(VALU_DEP_1)
	v_cmpx_gt_i64_e64 v[3:4], v[5:6]
	s_cbranch_execz .LBB93_24
; %bb.23:
	v_sub_co_u32 v1, vcc_lo, v1, s12
	v_subrev_co_ci_u32_e32 v2, vcc_lo, 0, v2, vcc_lo
	s_delay_alu instid0(VALU_DEP_2) | instskip(NEXT) | instid1(VALU_DEP_2)
	v_add_co_u32 v1, vcc_lo, v1, v5
	v_add_co_ci_u32_e32 v2, vcc_lo, 0, v2, vcc_lo
	s_delay_alu instid0(VALU_DEP_1) | instskip(NEXT) | instid1(VALU_DEP_1)
	v_lshlrev_b64 v[3:4], 3, v[1:2]
	v_add_co_u32 v3, vcc_lo, s2, v3
	s_delay_alu instid0(VALU_DEP_2)
	v_add_co_ci_u32_e32 v4, vcc_lo, s3, v4, vcc_lo
	v_add_co_u32 v1, vcc_lo, s4, v1
	v_add_co_ci_u32_e32 v2, vcc_lo, s5, v2, vcc_lo
	global_load_b64 v[3:4], v[3:4], off
	global_load_i8 v5, v[1:2], off
	s_waitcnt vmcnt(1)
	v_sub_co_u32 v3, vcc_lo, v3, s12
	v_subrev_co_ci_u32_e32 v4, vcc_lo, 0, v4, vcc_lo
	s_delay_alu instid0(VALU_DEP_2) | instskip(NEXT) | instid1(VALU_DEP_2)
	v_add_co_u32 v1, vcc_lo, s6, v3
	v_add_co_ci_u32_e32 v2, vcc_lo, s7, v4, vcc_lo
	global_load_i8 v1, v[1:2], off
	s_waitcnt vmcnt(1)
	v_mul_lo_u32 v2, s16, v5
	s_waitcnt vmcnt(0)
	s_delay_alu instid0(VALU_DEP_1)
	v_mul_lo_u32 v8, v2, v1
.LBB93_24:
	s_or_b32 exec_lo, exec_lo, s0
	v_lshlrev_b32_e32 v1, 2, v0
	ds_store_b32 v1, v8 offset:3072
.LBB93_25:
	s_or_b32 exec_lo, exec_lo, s15
	s_cmp_lt_u32 s8, 11
	s_waitcnt lgkmcnt(0)
	s_barrier
	buffer_gl0_inv
	s_cbranch_scc0 .LBB93_34
; %bb.26:
	s_mov_b32 s15, 0
	s_sub_i32 s0, s17, s14
	s_lshl_b64 s[2:3], s[14:15], 3
	v_mov_b32_e32 v2, 0
	s_add_u32 s1, s18, s2
	s_addc_u32 s2, s19, s3
	s_cmp_lg_u32 s13, 0
	s_cselect_b32 s3, -1, 0
	s_set_inst_prefetch_distance 0x1
	s_branch .LBB93_29
	.p2align	6
.LBB93_27:                              ;   in Loop: Header=BB93_29 Depth=1
	s_delay_alu instid0(VALU_DEP_1) | instskip(NEXT) | instid1(VALU_DEP_2)
	v_add_co_u32 v3, vcc_lo, s10, v3
	v_add_co_ci_u32_e32 v4, vcc_lo, s11, v4, vcc_lo
	global_store_b32 v[3:4], v1, off
.LBB93_28:                              ;   in Loop: Header=BB93_29 Depth=1
	s_or_b32 exec_lo, exec_lo, s4
	s_addk_i32 s15, 0x100
	s_delay_alu instid0(SALU_CYCLE_1)
	s_cmp_lt_u32 s15, s9
	s_cbranch_scc0 .LBB93_34
.LBB93_29:                              ; =>This Loop Header: Depth=1
                                        ;     Child Loop BB93_31 Depth 2
	v_add_nc_u32_e32 v1, s15, v0
	s_mov_b32 s4, exec_lo
	s_delay_alu instid0(VALU_DEP_1)
	v_cmpx_gt_u32_e64 s0, v1
	s_cbranch_execz .LBB93_28
; %bb.30:                               ;   in Loop: Header=BB93_29 Depth=1
	v_lshlrev_b64 v[3:4], 3, v[1:2]
	v_lshlrev_b32_e32 v1, s8, v1
	s_mov_b32 s5, 1
	s_delay_alu instid0(VALU_DEP_1) | instskip(NEXT) | instid1(VALU_DEP_3)
	v_lshlrev_b32_e32 v5, 2, v1
	v_add_co_u32 v3, vcc_lo, s1, v3
	s_delay_alu instid0(VALU_DEP_4)
	v_add_co_ci_u32_e32 v4, vcc_lo, s2, v4, vcc_lo
	v_mov_b32_e32 v1, 0
	global_load_b64 v[3:4], v[3:4], off
.LBB93_31:                              ;   Parent Loop BB93_29 Depth=1
                                        ; =>  This Inner Loop Header: Depth=2
	ds_load_b32 v6, v5
	v_add_nc_u32_e32 v5, 4, v5
	s_lshr_b32 s6, s5, s8
	s_add_i32 s5, s5, 1
	s_cmp_lg_u32 s6, 0
	s_waitcnt lgkmcnt(0)
	v_add_nc_u32_e32 v1, v6, v1
	s_cbranch_scc0 .LBB93_31
; %bb.32:                               ;   in Loop: Header=BB93_29 Depth=1
	s_waitcnt vmcnt(0)
	v_lshlrev_b64 v[3:4], 2, v[3:4]
	s_and_b32 vcc_lo, exec_lo, s3
	s_cbranch_vccz .LBB93_27
; %bb.33:                               ;   in Loop: Header=BB93_29 Depth=1
	s_delay_alu instid0(VALU_DEP_1) | instskip(NEXT) | instid1(VALU_DEP_2)
	v_add_co_u32 v5, vcc_lo, s10, v3
	v_add_co_ci_u32_e32 v6, vcc_lo, s11, v4, vcc_lo
	global_load_b32 v7, v[5:6], off
	s_waitcnt vmcnt(0)
	v_mad_u64_u32 v[5:6], null, v7, s13, v[1:2]
	s_delay_alu instid0(VALU_DEP_1)
	v_mov_b32_e32 v1, v5
	s_branch .LBB93_27
.LBB93_34:
	s_set_inst_prefetch_distance 0x2
	s_nop 0
	s_sendmsg sendmsg(MSG_DEALLOC_VGPRS)
	s_endpgm
	.section	.rodata,"a",@progbits
	.p2align	6, 0x0
	.amdhsa_kernel _ZN9rocsparseL30csrmvn_lrb_short_rows_2_kernelIllaaiiEEvbT_PT0_S3_jNS_24const_host_device_scalarIT4_EEPKS1_PKS2_PKT1_PKT2_S6_PT3_21rocsparse_index_base_b
		.amdhsa_group_segment_fixed_size 4096
		.amdhsa_private_segment_fixed_size 0
		.amdhsa_kernarg_size 104
		.amdhsa_user_sgpr_count 15
		.amdhsa_user_sgpr_dispatch_ptr 0
		.amdhsa_user_sgpr_queue_ptr 0
		.amdhsa_user_sgpr_kernarg_segment_ptr 1
		.amdhsa_user_sgpr_dispatch_id 0
		.amdhsa_user_sgpr_private_segment_size 0
		.amdhsa_wavefront_size32 1
		.amdhsa_uses_dynamic_stack 0
		.amdhsa_enable_private_segment 0
		.amdhsa_system_sgpr_workgroup_id_x 1
		.amdhsa_system_sgpr_workgroup_id_y 0
		.amdhsa_system_sgpr_workgroup_id_z 0
		.amdhsa_system_sgpr_workgroup_info 0
		.amdhsa_system_vgpr_workitem_id 0
		.amdhsa_next_free_vgpr 9
		.amdhsa_next_free_sgpr 24
		.amdhsa_reserve_vcc 1
		.amdhsa_float_round_mode_32 0
		.amdhsa_float_round_mode_16_64 0
		.amdhsa_float_denorm_mode_32 3
		.amdhsa_float_denorm_mode_16_64 3
		.amdhsa_dx10_clamp 1
		.amdhsa_ieee_mode 1
		.amdhsa_fp16_overflow 0
		.amdhsa_workgroup_processor_mode 1
		.amdhsa_memory_ordered 1
		.amdhsa_forward_progress 0
		.amdhsa_shared_vgpr_count 0
		.amdhsa_exception_fp_ieee_invalid_op 0
		.amdhsa_exception_fp_denorm_src 0
		.amdhsa_exception_fp_ieee_div_zero 0
		.amdhsa_exception_fp_ieee_overflow 0
		.amdhsa_exception_fp_ieee_underflow 0
		.amdhsa_exception_fp_ieee_inexact 0
		.amdhsa_exception_int_div_zero 0
	.end_amdhsa_kernel
	.section	.text._ZN9rocsparseL30csrmvn_lrb_short_rows_2_kernelIllaaiiEEvbT_PT0_S3_jNS_24const_host_device_scalarIT4_EEPKS1_PKS2_PKT1_PKT2_S6_PT3_21rocsparse_index_base_b,"axG",@progbits,_ZN9rocsparseL30csrmvn_lrb_short_rows_2_kernelIllaaiiEEvbT_PT0_S3_jNS_24const_host_device_scalarIT4_EEPKS1_PKS2_PKT1_PKT2_S6_PT3_21rocsparse_index_base_b,comdat
.Lfunc_end93:
	.size	_ZN9rocsparseL30csrmvn_lrb_short_rows_2_kernelIllaaiiEEvbT_PT0_S3_jNS_24const_host_device_scalarIT4_EEPKS1_PKS2_PKT1_PKT2_S6_PT3_21rocsparse_index_base_b, .Lfunc_end93-_ZN9rocsparseL30csrmvn_lrb_short_rows_2_kernelIllaaiiEEvbT_PT0_S3_jNS_24const_host_device_scalarIT4_EEPKS1_PKS2_PKT1_PKT2_S6_PT3_21rocsparse_index_base_b
                                        ; -- End function
	.section	.AMDGPU.csdata,"",@progbits
; Kernel info:
; codeLenInByte = 1912
; NumSgprs: 26
; NumVgprs: 9
; ScratchSize: 0
; MemoryBound: 0
; FloatMode: 240
; IeeeMode: 1
; LDSByteSize: 4096 bytes/workgroup (compile time only)
; SGPRBlocks: 3
; VGPRBlocks: 1
; NumSGPRsForWavesPerEU: 26
; NumVGPRsForWavesPerEU: 9
; Occupancy: 16
; WaveLimiterHint : 1
; COMPUTE_PGM_RSRC2:SCRATCH_EN: 0
; COMPUTE_PGM_RSRC2:USER_SGPR: 15
; COMPUTE_PGM_RSRC2:TRAP_HANDLER: 0
; COMPUTE_PGM_RSRC2:TGID_X_EN: 1
; COMPUTE_PGM_RSRC2:TGID_Y_EN: 0
; COMPUTE_PGM_RSRC2:TGID_Z_EN: 0
; COMPUTE_PGM_RSRC2:TIDIG_COMP_CNT: 0
	.section	.text._ZN9rocsparseL41csrmvn_lrb_medium_rows_warp_reduce_kernelILj256ELj32EllaaiiEEvbT1_lPT2_S3_jNS_24const_host_device_scalarIT6_EEPKS1_PKS2_PKT3_PKT4_S6_PT5_21rocsparse_index_base_b,"axG",@progbits,_ZN9rocsparseL41csrmvn_lrb_medium_rows_warp_reduce_kernelILj256ELj32EllaaiiEEvbT1_lPT2_S3_jNS_24const_host_device_scalarIT6_EEPKS1_PKS2_PKT3_PKT4_S6_PT5_21rocsparse_index_base_b,comdat
	.globl	_ZN9rocsparseL41csrmvn_lrb_medium_rows_warp_reduce_kernelILj256ELj32EllaaiiEEvbT1_lPT2_S3_jNS_24const_host_device_scalarIT6_EEPKS1_PKS2_PKT3_PKT4_S6_PT5_21rocsparse_index_base_b ; -- Begin function _ZN9rocsparseL41csrmvn_lrb_medium_rows_warp_reduce_kernelILj256ELj32EllaaiiEEvbT1_lPT2_S3_jNS_24const_host_device_scalarIT6_EEPKS1_PKS2_PKT3_PKT4_S6_PT5_21rocsparse_index_base_b
	.p2align	8
	.type	_ZN9rocsparseL41csrmvn_lrb_medium_rows_warp_reduce_kernelILj256ELj32EllaaiiEEvbT1_lPT2_S3_jNS_24const_host_device_scalarIT6_EEPKS1_PKS2_PKT3_PKT4_S6_PT5_21rocsparse_index_base_b,@function
_ZN9rocsparseL41csrmvn_lrb_medium_rows_warp_reduce_kernelILj256ELj32EllaaiiEEvbT1_lPT2_S3_jNS_24const_host_device_scalarIT6_EEPKS1_PKS2_PKT3_PKT4_S6_PT5_21rocsparse_index_base_b: ; @_ZN9rocsparseL41csrmvn_lrb_medium_rows_warp_reduce_kernelILj256ELj32EllaaiiEEvbT1_lPT2_S3_jNS_24const_host_device_scalarIT6_EEPKS1_PKS2_PKT3_PKT4_S6_PT5_21rocsparse_index_base_b
; %bb.0:
	s_clause 0x1
	s_load_b64 s[2:3], s[0:1], 0x68
	s_load_b64 s[6:7], s[0:1], 0x30
	s_mov_b32 s8, -1
                                        ; implicit-def: $sgpr14
	s_waitcnt lgkmcnt(0)
	s_bitcmp1_b32 s3, 0
	s_cselect_b32 s3, -1, 0
	s_delay_alu instid0(SALU_CYCLE_1) | instskip(NEXT) | instid1(SALU_CYCLE_1)
	s_xor_b32 s3, s3, -1
	s_and_b32 vcc_lo, exec_lo, s3
	s_cbranch_vccnz .LBB94_4
; %bb.1:
	s_load_b64 s[4:5], s[0:1], 0x58
	s_and_not1_b32 vcc_lo, exec_lo, s8
	s_cbranch_vccz .LBB94_5
.LBB94_2:
	s_and_b32 vcc_lo, exec_lo, s3
	s_cbranch_vccz .LBB94_6
.LBB94_3:
	s_waitcnt lgkmcnt(0)
	s_load_b32 s3, s[4:5], 0x0
	s_cbranch_execz .LBB94_7
	s_branch .LBB94_8
.LBB94_4:
	s_load_b32 s14, s[6:7], 0x0
	s_load_b64 s[4:5], s[0:1], 0x58
	s_cbranch_execnz .LBB94_2
.LBB94_5:
	s_waitcnt lgkmcnt(0)
	s_mov_b32 s14, s6
	s_and_b32 vcc_lo, exec_lo, s3
	s_cbranch_vccnz .LBB94_3
.LBB94_6:
	s_waitcnt lgkmcnt(0)
                                        ; implicit-def: $sgpr3
.LBB94_7:
	s_waitcnt lgkmcnt(0)
	s_mov_b32 s3, s4
.LBB94_8:
	s_cmp_lg_u32 s14, 0
	s_cselect_b32 s4, -1, 0
	s_waitcnt lgkmcnt(0)
	s_cmp_lg_u32 s3, 1
	s_cselect_b32 s5, -1, 0
	s_delay_alu instid0(SALU_CYCLE_1) | instskip(NEXT) | instid1(SALU_CYCLE_1)
	s_or_b32 s4, s4, s5
	s_and_not1_b32 vcc_lo, exec_lo, s4
	s_cbranch_vccnz .LBB94_18
; %bb.9:
	s_load_b64 s[4:5], s[0:1], 0x10
	v_lshrrev_b32_e32 v1, 5, v0
	s_delay_alu instid0(VALU_DEP_1) | instskip(NEXT) | instid1(VALU_DEP_1)
	v_lshl_or_b32 v1, s15, 3, v1
	v_ashrrev_i32_e32 v2, 31, v1
	s_waitcnt lgkmcnt(0)
	s_delay_alu instid0(VALU_DEP_1)
	v_cmp_gt_i64_e32 vcc_lo, s[4:5], v[1:2]
	s_and_saveexec_b32 s4, vcc_lo
	s_cbranch_execz .LBB94_18
; %bb.10:
	s_clause 0x1
	s_load_b32 s10, s[0:1], 0x28
	s_load_b128 s[4:7], s[0:1], 0x18
	s_mov_b32 s11, 0
	v_lshlrev_b64 v[1:2], 3, v[1:2]
	v_and_b32_e32 v9, 31, v0
	s_waitcnt lgkmcnt(0)
	s_lshl_b64 s[8:9], s[10:11], 3
	s_mov_b32 s10, exec_lo
	s_add_u32 s6, s6, s8
	s_addc_u32 s7, s7, s9
	s_load_b64 s[8:9], s[0:1], 0x60
	s_load_b64 s[6:7], s[6:7], 0x0
	s_waitcnt lgkmcnt(0)
	s_lshl_b64 s[6:7], s[6:7], 3
	s_delay_alu instid0(SALU_CYCLE_1)
	s_add_u32 s4, s4, s6
	s_addc_u32 s5, s5, s7
	v_add_co_u32 v1, vcc_lo, s4, v1
	v_add_co_ci_u32_e32 v2, vcc_lo, s5, v2, vcc_lo
	s_load_b64 s[4:5], s[0:1], 0x38
	global_load_b64 v[1:2], v[1:2], off
	s_waitcnt vmcnt(0)
	v_lshlrev_b64 v[3:4], 3, v[1:2]
	s_waitcnt lgkmcnt(0)
	s_delay_alu instid0(VALU_DEP_1) | instskip(NEXT) | instid1(VALU_DEP_2)
	v_add_co_u32 v3, vcc_lo, s4, v3
	v_add_co_ci_u32_e32 v4, vcc_lo, s5, v4, vcc_lo
	v_sub_co_u32 v0, s4, v9, s2
	s_delay_alu instid0(VALU_DEP_1)
	v_sub_co_ci_u32_e64 v10, null, 0, 0, s4
	global_load_b128 v[5:8], v[3:4], off
	s_waitcnt vmcnt(0)
	v_sub_co_u32 v3, vcc_lo, v7, s2
	v_subrev_co_ci_u32_e32 v4, vcc_lo, 0, v8, vcc_lo
	v_add_co_u32 v5, vcc_lo, v5, v0
	v_add_co_ci_u32_e32 v6, vcc_lo, v6, v10, vcc_lo
	v_mov_b32_e32 v0, 0
	s_delay_alu instid0(VALU_DEP_2)
	v_cmpx_lt_i64_e64 v[5:6], v[3:4]
	s_cbranch_execz .LBB94_14
; %bb.11:
	s_clause 0x1
	s_load_b128 s[4:7], s[0:1], 0x40
	s_load_b64 s[12:13], s[0:1], 0x50
	v_lshlrev_b64 v[7:8], 3, v[5:6]
	v_mov_b32_e32 v0, 0
	s_waitcnt lgkmcnt(0)
	s_delay_alu instid0(VALU_DEP_2) | instskip(NEXT) | instid1(VALU_DEP_3)
	v_add_co_u32 v7, vcc_lo, s4, v7
	v_add_co_ci_u32_e32 v8, vcc_lo, s5, v8, vcc_lo
	.p2align	6
.LBB94_12:                              ; =>This Inner Loop Header: Depth=1
	global_load_b64 v[10:11], v[7:8], off
	v_add_co_u32 v12, vcc_lo, s6, v5
	v_add_co_ci_u32_e32 v13, vcc_lo, s7, v6, vcc_lo
	v_add_co_u32 v7, s0, 0x100, v7
	s_delay_alu instid0(VALU_DEP_1) | instskip(SKIP_4) | instid1(VALU_DEP_2)
	v_add_co_ci_u32_e64 v8, s0, 0, v8, s0
	global_load_i8 v12, v[12:13], off
	s_waitcnt vmcnt(1)
	v_sub_co_u32 v10, vcc_lo, v10, s2
	v_subrev_co_ci_u32_e32 v11, vcc_lo, 0, v11, vcc_lo
	v_add_co_u32 v10, vcc_lo, s12, v10
	s_delay_alu instid0(VALU_DEP_2)
	v_add_co_ci_u32_e32 v11, vcc_lo, s13, v11, vcc_lo
	s_waitcnt vmcnt(0)
	v_mul_lo_u32 v12, s14, v12
	v_add_co_u32 v5, vcc_lo, v5, 32
	global_load_i8 v13, v[10:11], off
	v_add_co_ci_u32_e32 v6, vcc_lo, 0, v6, vcc_lo
	s_delay_alu instid0(VALU_DEP_1) | instskip(SKIP_3) | instid1(VALU_DEP_1)
	v_cmp_ge_i64_e32 vcc_lo, v[5:6], v[3:4]
	s_or_b32 s11, vcc_lo, s11
	s_waitcnt vmcnt(0)
	v_mad_u64_u32 v[10:11], null, v12, v13, v[0:1]
	v_mov_b32_e32 v0, v10
	s_and_not1_b32 exec_lo, exec_lo, s11
	s_cbranch_execnz .LBB94_12
; %bb.13:
	s_or_b32 exec_lo, exec_lo, s11
.LBB94_14:
	s_delay_alu instid0(SALU_CYCLE_1) | instskip(SKIP_1) | instid1(VALU_DEP_1)
	s_or_b32 exec_lo, exec_lo, s10
	v_mbcnt_lo_u32_b32 v3, -1, 0
	v_xor_b32_e32 v4, 16, v3
	v_xor_b32_e32 v5, 8, v3
	s_delay_alu instid0(VALU_DEP_2) | instskip(SKIP_1) | instid1(VALU_DEP_3)
	v_cmp_gt_i32_e32 vcc_lo, 32, v4
	v_cndmask_b32_e32 v4, v3, v4, vcc_lo
	v_cmp_gt_i32_e32 vcc_lo, 32, v5
	v_cndmask_b32_e32 v5, v3, v5, vcc_lo
	s_delay_alu instid0(VALU_DEP_1) | instskip(NEXT) | instid1(VALU_DEP_4)
	v_lshlrev_b32_e32 v5, 2, v5
	v_lshlrev_b32_e32 v4, 2, v4
	ds_bpermute_b32 v4, v4, v0
	s_waitcnt lgkmcnt(0)
	v_add_nc_u32_e32 v0, v4, v0
	ds_bpermute_b32 v4, v5, v0
	v_xor_b32_e32 v5, 4, v3
	s_delay_alu instid0(VALU_DEP_1) | instskip(SKIP_1) | instid1(VALU_DEP_1)
	v_cmp_gt_i32_e32 vcc_lo, 32, v5
	v_cndmask_b32_e32 v5, v3, v5, vcc_lo
	v_lshlrev_b32_e32 v5, 2, v5
	s_waitcnt lgkmcnt(0)
	v_add_nc_u32_e32 v0, v4, v0
	ds_bpermute_b32 v4, v5, v0
	v_xor_b32_e32 v5, 2, v3
	s_delay_alu instid0(VALU_DEP_1) | instskip(SKIP_1) | instid1(VALU_DEP_1)
	v_cmp_gt_i32_e32 vcc_lo, 32, v5
	v_cndmask_b32_e32 v5, v3, v5, vcc_lo
	v_lshlrev_b32_e32 v5, 2, v5
	s_waitcnt lgkmcnt(0)
	v_add_nc_u32_e32 v0, v4, v0
	ds_bpermute_b32 v4, v5, v0
	v_xor_b32_e32 v5, 1, v3
	s_delay_alu instid0(VALU_DEP_1) | instskip(SKIP_2) | instid1(VALU_DEP_2)
	v_cmp_gt_i32_e32 vcc_lo, 32, v5
	v_cndmask_b32_e32 v3, v3, v5, vcc_lo
	v_cmp_eq_u32_e32 vcc_lo, 31, v9
	v_lshlrev_b32_e32 v3, 2, v3
	s_waitcnt lgkmcnt(0)
	v_add_nc_u32_e32 v0, v4, v0
	ds_bpermute_b32 v3, v3, v0
	s_and_b32 exec_lo, exec_lo, vcc_lo
	s_cbranch_execz .LBB94_18
; %bb.15:
	v_lshlrev_b64 v[1:2], 2, v[1:2]
	s_waitcnt lgkmcnt(0)
	v_add_nc_u32_e32 v0, v3, v0
	s_cmp_eq_u32 s3, 0
	s_cbranch_scc1 .LBB94_17
; %bb.16:
	s_delay_alu instid0(VALU_DEP_2) | instskip(SKIP_4) | instid1(VALU_DEP_1)
	v_add_co_u32 v3, vcc_lo, s8, v1
	v_add_co_ci_u32_e32 v4, vcc_lo, s9, v2, vcc_lo
	global_load_b32 v5, v[3:4], off
	s_waitcnt vmcnt(0)
	v_mad_u64_u32 v[3:4], null, v5, s3, v[0:1]
	v_mov_b32_e32 v0, v3
.LBB94_17:
	s_delay_alu instid0(VALU_DEP_2)
	v_add_co_u32 v1, vcc_lo, s8, v1
	v_add_co_ci_u32_e32 v2, vcc_lo, s9, v2, vcc_lo
	global_store_b32 v[1:2], v0, off
.LBB94_18:
	s_nop 0
	s_sendmsg sendmsg(MSG_DEALLOC_VGPRS)
	s_endpgm
	.section	.rodata,"a",@progbits
	.p2align	6, 0x0
	.amdhsa_kernel _ZN9rocsparseL41csrmvn_lrb_medium_rows_warp_reduce_kernelILj256ELj32EllaaiiEEvbT1_lPT2_S3_jNS_24const_host_device_scalarIT6_EEPKS1_PKS2_PKT3_PKT4_S6_PT5_21rocsparse_index_base_b
		.amdhsa_group_segment_fixed_size 0
		.amdhsa_private_segment_fixed_size 0
		.amdhsa_kernarg_size 112
		.amdhsa_user_sgpr_count 15
		.amdhsa_user_sgpr_dispatch_ptr 0
		.amdhsa_user_sgpr_queue_ptr 0
		.amdhsa_user_sgpr_kernarg_segment_ptr 1
		.amdhsa_user_sgpr_dispatch_id 0
		.amdhsa_user_sgpr_private_segment_size 0
		.amdhsa_wavefront_size32 1
		.amdhsa_uses_dynamic_stack 0
		.amdhsa_enable_private_segment 0
		.amdhsa_system_sgpr_workgroup_id_x 1
		.amdhsa_system_sgpr_workgroup_id_y 0
		.amdhsa_system_sgpr_workgroup_id_z 0
		.amdhsa_system_sgpr_workgroup_info 0
		.amdhsa_system_vgpr_workitem_id 0
		.amdhsa_next_free_vgpr 14
		.amdhsa_next_free_sgpr 16
		.amdhsa_reserve_vcc 1
		.amdhsa_float_round_mode_32 0
		.amdhsa_float_round_mode_16_64 0
		.amdhsa_float_denorm_mode_32 3
		.amdhsa_float_denorm_mode_16_64 3
		.amdhsa_dx10_clamp 1
		.amdhsa_ieee_mode 1
		.amdhsa_fp16_overflow 0
		.amdhsa_workgroup_processor_mode 1
		.amdhsa_memory_ordered 1
		.amdhsa_forward_progress 0
		.amdhsa_shared_vgpr_count 0
		.amdhsa_exception_fp_ieee_invalid_op 0
		.amdhsa_exception_fp_denorm_src 0
		.amdhsa_exception_fp_ieee_div_zero 0
		.amdhsa_exception_fp_ieee_overflow 0
		.amdhsa_exception_fp_ieee_underflow 0
		.amdhsa_exception_fp_ieee_inexact 0
		.amdhsa_exception_int_div_zero 0
	.end_amdhsa_kernel
	.section	.text._ZN9rocsparseL41csrmvn_lrb_medium_rows_warp_reduce_kernelILj256ELj32EllaaiiEEvbT1_lPT2_S3_jNS_24const_host_device_scalarIT6_EEPKS1_PKS2_PKT3_PKT4_S6_PT5_21rocsparse_index_base_b,"axG",@progbits,_ZN9rocsparseL41csrmvn_lrb_medium_rows_warp_reduce_kernelILj256ELj32EllaaiiEEvbT1_lPT2_S3_jNS_24const_host_device_scalarIT6_EEPKS1_PKS2_PKT3_PKT4_S6_PT5_21rocsparse_index_base_b,comdat
.Lfunc_end94:
	.size	_ZN9rocsparseL41csrmvn_lrb_medium_rows_warp_reduce_kernelILj256ELj32EllaaiiEEvbT1_lPT2_S3_jNS_24const_host_device_scalarIT6_EEPKS1_PKS2_PKT3_PKT4_S6_PT5_21rocsparse_index_base_b, .Lfunc_end94-_ZN9rocsparseL41csrmvn_lrb_medium_rows_warp_reduce_kernelILj256ELj32EllaaiiEEvbT1_lPT2_S3_jNS_24const_host_device_scalarIT6_EEPKS1_PKS2_PKT3_PKT4_S6_PT5_21rocsparse_index_base_b
                                        ; -- End function
	.section	.AMDGPU.csdata,"",@progbits
; Kernel info:
; codeLenInByte = 964
; NumSgprs: 18
; NumVgprs: 14
; ScratchSize: 0
; MemoryBound: 0
; FloatMode: 240
; IeeeMode: 1
; LDSByteSize: 0 bytes/workgroup (compile time only)
; SGPRBlocks: 2
; VGPRBlocks: 1
; NumSGPRsForWavesPerEU: 18
; NumVGPRsForWavesPerEU: 14
; Occupancy: 16
; WaveLimiterHint : 1
; COMPUTE_PGM_RSRC2:SCRATCH_EN: 0
; COMPUTE_PGM_RSRC2:USER_SGPR: 15
; COMPUTE_PGM_RSRC2:TRAP_HANDLER: 0
; COMPUTE_PGM_RSRC2:TGID_X_EN: 1
; COMPUTE_PGM_RSRC2:TGID_Y_EN: 0
; COMPUTE_PGM_RSRC2:TGID_Z_EN: 0
; COMPUTE_PGM_RSRC2:TIDIG_COMP_CNT: 0
	.section	.text._ZN9rocsparseL41csrmvn_lrb_medium_rows_warp_reduce_kernelILj256ELj64EllaaiiEEvbT1_lPT2_S3_jNS_24const_host_device_scalarIT6_EEPKS1_PKS2_PKT3_PKT4_S6_PT5_21rocsparse_index_base_b,"axG",@progbits,_ZN9rocsparseL41csrmvn_lrb_medium_rows_warp_reduce_kernelILj256ELj64EllaaiiEEvbT1_lPT2_S3_jNS_24const_host_device_scalarIT6_EEPKS1_PKS2_PKT3_PKT4_S6_PT5_21rocsparse_index_base_b,comdat
	.globl	_ZN9rocsparseL41csrmvn_lrb_medium_rows_warp_reduce_kernelILj256ELj64EllaaiiEEvbT1_lPT2_S3_jNS_24const_host_device_scalarIT6_EEPKS1_PKS2_PKT3_PKT4_S6_PT5_21rocsparse_index_base_b ; -- Begin function _ZN9rocsparseL41csrmvn_lrb_medium_rows_warp_reduce_kernelILj256ELj64EllaaiiEEvbT1_lPT2_S3_jNS_24const_host_device_scalarIT6_EEPKS1_PKS2_PKT3_PKT4_S6_PT5_21rocsparse_index_base_b
	.p2align	8
	.type	_ZN9rocsparseL41csrmvn_lrb_medium_rows_warp_reduce_kernelILj256ELj64EllaaiiEEvbT1_lPT2_S3_jNS_24const_host_device_scalarIT6_EEPKS1_PKS2_PKT3_PKT4_S6_PT5_21rocsparse_index_base_b,@function
_ZN9rocsparseL41csrmvn_lrb_medium_rows_warp_reduce_kernelILj256ELj64EllaaiiEEvbT1_lPT2_S3_jNS_24const_host_device_scalarIT6_EEPKS1_PKS2_PKT3_PKT4_S6_PT5_21rocsparse_index_base_b: ; @_ZN9rocsparseL41csrmvn_lrb_medium_rows_warp_reduce_kernelILj256ELj64EllaaiiEEvbT1_lPT2_S3_jNS_24const_host_device_scalarIT6_EEPKS1_PKS2_PKT3_PKT4_S6_PT5_21rocsparse_index_base_b
; %bb.0:
	s_clause 0x1
	s_load_b64 s[2:3], s[0:1], 0x68
	s_load_b64 s[6:7], s[0:1], 0x30
	s_mov_b32 s8, -1
                                        ; implicit-def: $sgpr14
	s_waitcnt lgkmcnt(0)
	s_bitcmp1_b32 s3, 0
	s_cselect_b32 s3, -1, 0
	s_delay_alu instid0(SALU_CYCLE_1) | instskip(NEXT) | instid1(SALU_CYCLE_1)
	s_xor_b32 s3, s3, -1
	s_and_b32 vcc_lo, exec_lo, s3
	s_cbranch_vccnz .LBB95_4
; %bb.1:
	s_load_b64 s[4:5], s[0:1], 0x58
	s_and_not1_b32 vcc_lo, exec_lo, s8
	s_cbranch_vccz .LBB95_5
.LBB95_2:
	s_and_b32 vcc_lo, exec_lo, s3
	s_cbranch_vccz .LBB95_6
.LBB95_3:
	s_waitcnt lgkmcnt(0)
	s_load_b32 s3, s[4:5], 0x0
	s_cbranch_execz .LBB95_7
	s_branch .LBB95_8
.LBB95_4:
	s_load_b32 s14, s[6:7], 0x0
	s_load_b64 s[4:5], s[0:1], 0x58
	s_cbranch_execnz .LBB95_2
.LBB95_5:
	s_waitcnt lgkmcnt(0)
	s_mov_b32 s14, s6
	s_and_b32 vcc_lo, exec_lo, s3
	s_cbranch_vccnz .LBB95_3
.LBB95_6:
	s_waitcnt lgkmcnt(0)
                                        ; implicit-def: $sgpr3
.LBB95_7:
	s_waitcnt lgkmcnt(0)
	s_mov_b32 s3, s4
.LBB95_8:
	s_cmp_lg_u32 s14, 0
	s_cselect_b32 s4, -1, 0
	s_waitcnt lgkmcnt(0)
	s_cmp_lg_u32 s3, 1
	s_cselect_b32 s5, -1, 0
	s_delay_alu instid0(SALU_CYCLE_1) | instskip(NEXT) | instid1(SALU_CYCLE_1)
	s_or_b32 s4, s4, s5
	s_and_not1_b32 vcc_lo, exec_lo, s4
	s_cbranch_vccnz .LBB95_18
; %bb.9:
	s_load_b64 s[4:5], s[0:1], 0x10
	v_lshrrev_b32_e32 v1, 6, v0
	s_delay_alu instid0(VALU_DEP_1) | instskip(NEXT) | instid1(VALU_DEP_1)
	v_lshl_or_b32 v1, s15, 2, v1
	v_ashrrev_i32_e32 v2, 31, v1
	s_waitcnt lgkmcnt(0)
	s_delay_alu instid0(VALU_DEP_1)
	v_cmp_gt_i64_e32 vcc_lo, s[4:5], v[1:2]
	s_and_saveexec_b32 s4, vcc_lo
	s_cbranch_execz .LBB95_18
; %bb.10:
	s_clause 0x1
	s_load_b32 s10, s[0:1], 0x28
	s_load_b128 s[4:7], s[0:1], 0x18
	s_mov_b32 s11, 0
	v_lshlrev_b64 v[1:2], 3, v[1:2]
	v_and_b32_e32 v9, 63, v0
	s_waitcnt lgkmcnt(0)
	s_lshl_b64 s[8:9], s[10:11], 3
	s_mov_b32 s10, exec_lo
	s_add_u32 s6, s6, s8
	s_addc_u32 s7, s7, s9
	s_load_b64 s[8:9], s[0:1], 0x60
	s_load_b64 s[6:7], s[6:7], 0x0
	s_waitcnt lgkmcnt(0)
	s_lshl_b64 s[6:7], s[6:7], 3
	s_delay_alu instid0(SALU_CYCLE_1)
	s_add_u32 s4, s4, s6
	s_addc_u32 s5, s5, s7
	v_add_co_u32 v1, vcc_lo, s4, v1
	v_add_co_ci_u32_e32 v2, vcc_lo, s5, v2, vcc_lo
	s_load_b64 s[4:5], s[0:1], 0x38
	global_load_b64 v[1:2], v[1:2], off
	s_waitcnt vmcnt(0)
	v_lshlrev_b64 v[3:4], 3, v[1:2]
	s_waitcnt lgkmcnt(0)
	s_delay_alu instid0(VALU_DEP_1) | instskip(NEXT) | instid1(VALU_DEP_2)
	v_add_co_u32 v3, vcc_lo, s4, v3
	v_add_co_ci_u32_e32 v4, vcc_lo, s5, v4, vcc_lo
	v_sub_co_u32 v0, s4, v9, s2
	s_delay_alu instid0(VALU_DEP_1)
	v_sub_co_ci_u32_e64 v10, null, 0, 0, s4
	global_load_b128 v[5:8], v[3:4], off
	s_waitcnt vmcnt(0)
	v_sub_co_u32 v3, vcc_lo, v7, s2
	v_subrev_co_ci_u32_e32 v4, vcc_lo, 0, v8, vcc_lo
	v_add_co_u32 v5, vcc_lo, v5, v0
	v_add_co_ci_u32_e32 v6, vcc_lo, v6, v10, vcc_lo
	v_mov_b32_e32 v0, 0
	s_delay_alu instid0(VALU_DEP_2)
	v_cmpx_lt_i64_e64 v[5:6], v[3:4]
	s_cbranch_execz .LBB95_14
; %bb.11:
	s_clause 0x1
	s_load_b128 s[4:7], s[0:1], 0x40
	s_load_b64 s[12:13], s[0:1], 0x50
	v_lshlrev_b64 v[7:8], 3, v[5:6]
	v_mov_b32_e32 v0, 0
	s_waitcnt lgkmcnt(0)
	s_delay_alu instid0(VALU_DEP_2) | instskip(NEXT) | instid1(VALU_DEP_3)
	v_add_co_u32 v7, vcc_lo, s4, v7
	v_add_co_ci_u32_e32 v8, vcc_lo, s5, v8, vcc_lo
	.p2align	6
.LBB95_12:                              ; =>This Inner Loop Header: Depth=1
	global_load_b64 v[10:11], v[7:8], off
	v_add_co_u32 v12, vcc_lo, s6, v5
	v_add_co_ci_u32_e32 v13, vcc_lo, s7, v6, vcc_lo
	v_add_co_u32 v7, s0, 0x200, v7
	s_delay_alu instid0(VALU_DEP_1) | instskip(SKIP_4) | instid1(VALU_DEP_2)
	v_add_co_ci_u32_e64 v8, s0, 0, v8, s0
	global_load_i8 v12, v[12:13], off
	s_waitcnt vmcnt(1)
	v_sub_co_u32 v10, vcc_lo, v10, s2
	v_subrev_co_ci_u32_e32 v11, vcc_lo, 0, v11, vcc_lo
	v_add_co_u32 v10, vcc_lo, s12, v10
	s_delay_alu instid0(VALU_DEP_2)
	v_add_co_ci_u32_e32 v11, vcc_lo, s13, v11, vcc_lo
	s_waitcnt vmcnt(0)
	v_mul_lo_u32 v12, s14, v12
	v_add_co_u32 v5, vcc_lo, v5, 64
	global_load_i8 v13, v[10:11], off
	v_add_co_ci_u32_e32 v6, vcc_lo, 0, v6, vcc_lo
	s_delay_alu instid0(VALU_DEP_1) | instskip(SKIP_3) | instid1(VALU_DEP_1)
	v_cmp_ge_i64_e32 vcc_lo, v[5:6], v[3:4]
	s_or_b32 s11, vcc_lo, s11
	s_waitcnt vmcnt(0)
	v_mad_u64_u32 v[10:11], null, v12, v13, v[0:1]
	v_mov_b32_e32 v0, v10
	s_and_not1_b32 exec_lo, exec_lo, s11
	s_cbranch_execnz .LBB95_12
; %bb.13:
	s_or_b32 exec_lo, exec_lo, s11
.LBB95_14:
	s_delay_alu instid0(SALU_CYCLE_1) | instskip(SKIP_1) | instid1(VALU_DEP_1)
	s_or_b32 exec_lo, exec_lo, s10
	v_mbcnt_lo_u32_b32 v3, -1, 0
	v_or_b32_e32 v4, 32, v3
	v_xor_b32_e32 v5, 16, v3
	s_delay_alu instid0(VALU_DEP_2) | instskip(SKIP_1) | instid1(VALU_DEP_3)
	v_cmp_gt_i32_e32 vcc_lo, 32, v4
	v_cndmask_b32_e32 v4, v3, v4, vcc_lo
	v_cmp_gt_i32_e32 vcc_lo, 32, v5
	v_cndmask_b32_e32 v5, v3, v5, vcc_lo
	s_delay_alu instid0(VALU_DEP_1) | instskip(NEXT) | instid1(VALU_DEP_4)
	v_lshlrev_b32_e32 v5, 2, v5
	v_lshlrev_b32_e32 v4, 2, v4
	ds_bpermute_b32 v4, v4, v0
	s_waitcnt lgkmcnt(0)
	v_add_nc_u32_e32 v0, v4, v0
	ds_bpermute_b32 v4, v5, v0
	v_xor_b32_e32 v5, 8, v3
	s_delay_alu instid0(VALU_DEP_1) | instskip(SKIP_1) | instid1(VALU_DEP_1)
	v_cmp_gt_i32_e32 vcc_lo, 32, v5
	v_cndmask_b32_e32 v5, v3, v5, vcc_lo
	v_lshlrev_b32_e32 v5, 2, v5
	s_waitcnt lgkmcnt(0)
	v_add_nc_u32_e32 v0, v4, v0
	ds_bpermute_b32 v4, v5, v0
	v_xor_b32_e32 v5, 4, v3
	s_delay_alu instid0(VALU_DEP_1) | instskip(SKIP_1) | instid1(VALU_DEP_1)
	v_cmp_gt_i32_e32 vcc_lo, 32, v5
	v_cndmask_b32_e32 v5, v3, v5, vcc_lo
	v_lshlrev_b32_e32 v5, 2, v5
	;; [unrolled: 8-line block ×3, first 2 shown]
	s_waitcnt lgkmcnt(0)
	v_add_nc_u32_e32 v0, v4, v0
	ds_bpermute_b32 v4, v5, v0
	v_xor_b32_e32 v5, 1, v3
	s_delay_alu instid0(VALU_DEP_1) | instskip(SKIP_2) | instid1(VALU_DEP_2)
	v_cmp_gt_i32_e32 vcc_lo, 32, v5
	v_cndmask_b32_e32 v3, v3, v5, vcc_lo
	v_cmp_eq_u32_e32 vcc_lo, 63, v9
	v_lshlrev_b32_e32 v3, 2, v3
	s_waitcnt lgkmcnt(0)
	v_add_nc_u32_e32 v0, v4, v0
	ds_bpermute_b32 v3, v3, v0
	s_and_b32 exec_lo, exec_lo, vcc_lo
	s_cbranch_execz .LBB95_18
; %bb.15:
	v_lshlrev_b64 v[1:2], 2, v[1:2]
	s_waitcnt lgkmcnt(0)
	v_add_nc_u32_e32 v0, v3, v0
	s_cmp_eq_u32 s3, 0
	s_cbranch_scc1 .LBB95_17
; %bb.16:
	s_delay_alu instid0(VALU_DEP_2) | instskip(SKIP_4) | instid1(VALU_DEP_1)
	v_add_co_u32 v3, vcc_lo, s8, v1
	v_add_co_ci_u32_e32 v4, vcc_lo, s9, v2, vcc_lo
	global_load_b32 v5, v[3:4], off
	s_waitcnt vmcnt(0)
	v_mad_u64_u32 v[3:4], null, v5, s3, v[0:1]
	v_mov_b32_e32 v0, v3
.LBB95_17:
	s_delay_alu instid0(VALU_DEP_2)
	v_add_co_u32 v1, vcc_lo, s8, v1
	v_add_co_ci_u32_e32 v2, vcc_lo, s9, v2, vcc_lo
	global_store_b32 v[1:2], v0, off
.LBB95_18:
	s_nop 0
	s_sendmsg sendmsg(MSG_DEALLOC_VGPRS)
	s_endpgm
	.section	.rodata,"a",@progbits
	.p2align	6, 0x0
	.amdhsa_kernel _ZN9rocsparseL41csrmvn_lrb_medium_rows_warp_reduce_kernelILj256ELj64EllaaiiEEvbT1_lPT2_S3_jNS_24const_host_device_scalarIT6_EEPKS1_PKS2_PKT3_PKT4_S6_PT5_21rocsparse_index_base_b
		.amdhsa_group_segment_fixed_size 0
		.amdhsa_private_segment_fixed_size 0
		.amdhsa_kernarg_size 112
		.amdhsa_user_sgpr_count 15
		.amdhsa_user_sgpr_dispatch_ptr 0
		.amdhsa_user_sgpr_queue_ptr 0
		.amdhsa_user_sgpr_kernarg_segment_ptr 1
		.amdhsa_user_sgpr_dispatch_id 0
		.amdhsa_user_sgpr_private_segment_size 0
		.amdhsa_wavefront_size32 1
		.amdhsa_uses_dynamic_stack 0
		.amdhsa_enable_private_segment 0
		.amdhsa_system_sgpr_workgroup_id_x 1
		.amdhsa_system_sgpr_workgroup_id_y 0
		.amdhsa_system_sgpr_workgroup_id_z 0
		.amdhsa_system_sgpr_workgroup_info 0
		.amdhsa_system_vgpr_workitem_id 0
		.amdhsa_next_free_vgpr 14
		.amdhsa_next_free_sgpr 16
		.amdhsa_reserve_vcc 1
		.amdhsa_float_round_mode_32 0
		.amdhsa_float_round_mode_16_64 0
		.amdhsa_float_denorm_mode_32 3
		.amdhsa_float_denorm_mode_16_64 3
		.amdhsa_dx10_clamp 1
		.amdhsa_ieee_mode 1
		.amdhsa_fp16_overflow 0
		.amdhsa_workgroup_processor_mode 1
		.amdhsa_memory_ordered 1
		.amdhsa_forward_progress 0
		.amdhsa_shared_vgpr_count 0
		.amdhsa_exception_fp_ieee_invalid_op 0
		.amdhsa_exception_fp_denorm_src 0
		.amdhsa_exception_fp_ieee_div_zero 0
		.amdhsa_exception_fp_ieee_overflow 0
		.amdhsa_exception_fp_ieee_underflow 0
		.amdhsa_exception_fp_ieee_inexact 0
		.amdhsa_exception_int_div_zero 0
	.end_amdhsa_kernel
	.section	.text._ZN9rocsparseL41csrmvn_lrb_medium_rows_warp_reduce_kernelILj256ELj64EllaaiiEEvbT1_lPT2_S3_jNS_24const_host_device_scalarIT6_EEPKS1_PKS2_PKT3_PKT4_S6_PT5_21rocsparse_index_base_b,"axG",@progbits,_ZN9rocsparseL41csrmvn_lrb_medium_rows_warp_reduce_kernelILj256ELj64EllaaiiEEvbT1_lPT2_S3_jNS_24const_host_device_scalarIT6_EEPKS1_PKS2_PKT3_PKT4_S6_PT5_21rocsparse_index_base_b,comdat
.Lfunc_end95:
	.size	_ZN9rocsparseL41csrmvn_lrb_medium_rows_warp_reduce_kernelILj256ELj64EllaaiiEEvbT1_lPT2_S3_jNS_24const_host_device_scalarIT6_EEPKS1_PKS2_PKT3_PKT4_S6_PT5_21rocsparse_index_base_b, .Lfunc_end95-_ZN9rocsparseL41csrmvn_lrb_medium_rows_warp_reduce_kernelILj256ELj64EllaaiiEEvbT1_lPT2_S3_jNS_24const_host_device_scalarIT6_EEPKS1_PKS2_PKT3_PKT4_S6_PT5_21rocsparse_index_base_b
                                        ; -- End function
	.section	.AMDGPU.csdata,"",@progbits
; Kernel info:
; codeLenInByte = 1000
; NumSgprs: 18
; NumVgprs: 14
; ScratchSize: 0
; MemoryBound: 0
; FloatMode: 240
; IeeeMode: 1
; LDSByteSize: 0 bytes/workgroup (compile time only)
; SGPRBlocks: 2
; VGPRBlocks: 1
; NumSGPRsForWavesPerEU: 18
; NumVGPRsForWavesPerEU: 14
; Occupancy: 16
; WaveLimiterHint : 1
; COMPUTE_PGM_RSRC2:SCRATCH_EN: 0
; COMPUTE_PGM_RSRC2:USER_SGPR: 15
; COMPUTE_PGM_RSRC2:TRAP_HANDLER: 0
; COMPUTE_PGM_RSRC2:TGID_X_EN: 1
; COMPUTE_PGM_RSRC2:TGID_Y_EN: 0
; COMPUTE_PGM_RSRC2:TGID_Z_EN: 0
; COMPUTE_PGM_RSRC2:TIDIG_COMP_CNT: 0
	.section	.text._ZN9rocsparseL29csrmvn_lrb_medium_rows_kernelILj256EllaaiiEEvbT0_PT1_S3_jNS_24const_host_device_scalarIT5_EEPKS1_PKS2_PKT2_PKT3_S6_PT4_21rocsparse_index_base_b,"axG",@progbits,_ZN9rocsparseL29csrmvn_lrb_medium_rows_kernelILj256EllaaiiEEvbT0_PT1_S3_jNS_24const_host_device_scalarIT5_EEPKS1_PKS2_PKT2_PKT3_S6_PT4_21rocsparse_index_base_b,comdat
	.globl	_ZN9rocsparseL29csrmvn_lrb_medium_rows_kernelILj256EllaaiiEEvbT0_PT1_S3_jNS_24const_host_device_scalarIT5_EEPKS1_PKS2_PKT2_PKT3_S6_PT4_21rocsparse_index_base_b ; -- Begin function _ZN9rocsparseL29csrmvn_lrb_medium_rows_kernelILj256EllaaiiEEvbT0_PT1_S3_jNS_24const_host_device_scalarIT5_EEPKS1_PKS2_PKT2_PKT3_S6_PT4_21rocsparse_index_base_b
	.p2align	8
	.type	_ZN9rocsparseL29csrmvn_lrb_medium_rows_kernelILj256EllaaiiEEvbT0_PT1_S3_jNS_24const_host_device_scalarIT5_EEPKS1_PKS2_PKT2_PKT3_S6_PT4_21rocsparse_index_base_b,@function
_ZN9rocsparseL29csrmvn_lrb_medium_rows_kernelILj256EllaaiiEEvbT0_PT1_S3_jNS_24const_host_device_scalarIT5_EEPKS1_PKS2_PKT2_PKT3_S6_PT4_21rocsparse_index_base_b: ; @_ZN9rocsparseL29csrmvn_lrb_medium_rows_kernelILj256EllaaiiEEvbT0_PT1_S3_jNS_24const_host_device_scalarIT5_EEPKS1_PKS2_PKT2_PKT3_S6_PT4_21rocsparse_index_base_b
; %bb.0:
	s_clause 0x1
	s_load_b64 s[10:11], s[0:1], 0x60
	s_load_b64 s[6:7], s[0:1], 0x28
	s_mov_b32 s2, s15
	s_mov_b32 s8, -1
                                        ; implicit-def: $sgpr16
	s_waitcnt lgkmcnt(0)
	s_bitcmp1_b32 s11, 0
	s_cselect_b32 s3, -1, 0
	s_delay_alu instid0(SALU_CYCLE_1) | instskip(NEXT) | instid1(SALU_CYCLE_1)
	s_xor_b32 s3, s3, -1
	s_and_b32 vcc_lo, exec_lo, s3
	s_cbranch_vccnz .LBB96_4
; %bb.1:
	s_load_b64 s[4:5], s[0:1], 0x50
	s_and_not1_b32 vcc_lo, exec_lo, s8
	s_cbranch_vccz .LBB96_5
.LBB96_2:
	s_and_b32 vcc_lo, exec_lo, s3
	s_cbranch_vccz .LBB96_6
.LBB96_3:
	s_waitcnt lgkmcnt(0)
	s_load_b32 s11, s[4:5], 0x0
	s_cbranch_execz .LBB96_7
	s_branch .LBB96_8
.LBB96_4:
	s_load_b32 s16, s[6:7], 0x0
	s_load_b64 s[4:5], s[0:1], 0x50
	s_cbranch_execnz .LBB96_2
.LBB96_5:
	s_waitcnt lgkmcnt(0)
	s_mov_b32 s16, s6
	s_and_b32 vcc_lo, exec_lo, s3
	s_cbranch_vccnz .LBB96_3
.LBB96_6:
                                        ; implicit-def: $sgpr11
.LBB96_7:
	s_waitcnt lgkmcnt(0)
	s_mov_b32 s11, s4
.LBB96_8:
	s_waitcnt lgkmcnt(0)
	s_cmp_lg_u32 s16, 0
	s_mov_b32 s5, 0
	s_cselect_b32 s3, -1, 0
	s_cmp_lg_u32 s11, 1
	s_cselect_b32 s4, -1, 0
	s_delay_alu instid0(SALU_CYCLE_1) | instskip(NEXT) | instid1(SALU_CYCLE_1)
	s_or_b32 s3, s3, s4
	s_and_not1_b32 vcc_lo, exec_lo, s3
	s_cbranch_vccnz .LBB96_33
; %bb.9:
	s_clause 0x1
	s_load_b32 s4, s[0:1], 0x20
	s_load_b128 s[12:15], s[0:1], 0x10
	v_mov_b32_e32 v3, 0
	s_mov_b32 s17, exec_lo
	s_waitcnt lgkmcnt(0)
	s_lshl_b64 s[4:5], s[4:5], 3
	s_delay_alu instid0(SALU_CYCLE_1)
	s_add_u32 s4, s14, s4
	s_addc_u32 s5, s15, s5
	s_ashr_i32 s3, s2, 31
	s_load_b64 s[4:5], s[4:5], 0x0
	s_waitcnt lgkmcnt(0)
	s_lshl_b64 s[4:5], s[4:5], 3
	s_delay_alu instid0(SALU_CYCLE_1)
	s_add_u32 s4, s12, s4
	s_addc_u32 s5, s13, s5
	s_lshl_b64 s[2:3], s[2:3], 3
	v_sub_co_u32 v1, s12, v0, s10
	s_add_u32 s2, s4, s2
	s_addc_u32 s3, s5, s3
	s_load_b64 s[2:3], s[2:3], 0x0
	s_load_b64 s[4:5], s[0:1], 0x30
	v_sub_co_ci_u32_e64 v2, null, 0, 0, s12
	s_waitcnt lgkmcnt(0)
	s_lshl_b64 s[6:7], s[2:3], 3
	s_delay_alu instid0(SALU_CYCLE_1)
	s_add_u32 s4, s4, s6
	s_addc_u32 s5, s5, s7
	s_load_b128 s[4:7], s[4:5], 0x0
	s_load_b64 s[8:9], s[0:1], 0x58
	s_waitcnt lgkmcnt(0)
	v_add_co_u32 v1, vcc_lo, s4, v1
	v_add_co_ci_u32_e32 v2, vcc_lo, s5, v2, vcc_lo
	s_sub_u32 s12, s6, s10
	s_subb_u32 s13, s7, 0
	s_delay_alu instid0(VALU_DEP_1) | instid1(SALU_CYCLE_1)
	v_cmpx_gt_i64_e64 s[12:13], v[1:2]
	s_cbranch_execz .LBB96_13
; %bb.10:
	s_clause 0x1
	s_load_b128 s[4:7], s[0:1], 0x38
	s_load_b64 s[14:15], s[0:1], 0x48
	v_lshlrev_b64 v[4:5], 3, v[1:2]
	v_mov_b32_e32 v3, 0
	s_mov_b32 s1, 0
	s_waitcnt lgkmcnt(0)
	s_delay_alu instid0(VALU_DEP_2) | instskip(NEXT) | instid1(VALU_DEP_3)
	v_add_co_u32 v4, vcc_lo, s4, v4
	v_add_co_ci_u32_e32 v5, vcc_lo, s5, v5, vcc_lo
	s_set_inst_prefetch_distance 0x1
	.p2align	6
.LBB96_11:                              ; =>This Inner Loop Header: Depth=1
	global_load_b64 v[6:7], v[4:5], off
	v_add_co_u32 v8, vcc_lo, s6, v1
	v_add_co_ci_u32_e32 v9, vcc_lo, s7, v2, vcc_lo
	global_load_i8 v8, v[8:9], off
	s_waitcnt vmcnt(1)
	v_sub_co_u32 v6, vcc_lo, v6, s10
	v_subrev_co_ci_u32_e32 v7, vcc_lo, 0, v7, vcc_lo
	s_delay_alu instid0(VALU_DEP_2) | instskip(NEXT) | instid1(VALU_DEP_2)
	v_add_co_u32 v6, vcc_lo, s14, v6
	v_add_co_ci_u32_e32 v7, vcc_lo, s15, v7, vcc_lo
	s_waitcnt vmcnt(0)
	v_mul_lo_u32 v8, s16, v8
	v_add_co_u32 v1, vcc_lo, 0x100, v1
	global_load_i8 v9, v[6:7], off
	v_add_co_ci_u32_e32 v2, vcc_lo, 0, v2, vcc_lo
	s_delay_alu instid0(VALU_DEP_1) | instskip(SKIP_4) | instid1(VALU_DEP_1)
	v_cmp_le_i64_e32 vcc_lo, s[12:13], v[1:2]
	s_or_b32 s1, vcc_lo, s1
	s_waitcnt vmcnt(0)
	v_mad_u64_u32 v[6:7], null, v8, v9, v[3:4]
	v_add_co_u32 v4, s0, 0x800, v4
	v_add_co_ci_u32_e64 v5, s0, 0, v5, s0
	s_delay_alu instid0(VALU_DEP_3)
	v_mov_b32_e32 v3, v6
	s_and_not1_b32 exec_lo, exec_lo, s1
	s_cbranch_execnz .LBB96_11
; %bb.12:
	s_set_inst_prefetch_distance 0x2
	s_or_b32 exec_lo, exec_lo, s1
.LBB96_13:
	s_delay_alu instid0(SALU_CYCLE_1)
	s_or_b32 exec_lo, exec_lo, s17
	v_lshlrev_b32_e32 v1, 2, v0
	s_mov_b32 s0, exec_lo
	ds_store_b32 v1, v3
	s_waitcnt lgkmcnt(0)
	s_barrier
	buffer_gl0_inv
	v_cmpx_gt_u32_e32 0x80, v0
	s_cbranch_execz .LBB96_15
; %bb.14:
	ds_load_2addr_stride64_b32 v[2:3], v1 offset1:2
	s_waitcnt lgkmcnt(0)
	v_add_nc_u32_e32 v2, v3, v2
	ds_store_b32 v1, v2
.LBB96_15:
	s_or_b32 exec_lo, exec_lo, s0
	s_delay_alu instid0(SALU_CYCLE_1)
	s_mov_b32 s0, exec_lo
	s_waitcnt lgkmcnt(0)
	s_barrier
	buffer_gl0_inv
	v_cmpx_gt_u32_e32 64, v0
	s_cbranch_execz .LBB96_17
; %bb.16:
	ds_load_2addr_stride64_b32 v[2:3], v1 offset1:1
	s_waitcnt lgkmcnt(0)
	v_add_nc_u32_e32 v2, v3, v2
	ds_store_b32 v1, v2
.LBB96_17:
	s_or_b32 exec_lo, exec_lo, s0
	s_delay_alu instid0(SALU_CYCLE_1)
	s_mov_b32 s0, exec_lo
	s_waitcnt lgkmcnt(0)
	s_barrier
	buffer_gl0_inv
	v_cmpx_gt_u32_e32 32, v0
	s_cbranch_execz .LBB96_19
; %bb.18:
	ds_load_2addr_b32 v[2:3], v1 offset1:32
	s_waitcnt lgkmcnt(0)
	v_add_nc_u32_e32 v2, v3, v2
	ds_store_b32 v1, v2
.LBB96_19:
	s_or_b32 exec_lo, exec_lo, s0
	s_delay_alu instid0(SALU_CYCLE_1)
	s_mov_b32 s0, exec_lo
	s_waitcnt lgkmcnt(0)
	s_barrier
	buffer_gl0_inv
	v_cmpx_gt_u32_e32 16, v0
	s_cbranch_execz .LBB96_21
; %bb.20:
	ds_load_2addr_b32 v[2:3], v1 offset1:16
	s_waitcnt lgkmcnt(0)
	v_add_nc_u32_e32 v2, v3, v2
	ds_store_b32 v1, v2
.LBB96_21:
	s_or_b32 exec_lo, exec_lo, s0
	s_delay_alu instid0(SALU_CYCLE_1)
	s_mov_b32 s0, exec_lo
	s_waitcnt lgkmcnt(0)
	s_barrier
	buffer_gl0_inv
	v_cmpx_gt_u32_e32 8, v0
	s_cbranch_execz .LBB96_23
; %bb.22:
	ds_load_2addr_b32 v[2:3], v1 offset1:8
	s_waitcnt lgkmcnt(0)
	v_add_nc_u32_e32 v2, v3, v2
	ds_store_b32 v1, v2
.LBB96_23:
	s_or_b32 exec_lo, exec_lo, s0
	s_delay_alu instid0(SALU_CYCLE_1)
	s_mov_b32 s0, exec_lo
	s_waitcnt lgkmcnt(0)
	s_barrier
	buffer_gl0_inv
	v_cmpx_gt_u32_e32 4, v0
	s_cbranch_execz .LBB96_25
; %bb.24:
	ds_load_2addr_b32 v[2:3], v1 offset1:4
	s_waitcnt lgkmcnt(0)
	v_add_nc_u32_e32 v2, v3, v2
	ds_store_b32 v1, v2
.LBB96_25:
	s_or_b32 exec_lo, exec_lo, s0
	s_delay_alu instid0(SALU_CYCLE_1)
	s_mov_b32 s0, exec_lo
	s_waitcnt lgkmcnt(0)
	s_barrier
	buffer_gl0_inv
	v_cmpx_gt_u32_e32 2, v0
	s_cbranch_execz .LBB96_27
; %bb.26:
	ds_load_2addr_b32 v[2:3], v1 offset1:2
	s_waitcnt lgkmcnt(0)
	v_add_nc_u32_e32 v2, v3, v2
	ds_store_b32 v1, v2
.LBB96_27:
	s_or_b32 exec_lo, exec_lo, s0
	v_cmp_eq_u32_e32 vcc_lo, 0, v0
	s_waitcnt lgkmcnt(0)
	s_barrier
	buffer_gl0_inv
	s_and_saveexec_b32 s0, vcc_lo
	s_cbranch_execz .LBB96_29
; %bb.28:
	v_mov_b32_e32 v2, 0
	ds_load_b64 v[0:1], v2
	s_waitcnt lgkmcnt(0)
	v_add_nc_u32_e32 v0, v1, v0
	ds_store_b32 v2, v0
.LBB96_29:
	s_or_b32 exec_lo, exec_lo, s0
	s_waitcnt lgkmcnt(0)
	s_barrier
	buffer_gl0_inv
	s_and_saveexec_b32 s0, vcc_lo
	s_cbranch_execz .LBB96_33
; %bb.30:
	v_mov_b32_e32 v0, 0
	s_cmp_eq_u32 s11, 0
	ds_load_b32 v1, v0
	s_cbranch_scc1 .LBB96_32
; %bb.31:
	s_lshl_b64 s[0:1], s[2:3], 2
	s_delay_alu instid0(SALU_CYCLE_1) | instskip(SKIP_4) | instid1(SALU_CYCLE_1)
	s_add_u32 s0, s8, s0
	s_addc_u32 s1, s9, s1
	s_load_b32 s0, s[0:1], 0x0
	s_waitcnt lgkmcnt(0)
	s_mul_i32 s0, s0, s11
	v_add_nc_u32_e32 v1, s0, v1
.LBB96_32:
	s_lshl_b64 s[0:1], s[2:3], 2
	s_delay_alu instid0(SALU_CYCLE_1)
	s_add_u32 s0, s8, s0
	s_addc_u32 s1, s9, s1
	s_waitcnt lgkmcnt(0)
	global_store_b32 v0, v1, s[0:1]
.LBB96_33:
	s_nop 0
	s_sendmsg sendmsg(MSG_DEALLOC_VGPRS)
	s_endpgm
	.section	.rodata,"a",@progbits
	.p2align	6, 0x0
	.amdhsa_kernel _ZN9rocsparseL29csrmvn_lrb_medium_rows_kernelILj256EllaaiiEEvbT0_PT1_S3_jNS_24const_host_device_scalarIT5_EEPKS1_PKS2_PKT2_PKT3_S6_PT4_21rocsparse_index_base_b
		.amdhsa_group_segment_fixed_size 1024
		.amdhsa_private_segment_fixed_size 0
		.amdhsa_kernarg_size 104
		.amdhsa_user_sgpr_count 15
		.amdhsa_user_sgpr_dispatch_ptr 0
		.amdhsa_user_sgpr_queue_ptr 0
		.amdhsa_user_sgpr_kernarg_segment_ptr 1
		.amdhsa_user_sgpr_dispatch_id 0
		.amdhsa_user_sgpr_private_segment_size 0
		.amdhsa_wavefront_size32 1
		.amdhsa_uses_dynamic_stack 0
		.amdhsa_enable_private_segment 0
		.amdhsa_system_sgpr_workgroup_id_x 1
		.amdhsa_system_sgpr_workgroup_id_y 0
		.amdhsa_system_sgpr_workgroup_id_z 0
		.amdhsa_system_sgpr_workgroup_info 0
		.amdhsa_system_vgpr_workitem_id 0
		.amdhsa_next_free_vgpr 10
		.amdhsa_next_free_sgpr 18
		.amdhsa_reserve_vcc 1
		.amdhsa_float_round_mode_32 0
		.amdhsa_float_round_mode_16_64 0
		.amdhsa_float_denorm_mode_32 3
		.amdhsa_float_denorm_mode_16_64 3
		.amdhsa_dx10_clamp 1
		.amdhsa_ieee_mode 1
		.amdhsa_fp16_overflow 0
		.amdhsa_workgroup_processor_mode 1
		.amdhsa_memory_ordered 1
		.amdhsa_forward_progress 0
		.amdhsa_shared_vgpr_count 0
		.amdhsa_exception_fp_ieee_invalid_op 0
		.amdhsa_exception_fp_denorm_src 0
		.amdhsa_exception_fp_ieee_div_zero 0
		.amdhsa_exception_fp_ieee_overflow 0
		.amdhsa_exception_fp_ieee_underflow 0
		.amdhsa_exception_fp_ieee_inexact 0
		.amdhsa_exception_int_div_zero 0
	.end_amdhsa_kernel
	.section	.text._ZN9rocsparseL29csrmvn_lrb_medium_rows_kernelILj256EllaaiiEEvbT0_PT1_S3_jNS_24const_host_device_scalarIT5_EEPKS1_PKS2_PKT2_PKT3_S6_PT4_21rocsparse_index_base_b,"axG",@progbits,_ZN9rocsparseL29csrmvn_lrb_medium_rows_kernelILj256EllaaiiEEvbT0_PT1_S3_jNS_24const_host_device_scalarIT5_EEPKS1_PKS2_PKT2_PKT3_S6_PT4_21rocsparse_index_base_b,comdat
.Lfunc_end96:
	.size	_ZN9rocsparseL29csrmvn_lrb_medium_rows_kernelILj256EllaaiiEEvbT0_PT1_S3_jNS_24const_host_device_scalarIT5_EEPKS1_PKS2_PKT2_PKT3_S6_PT4_21rocsparse_index_base_b, .Lfunc_end96-_ZN9rocsparseL29csrmvn_lrb_medium_rows_kernelILj256EllaaiiEEvbT0_PT1_S3_jNS_24const_host_device_scalarIT5_EEPKS1_PKS2_PKT2_PKT3_S6_PT4_21rocsparse_index_base_b
                                        ; -- End function
	.section	.AMDGPU.csdata,"",@progbits
; Kernel info:
; codeLenInByte = 1228
; NumSgprs: 20
; NumVgprs: 10
; ScratchSize: 0
; MemoryBound: 0
; FloatMode: 240
; IeeeMode: 1
; LDSByteSize: 1024 bytes/workgroup (compile time only)
; SGPRBlocks: 2
; VGPRBlocks: 1
; NumSGPRsForWavesPerEU: 20
; NumVGPRsForWavesPerEU: 10
; Occupancy: 16
; WaveLimiterHint : 1
; COMPUTE_PGM_RSRC2:SCRATCH_EN: 0
; COMPUTE_PGM_RSRC2:USER_SGPR: 15
; COMPUTE_PGM_RSRC2:TRAP_HANDLER: 0
; COMPUTE_PGM_RSRC2:TGID_X_EN: 1
; COMPUTE_PGM_RSRC2:TGID_Y_EN: 0
; COMPUTE_PGM_RSRC2:TGID_Z_EN: 0
; COMPUTE_PGM_RSRC2:TIDIG_COMP_CNT: 0
	.section	.text._ZN9rocsparseL27csrmvn_lrb_long_rows_kernelIllaaiiEEvbT_PjPT0_S4_jNS_24const_host_device_scalarIT4_EEPKS1_PKS3_PKT1_PKT2_S7_PT3_21rocsparse_index_base_b,"axG",@progbits,_ZN9rocsparseL27csrmvn_lrb_long_rows_kernelIllaaiiEEvbT_PjPT0_S4_jNS_24const_host_device_scalarIT4_EEPKS1_PKS3_PKT1_PKT2_S7_PT3_21rocsparse_index_base_b,comdat
	.globl	_ZN9rocsparseL27csrmvn_lrb_long_rows_kernelIllaaiiEEvbT_PjPT0_S4_jNS_24const_host_device_scalarIT4_EEPKS1_PKS3_PKT1_PKT2_S7_PT3_21rocsparse_index_base_b ; -- Begin function _ZN9rocsparseL27csrmvn_lrb_long_rows_kernelIllaaiiEEvbT_PjPT0_S4_jNS_24const_host_device_scalarIT4_EEPKS1_PKS3_PKT1_PKT2_S7_PT3_21rocsparse_index_base_b
	.p2align	8
	.type	_ZN9rocsparseL27csrmvn_lrb_long_rows_kernelIllaaiiEEvbT_PjPT0_S4_jNS_24const_host_device_scalarIT4_EEPKS1_PKS3_PKT1_PKT2_S7_PT3_21rocsparse_index_base_b,@function
_ZN9rocsparseL27csrmvn_lrb_long_rows_kernelIllaaiiEEvbT_PjPT0_S4_jNS_24const_host_device_scalarIT4_EEPKS1_PKS3_PKT1_PKT2_S7_PT3_21rocsparse_index_base_b: ; @_ZN9rocsparseL27csrmvn_lrb_long_rows_kernelIllaaiiEEvbT_PjPT0_S4_jNS_24const_host_device_scalarIT4_EEPKS1_PKS3_PKT1_PKT2_S7_PT3_21rocsparse_index_base_b
; %bb.0:
	s_clause 0x1
	s_load_b64 s[16:17], s[0:1], 0x68
	s_load_b64 s[4:5], s[0:1], 0x30
	s_mov_b32 s8, s15
	s_mov_b32 s7, -1
                                        ; implicit-def: $sgpr23
	s_waitcnt lgkmcnt(0)
	s_bitcmp1_b32 s17, 0
	s_cselect_b32 s2, -1, 0
	s_delay_alu instid0(SALU_CYCLE_1) | instskip(NEXT) | instid1(SALU_CYCLE_1)
	s_xor_b32 s6, s2, -1
	s_and_b32 vcc_lo, exec_lo, s6
	s_cbranch_vccnz .LBB97_4
; %bb.1:
	s_load_b64 s[2:3], s[0:1], 0x58
	s_and_not1_b32 vcc_lo, exec_lo, s7
	s_cbranch_vccz .LBB97_5
.LBB97_2:
	s_and_b32 vcc_lo, exec_lo, s6
	s_cbranch_vccz .LBB97_6
.LBB97_3:
	s_waitcnt lgkmcnt(0)
	s_load_b32 s18, s[2:3], 0x0
	s_cbranch_execz .LBB97_7
	s_branch .LBB97_8
.LBB97_4:
	s_load_b32 s23, s[4:5], 0x0
	s_load_b64 s[2:3], s[0:1], 0x58
	s_cbranch_execnz .LBB97_2
.LBB97_5:
	s_waitcnt lgkmcnt(0)
	s_mov_b32 s23, s4
	s_and_b32 vcc_lo, exec_lo, s6
	s_cbranch_vccnz .LBB97_3
.LBB97_6:
	s_waitcnt lgkmcnt(0)
                                        ; implicit-def: $sgpr18
.LBB97_7:
	s_waitcnt lgkmcnt(0)
	s_mov_b32 s18, s2
.LBB97_8:
	s_cmp_lg_u32 s23, 0
	s_cselect_b32 s2, -1, 0
	s_waitcnt lgkmcnt(0)
	s_cmp_lg_u32 s18, 1
	s_cselect_b32 s3, -1, 0
	s_delay_alu instid0(SALU_CYCLE_1)
	s_or_b32 s2, s2, s3
	s_mov_b32 s3, 0
	s_and_not1_b32 vcc_lo, exec_lo, s2
	s_cbranch_vccnz .LBB97_42
; %bb.9:
	s_clause 0x1
	s_load_b32 s2, s[0:1], 0x28
	s_load_b64 s[4:5], s[0:1], 0x20
	s_waitcnt lgkmcnt(0)
	s_lshl_b64 s[6:7], s[2:3], 3
	s_delay_alu instid0(SALU_CYCLE_1) | instskip(SKIP_4) | instid1(SALU_CYCLE_1)
	s_add_u32 s4, s4, s6
	s_addc_u32 s5, s5, s7
	s_lshl_b32 s2, -1, s2
	s_load_b64 s[10:11], s[4:5], 0x0
	s_not_b32 s2, s2
	s_mul_hi_u32 s2, s2, 0x2aaaaaab
	s_delay_alu instid0(SALU_CYCLE_1) | instskip(NEXT) | instid1(SALU_CYCLE_1)
	s_lshr_b32 s2, s2, 7
	s_add_i32 s9, s2, 1
	s_not_b32 s2, s2
	v_cvt_f32_u32_e32 v1, s9
	s_delay_alu instid0(VALU_DEP_1) | instskip(SKIP_2) | instid1(VALU_DEP_1)
	v_rcp_iflag_f32_e32 v1, v1
	s_waitcnt_depctr 0xfff
	v_mul_f32_e32 v1, 0x4f7ffffe, v1
	v_cvt_u32_f32_e32 v1, v1
	s_delay_alu instid0(VALU_DEP_1) | instskip(NEXT) | instid1(VALU_DEP_1)
	v_readfirstlane_b32 s6, v1
	s_mul_i32 s2, s2, s6
	s_delay_alu instid0(SALU_CYCLE_1) | instskip(NEXT) | instid1(SALU_CYCLE_1)
	s_mul_hi_u32 s2, s6, s2
	s_add_i32 s2, s6, s2
	s_load_b128 s[4:7], s[0:1], 0x10
	s_mul_hi_u32 s2, s8, s2
	s_delay_alu instid0(SALU_CYCLE_1) | instskip(SKIP_2) | instid1(SALU_CYCLE_1)
	s_mul_i32 s12, s2, s9
	s_add_i32 s13, s2, 1
	s_sub_i32 s12, s8, s12
	s_sub_i32 s14, s12, s9
	s_cmp_ge_u32 s12, s9
	s_cselect_b32 s2, s13, s2
	s_cselect_b32 s12, s14, s12
	s_add_i32 s13, s2, 1
	s_cmp_ge_u32 s12, s9
	s_cselect_b32 s2, s13, s2
	s_waitcnt lgkmcnt(0)
	s_lshl_b64 s[10:11], s[10:11], 3
	s_mul_i32 s9, s2, s9
	s_delay_alu instid0(SALU_CYCLE_1)
	s_sub_i32 s22, s8, s9
	s_add_u32 s6, s6, s10
	s_addc_u32 s7, s7, s11
	s_lshl_b64 s[2:3], s[2:3], 3
	v_or_b32_e32 v1, s22, v0
	s_add_u32 s2, s6, s2
	s_addc_u32 s3, s7, s3
	s_load_b64 s[2:3], s[2:3], 0x0
	s_load_b64 s[6:7], s[0:1], 0x38
	v_cmp_eq_u32_e32 vcc_lo, 0, v1
	v_mov_b32_e32 v1, 0
	s_waitcnt lgkmcnt(0)
	s_lshl_b64 s[10:11], s[2:3], 3
	s_delay_alu instid0(SALU_CYCLE_1)
	s_add_u32 s10, s6, s10
	s_addc_u32 s11, s7, s11
	s_ashr_i32 s9, s8, 31
	s_sub_u32 s14, s8, s22
	s_subb_u32 s15, s9, 0
	s_lshl_b64 s[8:9], s[8:9], 2
	s_load_b64 s[6:7], s[0:1], 0x60
	s_add_u32 s12, s4, s8
	s_addc_u32 s13, s5, s9
	s_load_b128 s[8:11], s[10:11], 0x0
	s_load_b32 s17, s[12:13], 0x0
	s_and_saveexec_b32 s19, vcc_lo
	s_cbranch_execz .LBB97_13
; %bb.10:
	s_lshl_b64 s[24:25], s[2:3], 2
	s_mov_b32 s20, exec_lo
	s_waitcnt lgkmcnt(0)
	s_add_u32 s24, s6, s24
	s_addc_u32 s25, s7, s25
	v_mbcnt_lo_u32_b32 v1, s20, 0
	s_load_b32 s21, s[24:25], 0x0
	s_add_i32 s18, s18, -1
	s_waitcnt vmcnt(0) expcnt(0) lgkmcnt(0)
	s_mul_i32 s18, s21, s18
	s_mov_b32 s21, exec_lo
	v_cmpx_eq_u32_e32 0, v1
	s_cbranch_execz .LBB97_12
; %bb.11:
	s_lshl_b64 s[24:25], s[14:15], 2
	s_delay_alu instid0(SALU_CYCLE_1) | instskip(SKIP_2) | instid1(SALU_CYCLE_1)
	s_add_u32 s24, s4, s24
	s_addc_u32 s25, s5, s25
	s_bcnt1_i32_b32 s20, s20
	s_and_b32 s20, s20, 1
	s_delay_alu instid0(SALU_CYCLE_1)
	v_dual_mov_b32 v1, 0 :: v_dual_mov_b32 v2, s20
	global_atomic_xor_b32 v1, v2, s[24:25]
.LBB97_12:
	s_or_b32 exec_lo, exec_lo, s21
	v_mov_b32_e32 v1, s18
.LBB97_13:
	s_or_b32 exec_lo, exec_lo, s19
	s_mul_i32 s19, s22, 0x300
	s_waitcnt lgkmcnt(0)
	s_sub_u32 s8, s8, s16
	s_mul_hi_u32 s18, s22, 0x300
	s_subb_u32 s9, s9, 0
	s_add_u32 s19, s8, s19
	s_addc_u32 s18, s9, s18
	s_sub_u32 s8, s10, s16
	s_subb_u32 s9, s11, 0
	s_add_u32 s10, s19, 0x300
	s_addc_u32 s11, s18, 0
	v_add_co_u32 v2, s19, s19, v0
	v_cmp_lt_i64_e64 s20, s[10:11], s[8:9]
	v_add_co_ci_u32_e64 v3, null, s18, 0, s19
	s_mov_b32 s25, 0
	s_mov_b32 s24, exec_lo
	s_delay_alu instid0(VALU_DEP_2) | instskip(SKIP_2) | instid1(SALU_CYCLE_1)
	s_and_b32 s18, s20, exec_lo
	s_cselect_b32 s19, s11, s9
	s_cselect_b32 s18, s10, s8
	v_cmpx_gt_i64_e64 s[18:19], v[2:3]
	s_cbranch_execz .LBB97_17
; %bb.14:
	s_clause 0x1
	s_load_b128 s[8:11], s[0:1], 0x40
	s_load_b64 s[20:21], s[0:1], 0x50
	v_lshlrev_b64 v[4:5], 3, v[2:3]
	s_waitcnt lgkmcnt(0)
	s_delay_alu instid0(VALU_DEP_1) | instskip(NEXT) | instid1(VALU_DEP_2)
	v_add_co_u32 v4, vcc_lo, s8, v4
	v_add_co_ci_u32_e32 v5, vcc_lo, s9, v5, vcc_lo
	s_set_inst_prefetch_distance 0x1
	.p2align	6
.LBB97_15:                              ; =>This Inner Loop Header: Depth=1
	global_load_b64 v[6:7], v[4:5], off
	v_add_co_u32 v8, vcc_lo, s10, v2
	v_add_co_ci_u32_e32 v9, vcc_lo, s11, v3, vcc_lo
	v_add_co_u32 v4, s0, 0x800, v4
	s_delay_alu instid0(VALU_DEP_1) | instskip(SKIP_4) | instid1(VALU_DEP_2)
	v_add_co_ci_u32_e64 v5, s0, 0, v5, s0
	global_load_i8 v8, v[8:9], off
	s_waitcnt vmcnt(1)
	v_sub_co_u32 v6, vcc_lo, v6, s16
	v_subrev_co_ci_u32_e32 v7, vcc_lo, 0, v7, vcc_lo
	v_add_co_u32 v6, vcc_lo, s20, v6
	s_delay_alu instid0(VALU_DEP_2)
	v_add_co_ci_u32_e32 v7, vcc_lo, s21, v7, vcc_lo
	s_waitcnt vmcnt(0)
	v_mul_lo_u32 v8, s23, v8
	v_add_co_u32 v2, vcc_lo, 0x100, v2
	global_load_i8 v9, v[6:7], off
	v_add_co_ci_u32_e32 v3, vcc_lo, 0, v3, vcc_lo
	s_delay_alu instid0(VALU_DEP_1) | instskip(SKIP_3) | instid1(VALU_DEP_1)
	v_cmp_le_i64_e32 vcc_lo, s[18:19], v[2:3]
	s_or_b32 s25, vcc_lo, s25
	s_waitcnt vmcnt(0)
	v_mad_u64_u32 v[6:7], null, v8, v9, v[1:2]
	v_mov_b32_e32 v1, v6
	s_and_not1_b32 exec_lo, exec_lo, s25
	s_cbranch_execnz .LBB97_15
; %bb.16:
	s_set_inst_prefetch_distance 0x2
	s_or_b32 exec_lo, exec_lo, s25
.LBB97_17:
	s_delay_alu instid0(SALU_CYCLE_1)
	s_or_b32 exec_lo, exec_lo, s24
	v_lshlrev_b32_e32 v2, 2, v0
	s_mov_b32 s0, exec_lo
	ds_store_b32 v2, v1
	s_waitcnt lgkmcnt(0)
	s_waitcnt_vscnt null, 0x0
	s_barrier
	buffer_gl0_inv
	v_cmpx_gt_u32_e32 0x80, v0
	s_cbranch_execz .LBB97_19
; %bb.18:
	ds_load_2addr_stride64_b32 v[3:4], v2 offset1:2
	s_waitcnt lgkmcnt(0)
	v_add_nc_u32_e32 v1, v4, v3
	ds_store_b32 v2, v1
.LBB97_19:
	s_or_b32 exec_lo, exec_lo, s0
	s_delay_alu instid0(SALU_CYCLE_1)
	s_mov_b32 s0, exec_lo
	s_waitcnt lgkmcnt(0)
	s_barrier
	buffer_gl0_inv
	v_cmpx_gt_u32_e32 64, v0
	s_cbranch_execz .LBB97_21
; %bb.20:
	ds_load_2addr_stride64_b32 v[3:4], v2 offset1:1
	s_waitcnt lgkmcnt(0)
	v_add_nc_u32_e32 v1, v4, v3
	ds_store_b32 v2, v1
.LBB97_21:
	s_or_b32 exec_lo, exec_lo, s0
	s_delay_alu instid0(SALU_CYCLE_1)
	s_mov_b32 s0, exec_lo
	s_waitcnt lgkmcnt(0)
	s_barrier
	buffer_gl0_inv
	v_cmpx_gt_u32_e32 32, v0
	s_cbranch_execz .LBB97_23
; %bb.22:
	ds_load_2addr_b32 v[3:4], v2 offset1:32
	s_waitcnt lgkmcnt(0)
	v_add_nc_u32_e32 v1, v4, v3
	ds_store_b32 v2, v1
.LBB97_23:
	s_or_b32 exec_lo, exec_lo, s0
	s_delay_alu instid0(SALU_CYCLE_1)
	s_mov_b32 s0, exec_lo
	s_waitcnt lgkmcnt(0)
	s_barrier
	buffer_gl0_inv
	v_cmpx_gt_u32_e32 16, v0
	s_cbranch_execz .LBB97_25
; %bb.24:
	ds_load_2addr_b32 v[3:4], v2 offset1:16
	s_waitcnt lgkmcnt(0)
	v_add_nc_u32_e32 v1, v4, v3
	ds_store_b32 v2, v1
.LBB97_25:
	;; [unrolled: 14-line block ×5, first 2 shown]
	s_or_b32 exec_lo, exec_lo, s0
	v_cmp_eq_u32_e32 vcc_lo, 0, v0
	s_waitcnt lgkmcnt(0)
	s_barrier
	buffer_gl0_inv
	s_and_saveexec_b32 s0, vcc_lo
	s_cbranch_execz .LBB97_33
; %bb.32:
	v_mov_b32_e32 v2, 0
	ds_load_b64 v[0:1], v2
	s_waitcnt lgkmcnt(0)
	v_add_nc_u32_e32 v0, v1, v0
	ds_store_b32 v2, v0
.LBB97_33:
	s_or_b32 exec_lo, exec_lo, s0
	s_waitcnt lgkmcnt(0)
	s_barrier
	buffer_gl0_inv
	s_and_saveexec_b32 s0, vcc_lo
	s_cbranch_execz .LBB97_42
; %bb.34:
	s_cmp_eq_u32 s22, 0
	s_cbranch_scc1 .LBB97_40
; %bb.35:
	s_lshl_b64 s[0:1], s[14:15], 2
	v_mov_b32_e32 v0, 0
	s_add_u32 s0, s4, s0
	s_addc_u32 s1, s5, s1
	s_branch .LBB97_37
.LBB97_36:                              ;   in Loop: Header=BB97_37 Depth=1
	s_or_b32 exec_lo, exec_lo, s4
	s_waitcnt vmcnt(0)
	v_readfirstlane_b32 s4, v1
	s_delay_alu instid0(VALU_DEP_1)
	s_cmp_eq_u32 s4, s17
	s_cbranch_scc0 .LBB97_39
.LBB97_37:                              ; =>This Inner Loop Header: Depth=1
	v_mbcnt_lo_u32_b32 v1, exec_lo, 0
	s_delay_alu instid0(VALU_DEP_1)
	v_cmp_eq_u32_e32 vcc_lo, 0, v1
                                        ; implicit-def: $vgpr1
	s_and_saveexec_b32 s4, vcc_lo
	s_cbranch_execz .LBB97_36
; %bb.38:                               ;   in Loop: Header=BB97_37 Depth=1
	global_load_b32 v1, v0, s[0:1] glc
	s_branch .LBB97_36
.LBB97_39:
	v_mov_b32_e32 v0, 0
	global_load_b32 v1, v0, s[12:13]
	s_waitcnt vmcnt(0)
	v_xor_b32_e32 v1, 1, v1
	global_store_b32 v0, v1, s[12:13]
.LBB97_40:
	s_mov_b32 s0, exec_lo
	s_delay_alu instid0(SALU_CYCLE_1) | instskip(NEXT) | instid1(VALU_DEP_1)
	v_mbcnt_lo_u32_b32 v0, s0, 0
	v_cmp_eq_u32_e32 vcc_lo, 0, v0
	s_and_b32 s1, exec_lo, vcc_lo
	s_delay_alu instid0(SALU_CYCLE_1)
	s_mov_b32 exec_lo, s1
	s_cbranch_execz .LBB97_42
; %bb.41:
	v_mov_b32_e32 v0, 0
	s_lshl_b64 s[2:3], s[2:3], 2
	s_delay_alu instid0(SALU_CYCLE_1)
	s_add_u32 s2, s6, s2
	s_addc_u32 s3, s7, s3
	ds_load_b32 v1, v0
	s_bcnt1_i32_b32 s0, s0
	s_waitcnt lgkmcnt(0)
	v_mul_lo_u32 v1, v1, s0
	global_atomic_add_u32 v0, v1, s[2:3]
.LBB97_42:
	s_nop 0
	s_sendmsg sendmsg(MSG_DEALLOC_VGPRS)
	s_endpgm
	.section	.rodata,"a",@progbits
	.p2align	6, 0x0
	.amdhsa_kernel _ZN9rocsparseL27csrmvn_lrb_long_rows_kernelIllaaiiEEvbT_PjPT0_S4_jNS_24const_host_device_scalarIT4_EEPKS1_PKS3_PKT1_PKT2_S7_PT3_21rocsparse_index_base_b
		.amdhsa_group_segment_fixed_size 1024
		.amdhsa_private_segment_fixed_size 0
		.amdhsa_kernarg_size 112
		.amdhsa_user_sgpr_count 15
		.amdhsa_user_sgpr_dispatch_ptr 0
		.amdhsa_user_sgpr_queue_ptr 0
		.amdhsa_user_sgpr_kernarg_segment_ptr 1
		.amdhsa_user_sgpr_dispatch_id 0
		.amdhsa_user_sgpr_private_segment_size 0
		.amdhsa_wavefront_size32 1
		.amdhsa_uses_dynamic_stack 0
		.amdhsa_enable_private_segment 0
		.amdhsa_system_sgpr_workgroup_id_x 1
		.amdhsa_system_sgpr_workgroup_id_y 0
		.amdhsa_system_sgpr_workgroup_id_z 0
		.amdhsa_system_sgpr_workgroup_info 0
		.amdhsa_system_vgpr_workitem_id 0
		.amdhsa_next_free_vgpr 10
		.amdhsa_next_free_sgpr 26
		.amdhsa_reserve_vcc 1
		.amdhsa_float_round_mode_32 0
		.amdhsa_float_round_mode_16_64 0
		.amdhsa_float_denorm_mode_32 3
		.amdhsa_float_denorm_mode_16_64 3
		.amdhsa_dx10_clamp 1
		.amdhsa_ieee_mode 1
		.amdhsa_fp16_overflow 0
		.amdhsa_workgroup_processor_mode 1
		.amdhsa_memory_ordered 1
		.amdhsa_forward_progress 0
		.amdhsa_shared_vgpr_count 0
		.amdhsa_exception_fp_ieee_invalid_op 0
		.amdhsa_exception_fp_denorm_src 0
		.amdhsa_exception_fp_ieee_div_zero 0
		.amdhsa_exception_fp_ieee_overflow 0
		.amdhsa_exception_fp_ieee_underflow 0
		.amdhsa_exception_fp_ieee_inexact 0
		.amdhsa_exception_int_div_zero 0
	.end_amdhsa_kernel
	.section	.text._ZN9rocsparseL27csrmvn_lrb_long_rows_kernelIllaaiiEEvbT_PjPT0_S4_jNS_24const_host_device_scalarIT4_EEPKS1_PKS3_PKT1_PKT2_S7_PT3_21rocsparse_index_base_b,"axG",@progbits,_ZN9rocsparseL27csrmvn_lrb_long_rows_kernelIllaaiiEEvbT_PjPT0_S4_jNS_24const_host_device_scalarIT4_EEPKS1_PKS3_PKT1_PKT2_S7_PT3_21rocsparse_index_base_b,comdat
.Lfunc_end97:
	.size	_ZN9rocsparseL27csrmvn_lrb_long_rows_kernelIllaaiiEEvbT_PjPT0_S4_jNS_24const_host_device_scalarIT4_EEPKS1_PKS3_PKT1_PKT2_S7_PT3_21rocsparse_index_base_b, .Lfunc_end97-_ZN9rocsparseL27csrmvn_lrb_long_rows_kernelIllaaiiEEvbT_PjPT0_S4_jNS_24const_host_device_scalarIT4_EEPKS1_PKS3_PKT1_PKT2_S7_PT3_21rocsparse_index_base_b
                                        ; -- End function
	.section	.AMDGPU.csdata,"",@progbits
; Kernel info:
; codeLenInByte = 1712
; NumSgprs: 28
; NumVgprs: 10
; ScratchSize: 0
; MemoryBound: 0
; FloatMode: 240
; IeeeMode: 1
; LDSByteSize: 1024 bytes/workgroup (compile time only)
; SGPRBlocks: 3
; VGPRBlocks: 1
; NumSGPRsForWavesPerEU: 28
; NumVGPRsForWavesPerEU: 10
; Occupancy: 16
; WaveLimiterHint : 1
; COMPUTE_PGM_RSRC2:SCRATCH_EN: 0
; COMPUTE_PGM_RSRC2:USER_SGPR: 15
; COMPUTE_PGM_RSRC2:TRAP_HANDLER: 0
; COMPUTE_PGM_RSRC2:TGID_X_EN: 1
; COMPUTE_PGM_RSRC2:TGID_Y_EN: 0
; COMPUTE_PGM_RSRC2:TGID_Z_EN: 0
; COMPUTE_PGM_RSRC2:TIDIG_COMP_CNT: 0
	.section	.text._ZN9rocsparseL28csrmvn_lrb_short_rows_kernelIiiaaffEEvbT_PT0_S3_jNS_24const_host_device_scalarIT4_EEPKS1_PKS2_PKT1_PKT2_S6_PT3_21rocsparse_index_base_b,"axG",@progbits,_ZN9rocsparseL28csrmvn_lrb_short_rows_kernelIiiaaffEEvbT_PT0_S3_jNS_24const_host_device_scalarIT4_EEPKS1_PKS2_PKT1_PKT2_S6_PT3_21rocsparse_index_base_b,comdat
	.globl	_ZN9rocsparseL28csrmvn_lrb_short_rows_kernelIiiaaffEEvbT_PT0_S3_jNS_24const_host_device_scalarIT4_EEPKS1_PKS2_PKT1_PKT2_S6_PT3_21rocsparse_index_base_b ; -- Begin function _ZN9rocsparseL28csrmvn_lrb_short_rows_kernelIiiaaffEEvbT_PT0_S3_jNS_24const_host_device_scalarIT4_EEPKS1_PKS2_PKT1_PKT2_S6_PT3_21rocsparse_index_base_b
	.p2align	8
	.type	_ZN9rocsparseL28csrmvn_lrb_short_rows_kernelIiiaaffEEvbT_PT0_S3_jNS_24const_host_device_scalarIT4_EEPKS1_PKS2_PKT1_PKT2_S6_PT3_21rocsparse_index_base_b,@function
_ZN9rocsparseL28csrmvn_lrb_short_rows_kernelIiiaaffEEvbT_PT0_S3_jNS_24const_host_device_scalarIT4_EEPKS1_PKS2_PKT1_PKT2_S6_PT3_21rocsparse_index_base_b: ; @_ZN9rocsparseL28csrmvn_lrb_short_rows_kernelIiiaaffEEvbT_PT0_S3_jNS_24const_host_device_scalarIT4_EEPKS1_PKS2_PKT1_PKT2_S6_PT3_21rocsparse_index_base_b
; %bb.0:
	s_clause 0x2
	s_load_b64 s[20:21], s[0:1], 0x58
	s_load_b64 s[22:23], s[0:1], 0x20
	s_load_b64 s[2:3], s[0:1], 0x48
	s_waitcnt lgkmcnt(0)
	s_bitcmp1_b32 s21, 0
	s_cselect_b32 s4, -1, 0
	s_delay_alu instid0(SALU_CYCLE_1)
	s_and_b32 vcc_lo, exec_lo, s4
	s_xor_b32 s4, s4, -1
	s_cbranch_vccnz .LBB98_2
; %bb.1:
	s_load_b32 s22, s[22:23], 0x0
.LBB98_2:
	s_and_not1_b32 vcc_lo, exec_lo, s4
	s_cbranch_vccnz .LBB98_4
; %bb.3:
	s_load_b32 s2, s[2:3], 0x0
.LBB98_4:
	s_waitcnt lgkmcnt(0)
	v_cmp_neq_f32_e64 s3, s22, 0
	v_cmp_neq_f32_e64 s4, s2, 1.0
	s_mov_b32 s13, 0
	s_delay_alu instid0(VALU_DEP_1) | instskip(NEXT) | instid1(SALU_CYCLE_1)
	s_or_b32 s3, s3, s4
	s_and_not1_b32 vcc_lo, exec_lo, s3
	s_cbranch_vccnz .LBB98_18
; %bb.5:
	s_clause 0x1
	s_load_b32 s12, s[0:1], 0x18
	s_load_b128 s[16:19], s[0:1], 0x8
	s_mov_b32 s7, s13
	s_waitcnt lgkmcnt(0)
	s_lshl_b64 s[4:5], s[12:13], 2
	s_delay_alu instid0(SALU_CYCLE_1) | instskip(SKIP_2) | instid1(SALU_CYCLE_1)
	s_add_u32 s4, s18, s4
	s_addc_u32 s5, s19, s5
	s_add_i32 s6, s12, 1
	s_lshl_b64 s[6:7], s[6:7], 2
	s_delay_alu instid0(SALU_CYCLE_1)
	s_add_u32 s6, s18, s6
	s_addc_u32 s7, s19, s7
	s_clause 0x1
	s_load_b32 s3, s[4:5], 0x0
	s_load_b32 s4, s[6:7], 0x0
	s_lshl_b32 s13, s15, 8
	s_delay_alu instid0(SALU_CYCLE_1) | instskip(SKIP_2) | instid1(SALU_CYCLE_1)
	s_add_i32 s5, s13, 0x100
	s_waitcnt lgkmcnt(0)
	s_sub_i32 s4, s4, s3
	s_min_u32 s14, s4, s5
	s_cmp_gt_u32 s12, 23
	s_cbranch_scc1 .LBB98_12
; %bb.6:
	s_load_b256 s[4:11], s[0:1], 0x28
	v_bfe_u32 v5, v0, 0, s12
	v_lshl_add_u32 v7, v0, 2, 0
	v_mov_b32_e32 v2, 0
	s_lshl_b32 s15, 0x100, s12
	s_mov_b32 s18, 0
	v_subrev_nc_u32_e32 v6, s20, v5
	s_branch .LBB98_9
.LBB98_7:                               ;   in Loop: Header=BB98_9 Depth=1
	s_or_b32 exec_lo, exec_lo, s21
	ds_store_b32 v7, v1
.LBB98_8:                               ;   in Loop: Header=BB98_9 Depth=1
	s_or_b32 exec_lo, exec_lo, s19
	v_add_nc_u32_e32 v7, 0x400, v7
	s_addk_i32 s18, 0x100
	s_delay_alu instid0(SALU_CYCLE_1)
	s_cmp_ge_u32 s18, s15
	s_cbranch_scc1 .LBB98_12
.LBB98_9:                               ; =>This Inner Loop Header: Depth=1
	v_add_nc_u32_e32 v1, s18, v0
	s_mov_b32 s19, exec_lo
	s_delay_alu instid0(VALU_DEP_1) | instskip(NEXT) | instid1(VALU_DEP_1)
	v_lshrrev_b32_e32 v1, s12, v1
	v_add_nc_u32_e32 v1, s13, v1
	s_delay_alu instid0(VALU_DEP_1)
	v_cmpx_gt_u32_e64 s14, v1
	s_cbranch_execz .LBB98_8
; %bb.10:                               ;   in Loop: Header=BB98_9 Depth=1
	v_add_nc_u32_e32 v1, s3, v1
	s_delay_alu instid0(VALU_DEP_1) | instskip(NEXT) | instid1(VALU_DEP_1)
	v_lshlrev_b64 v[3:4], 2, v[1:2]
	v_add_co_u32 v3, vcc_lo, s16, v3
	s_delay_alu instid0(VALU_DEP_2) | instskip(SKIP_3) | instid1(VALU_DEP_1)
	v_add_co_ci_u32_e32 v4, vcc_lo, s17, v4, vcc_lo
	global_load_b32 v3, v[3:4], off
	s_waitcnt vmcnt(0)
	v_ashrrev_i32_e32 v4, 31, v3
	v_lshlrev_b64 v[3:4], 2, v[3:4]
	s_waitcnt lgkmcnt(0)
	s_delay_alu instid0(VALU_DEP_1) | instskip(NEXT) | instid1(VALU_DEP_2)
	v_add_co_u32 v3, vcc_lo, s4, v3
	v_add_co_ci_u32_e32 v4, vcc_lo, s5, v4, vcc_lo
	global_load_b64 v[3:4], v[3:4], off
	s_waitcnt vmcnt(0)
	v_sub_nc_u32_e32 v1, v4, v3
	s_delay_alu instid0(VALU_DEP_1)
	v_cmp_lt_u32_e32 vcc_lo, v5, v1
	v_mov_b32_e32 v1, 0
	s_and_saveexec_b32 s21, vcc_lo
	s_cbranch_execz .LBB98_7
; %bb.11:                               ;   in Loop: Header=BB98_9 Depth=1
	v_add_nc_u32_e32 v1, v6, v3
	s_delay_alu instid0(VALU_DEP_1)
	v_lshlrev_b64 v[3:4], 2, v[1:2]
	global_load_i8 v1, v1, s[8:9]
	v_add_co_u32 v3, vcc_lo, s6, v3
	v_add_co_ci_u32_e32 v4, vcc_lo, s7, v4, vcc_lo
	global_load_b32 v3, v[3:4], off
	s_waitcnt vmcnt(1)
	v_cvt_f32_i32_e32 v1, v1
	s_delay_alu instid0(VALU_DEP_1) | instskip(SKIP_2) | instid1(VALU_DEP_1)
	v_mul_f32_e32 v1, s22, v1
	s_waitcnt vmcnt(0)
	v_subrev_nc_u32_e32 v3, s20, v3
	v_ashrrev_i32_e32 v4, 31, v3
	v_add_co_u32 v3, vcc_lo, s10, v3
	s_delay_alu instid0(VALU_DEP_2) | instskip(SKIP_3) | instid1(VALU_DEP_1)
	v_add_co_ci_u32_e32 v4, vcc_lo, s11, v4, vcc_lo
	global_load_i8 v3, v[3:4], off
	s_waitcnt vmcnt(0)
	v_cvt_f32_i32_e32 v3, v3
	v_mul_f32_e32 v1, v1, v3
	s_branch .LBB98_7
.LBB98_12:
	s_waitcnt lgkmcnt(0)
	s_sub_i32 s4, s14, s13
	s_delay_alu instid0(SALU_CYCLE_1)
	v_cmp_gt_u32_e32 vcc_lo, s4, v0
	s_barrier
	buffer_gl0_inv
	s_and_saveexec_b32 s4, vcc_lo
	s_cbranch_execz .LBB98_18
; %bb.13:
	v_add3_u32 v1, s3, s13, v0
	v_mov_b32_e32 v2, 0
	s_load_b64 s[0:1], s[0:1], 0x50
	v_lshlrev_b32_e32 v0, s12, v0
	s_mov_b32 s3, 1
	s_delay_alu instid0(VALU_DEP_2) | instskip(NEXT) | instid1(VALU_DEP_2)
	v_lshlrev_b64 v[3:4], 2, v[1:2]
	v_lshl_add_u32 v0, v0, 2, 0
	s_delay_alu instid0(VALU_DEP_2) | instskip(NEXT) | instid1(VALU_DEP_3)
	v_add_co_u32 v3, vcc_lo, s16, v3
	v_add_co_ci_u32_e32 v4, vcc_lo, s17, v4, vcc_lo
	global_load_b32 v3, v[3:4], off
.LBB98_14:                              ; =>This Inner Loop Header: Depth=1
	ds_load_b32 v1, v0
	v_add_nc_u32_e32 v0, 4, v0
	s_lshr_b32 s4, s3, s12
	s_add_i32 s3, s3, 1
	s_cmp_lg_u32 s4, 0
	s_waitcnt lgkmcnt(0)
	v_add_f32_e32 v2, v2, v1
	s_cbranch_scc0 .LBB98_14
; %bb.15:
	s_waitcnt vmcnt(0)
	v_ashrrev_i32_e32 v4, 31, v3
	v_cmp_neq_f32_e64 s3, s2, 0
	s_delay_alu instid0(VALU_DEP_2) | instskip(NEXT) | instid1(VALU_DEP_2)
	v_lshlrev_b64 v[0:1], 2, v[3:4]
	s_and_b32 vcc_lo, exec_lo, s3
	s_cbranch_vccz .LBB98_17
; %bb.16:
	s_delay_alu instid0(VALU_DEP_1) | instskip(NEXT) | instid1(VALU_DEP_2)
	v_add_co_u32 v3, vcc_lo, s0, v0
	v_add_co_ci_u32_e32 v4, vcc_lo, s1, v1, vcc_lo
	global_load_b32 v3, v[3:4], off
	s_waitcnt vmcnt(0)
	v_fmac_f32_e32 v2, s2, v3
.LBB98_17:
	s_delay_alu instid0(VALU_DEP_1) | instskip(NEXT) | instid1(VALU_DEP_2)
	v_add_co_u32 v0, vcc_lo, s0, v0
	v_add_co_ci_u32_e32 v1, vcc_lo, s1, v1, vcc_lo
	global_store_b32 v[0:1], v2, off
.LBB98_18:
	s_nop 0
	s_sendmsg sendmsg(MSG_DEALLOC_VGPRS)
	s_endpgm
	.section	.rodata,"a",@progbits
	.p2align	6, 0x0
	.amdhsa_kernel _ZN9rocsparseL28csrmvn_lrb_short_rows_kernelIiiaaffEEvbT_PT0_S3_jNS_24const_host_device_scalarIT4_EEPKS1_PKS2_PKT1_PKT2_S6_PT3_21rocsparse_index_base_b
		.amdhsa_group_segment_fixed_size 0
		.amdhsa_private_segment_fixed_size 0
		.amdhsa_kernarg_size 96
		.amdhsa_user_sgpr_count 15
		.amdhsa_user_sgpr_dispatch_ptr 0
		.amdhsa_user_sgpr_queue_ptr 0
		.amdhsa_user_sgpr_kernarg_segment_ptr 1
		.amdhsa_user_sgpr_dispatch_id 0
		.amdhsa_user_sgpr_private_segment_size 0
		.amdhsa_wavefront_size32 1
		.amdhsa_uses_dynamic_stack 0
		.amdhsa_enable_private_segment 0
		.amdhsa_system_sgpr_workgroup_id_x 1
		.amdhsa_system_sgpr_workgroup_id_y 0
		.amdhsa_system_sgpr_workgroup_id_z 0
		.amdhsa_system_sgpr_workgroup_info 0
		.amdhsa_system_vgpr_workitem_id 0
		.amdhsa_next_free_vgpr 8
		.amdhsa_next_free_sgpr 24
		.amdhsa_reserve_vcc 1
		.amdhsa_float_round_mode_32 0
		.amdhsa_float_round_mode_16_64 0
		.amdhsa_float_denorm_mode_32 3
		.amdhsa_float_denorm_mode_16_64 3
		.amdhsa_dx10_clamp 1
		.amdhsa_ieee_mode 1
		.amdhsa_fp16_overflow 0
		.amdhsa_workgroup_processor_mode 1
		.amdhsa_memory_ordered 1
		.amdhsa_forward_progress 0
		.amdhsa_shared_vgpr_count 0
		.amdhsa_exception_fp_ieee_invalid_op 0
		.amdhsa_exception_fp_denorm_src 0
		.amdhsa_exception_fp_ieee_div_zero 0
		.amdhsa_exception_fp_ieee_overflow 0
		.amdhsa_exception_fp_ieee_underflow 0
		.amdhsa_exception_fp_ieee_inexact 0
		.amdhsa_exception_int_div_zero 0
	.end_amdhsa_kernel
	.section	.text._ZN9rocsparseL28csrmvn_lrb_short_rows_kernelIiiaaffEEvbT_PT0_S3_jNS_24const_host_device_scalarIT4_EEPKS1_PKS2_PKT1_PKT2_S6_PT3_21rocsparse_index_base_b,"axG",@progbits,_ZN9rocsparseL28csrmvn_lrb_short_rows_kernelIiiaaffEEvbT_PT0_S3_jNS_24const_host_device_scalarIT4_EEPKS1_PKS2_PKT1_PKT2_S6_PT3_21rocsparse_index_base_b,comdat
.Lfunc_end98:
	.size	_ZN9rocsparseL28csrmvn_lrb_short_rows_kernelIiiaaffEEvbT_PT0_S3_jNS_24const_host_device_scalarIT4_EEPKS1_PKS2_PKT1_PKT2_S6_PT3_21rocsparse_index_base_b, .Lfunc_end98-_ZN9rocsparseL28csrmvn_lrb_short_rows_kernelIiiaaffEEvbT_PT0_S3_jNS_24const_host_device_scalarIT4_EEPKS1_PKS2_PKT1_PKT2_S6_PT3_21rocsparse_index_base_b
                                        ; -- End function
	.section	.AMDGPU.csdata,"",@progbits
; Kernel info:
; codeLenInByte = 836
; NumSgprs: 26
; NumVgprs: 8
; ScratchSize: 0
; MemoryBound: 0
; FloatMode: 240
; IeeeMode: 1
; LDSByteSize: 0 bytes/workgroup (compile time only)
; SGPRBlocks: 3
; VGPRBlocks: 0
; NumSGPRsForWavesPerEU: 26
; NumVGPRsForWavesPerEU: 8
; Occupancy: 16
; WaveLimiterHint : 1
; COMPUTE_PGM_RSRC2:SCRATCH_EN: 0
; COMPUTE_PGM_RSRC2:USER_SGPR: 15
; COMPUTE_PGM_RSRC2:TRAP_HANDLER: 0
; COMPUTE_PGM_RSRC2:TGID_X_EN: 1
; COMPUTE_PGM_RSRC2:TGID_Y_EN: 0
; COMPUTE_PGM_RSRC2:TGID_Z_EN: 0
; COMPUTE_PGM_RSRC2:TIDIG_COMP_CNT: 0
	.section	.text._ZN9rocsparseL30csrmvn_lrb_short_rows_2_kernelIiiaaffEEvbT_PT0_S3_jNS_24const_host_device_scalarIT4_EEPKS1_PKS2_PKT1_PKT2_S6_PT3_21rocsparse_index_base_b,"axG",@progbits,_ZN9rocsparseL30csrmvn_lrb_short_rows_2_kernelIiiaaffEEvbT_PT0_S3_jNS_24const_host_device_scalarIT4_EEPKS1_PKS2_PKT1_PKT2_S6_PT3_21rocsparse_index_base_b,comdat
	.globl	_ZN9rocsparseL30csrmvn_lrb_short_rows_2_kernelIiiaaffEEvbT_PT0_S3_jNS_24const_host_device_scalarIT4_EEPKS1_PKS2_PKT1_PKT2_S6_PT3_21rocsparse_index_base_b ; -- Begin function _ZN9rocsparseL30csrmvn_lrb_short_rows_2_kernelIiiaaffEEvbT_PT0_S3_jNS_24const_host_device_scalarIT4_EEPKS1_PKS2_PKT1_PKT2_S6_PT3_21rocsparse_index_base_b
	.p2align	8
	.type	_ZN9rocsparseL30csrmvn_lrb_short_rows_2_kernelIiiaaffEEvbT_PT0_S3_jNS_24const_host_device_scalarIT4_EEPKS1_PKS2_PKT1_PKT2_S6_PT3_21rocsparse_index_base_b,@function
_ZN9rocsparseL30csrmvn_lrb_short_rows_2_kernelIiiaaffEEvbT_PT0_S3_jNS_24const_host_device_scalarIT4_EEPKS1_PKS2_PKT1_PKT2_S6_PT3_21rocsparse_index_base_b: ; @_ZN9rocsparseL30csrmvn_lrb_short_rows_2_kernelIiiaaffEEvbT_PT0_S3_jNS_24const_host_device_scalarIT4_EEPKS1_PKS2_PKT1_PKT2_S6_PT3_21rocsparse_index_base_b
; %bb.0:
	s_clause 0x2
	s_load_b64 s[20:21], s[0:1], 0x58
	s_load_b64 s[18:19], s[0:1], 0x20
	;; [unrolled: 1-line block ×3, first 2 shown]
	s_waitcnt lgkmcnt(0)
	s_bitcmp1_b32 s21, 0
	s_cselect_b32 s2, -1, 0
	s_delay_alu instid0(SALU_CYCLE_1)
	s_and_b32 vcc_lo, exec_lo, s2
	s_xor_b32 s2, s2, -1
	s_cbranch_vccnz .LBB99_2
; %bb.1:
	s_load_b32 s18, s[18:19], 0x0
.LBB99_2:
	s_and_not1_b32 vcc_lo, exec_lo, s2
	s_cbranch_vccnz .LBB99_4
; %bb.3:
	s_load_b32 s12, s[12:13], 0x0
.LBB99_4:
	s_waitcnt lgkmcnt(0)
	v_cmp_neq_f32_e64 s2, s18, 0
	v_cmp_neq_f32_e64 s3, s12, 1.0
	s_mov_b32 s17, 0
	s_delay_alu instid0(VALU_DEP_1) | instskip(NEXT) | instid1(SALU_CYCLE_1)
	s_or_b32 s2, s2, s3
	s_and_not1_b32 vcc_lo, exec_lo, s2
	s_cbranch_vccnz .LBB99_30
; %bb.5:
	s_clause 0x1
	s_load_b32 s16, s[0:1], 0x18
	s_load_b128 s[8:11], s[0:1], 0x8
	s_mov_b32 s5, s17
	s_waitcnt lgkmcnt(0)
	s_lshl_b64 s[2:3], s[16:17], 2
	v_lshrrev_b32_e32 v1, s16, v0
	s_add_u32 s2, s10, s2
	s_addc_u32 s3, s11, s3
	s_add_i32 s4, s16, 1
	v_bfe_u32 v6, v0, 0, s16
	s_lshl_b64 s[4:5], s[4:5], 2
	s_delay_alu instid0(SALU_CYCLE_1)
	s_add_u32 s4, s10, s4
	s_addc_u32 s5, s11, s5
	s_clause 0x1
	s_load_b32 s14, s[2:3], 0x0
	s_load_b32 s17, s[4:5], 0x0
	s_clause 0x1
	s_load_b64 s[10:11], s[0:1], 0x50
	s_load_b256 s[0:7], s[0:1], 0x28
	s_lshr_b32 s13, 0x400, s16
	v_subrev_nc_u32_e32 v5, s20, v6
	s_mul_i32 s15, s13, s15
	s_delay_alu instid0(SALU_CYCLE_1) | instskip(SKIP_3) | instid1(SALU_CYCLE_1)
	v_add_nc_u32_e32 v1, s15, v1
	s_add_i32 s19, s15, s13
	s_waitcnt lgkmcnt(0)
	s_sub_i32 s17, s17, s14
	s_min_u32 s17, s17, s19
	s_mov_b32 s19, exec_lo
	v_cmpx_gt_u32_e64 s17, v1
	s_cbranch_execz .LBB99_9
; %bb.6:
	v_dual_mov_b32 v2, 0 :: v_dual_add_nc_u32 v1, s14, v1
	s_mov_b32 s21, exec_lo
	s_delay_alu instid0(VALU_DEP_1) | instskip(NEXT) | instid1(VALU_DEP_1)
	v_lshlrev_b64 v[3:4], 2, v[1:2]
	v_add_co_u32 v3, vcc_lo, s8, v3
	s_delay_alu instid0(VALU_DEP_2) | instskip(SKIP_3) | instid1(VALU_DEP_1)
	v_add_co_ci_u32_e32 v4, vcc_lo, s9, v4, vcc_lo
	global_load_b32 v3, v[3:4], off
	s_waitcnt vmcnt(0)
	v_ashrrev_i32_e32 v4, 31, v3
	v_lshlrev_b64 v[3:4], 2, v[3:4]
	s_delay_alu instid0(VALU_DEP_1) | instskip(NEXT) | instid1(VALU_DEP_2)
	v_add_co_u32 v3, vcc_lo, s0, v3
	v_add_co_ci_u32_e32 v4, vcc_lo, s1, v4, vcc_lo
	global_load_b64 v[3:4], v[3:4], off
	s_waitcnt vmcnt(0)
	v_sub_nc_u32_e32 v1, v4, v3
	s_delay_alu instid0(VALU_DEP_1)
	v_cmpx_lt_u32_e64 v6, v1
	s_cbranch_execz .LBB99_8
; %bb.7:
	v_dual_mov_b32 v2, 0 :: v_dual_add_nc_u32 v1, v3, v5
	global_load_i8 v4, v1, s[4:5]
	v_lshlrev_b64 v[2:3], 2, v[1:2]
	s_delay_alu instid0(VALU_DEP_1) | instskip(NEXT) | instid1(VALU_DEP_2)
	v_add_co_u32 v2, vcc_lo, s2, v2
	v_add_co_ci_u32_e32 v3, vcc_lo, s3, v3, vcc_lo
	global_load_b32 v2, v[2:3], off
	s_waitcnt vmcnt(0)
	v_subrev_nc_u32_e32 v2, s20, v2
	s_delay_alu instid0(VALU_DEP_1) | instskip(SKIP_1) | instid1(VALU_DEP_2)
	v_ashrrev_i32_e32 v3, 31, v2
	v_add_co_u32 v1, vcc_lo, s6, v2
	v_add_co_ci_u32_e32 v2, vcc_lo, s7, v3, vcc_lo
	global_load_i8 v1, v[1:2], off
	v_cvt_f32_i32_e32 v2, v4
	s_delay_alu instid0(VALU_DEP_1) | instskip(SKIP_2) | instid1(VALU_DEP_1)
	v_mul_f32_e32 v2, s18, v2
	s_waitcnt vmcnt(0)
	v_cvt_f32_i32_e32 v1, v1
	v_mul_f32_e32 v2, v2, v1
.LBB99_8:
	s_or_b32 exec_lo, exec_lo, s21
	v_lshlrev_b32_e32 v1, 2, v0
	ds_store_b32 v1, v2
.LBB99_9:
	s_or_b32 exec_lo, exec_lo, s19
	v_or_b32_e32 v1, 0x100, v0
	s_mov_b32 s19, exec_lo
	s_delay_alu instid0(VALU_DEP_1) | instskip(NEXT) | instid1(VALU_DEP_1)
	v_lshrrev_b32_e32 v1, s16, v1
	v_add_nc_u32_e32 v1, s15, v1
	s_delay_alu instid0(VALU_DEP_1)
	v_cmpx_gt_u32_e64 s17, v1
	s_cbranch_execz .LBB99_13
; %bb.10:
	v_dual_mov_b32 v2, 0 :: v_dual_add_nc_u32 v1, s14, v1
	s_mov_b32 s21, exec_lo
	s_delay_alu instid0(VALU_DEP_1) | instskip(NEXT) | instid1(VALU_DEP_1)
	v_lshlrev_b64 v[3:4], 2, v[1:2]
	v_add_co_u32 v3, vcc_lo, s8, v3
	s_delay_alu instid0(VALU_DEP_2) | instskip(SKIP_3) | instid1(VALU_DEP_1)
	v_add_co_ci_u32_e32 v4, vcc_lo, s9, v4, vcc_lo
	global_load_b32 v3, v[3:4], off
	s_waitcnt vmcnt(0)
	v_ashrrev_i32_e32 v4, 31, v3
	v_lshlrev_b64 v[3:4], 2, v[3:4]
	s_delay_alu instid0(VALU_DEP_1) | instskip(NEXT) | instid1(VALU_DEP_2)
	v_add_co_u32 v3, vcc_lo, s0, v3
	v_add_co_ci_u32_e32 v4, vcc_lo, s1, v4, vcc_lo
	global_load_b64 v[3:4], v[3:4], off
	s_waitcnt vmcnt(0)
	v_sub_nc_u32_e32 v1, v4, v3
	s_delay_alu instid0(VALU_DEP_1)
	v_cmpx_lt_u32_e64 v6, v1
	s_cbranch_execz .LBB99_12
; %bb.11:
	v_dual_mov_b32 v2, 0 :: v_dual_add_nc_u32 v1, v3, v5
	global_load_i8 v4, v1, s[4:5]
	v_lshlrev_b64 v[2:3], 2, v[1:2]
	s_delay_alu instid0(VALU_DEP_1) | instskip(NEXT) | instid1(VALU_DEP_2)
	v_add_co_u32 v2, vcc_lo, s2, v2
	v_add_co_ci_u32_e32 v3, vcc_lo, s3, v3, vcc_lo
	global_load_b32 v2, v[2:3], off
	s_waitcnt vmcnt(0)
	v_subrev_nc_u32_e32 v2, s20, v2
	s_delay_alu instid0(VALU_DEP_1) | instskip(SKIP_1) | instid1(VALU_DEP_2)
	v_ashrrev_i32_e32 v3, 31, v2
	v_add_co_u32 v1, vcc_lo, s6, v2
	v_add_co_ci_u32_e32 v2, vcc_lo, s7, v3, vcc_lo
	global_load_i8 v1, v[1:2], off
	v_cvt_f32_i32_e32 v2, v4
	s_delay_alu instid0(VALU_DEP_1) | instskip(SKIP_2) | instid1(VALU_DEP_1)
	v_mul_f32_e32 v2, s18, v2
	s_waitcnt vmcnt(0)
	v_cvt_f32_i32_e32 v1, v1
	v_mul_f32_e32 v2, v2, v1
.LBB99_12:
	s_or_b32 exec_lo, exec_lo, s21
	v_lshlrev_b32_e32 v1, 2, v0
	ds_store_b32 v1, v2 offset:1024
.LBB99_13:
	s_or_b32 exec_lo, exec_lo, s19
	v_or_b32_e32 v1, 0x200, v0
	s_mov_b32 s19, exec_lo
	s_delay_alu instid0(VALU_DEP_1) | instskip(NEXT) | instid1(VALU_DEP_1)
	v_lshrrev_b32_e32 v1, s16, v1
	v_add_nc_u32_e32 v1, s15, v1
	s_delay_alu instid0(VALU_DEP_1)
	v_cmpx_gt_u32_e64 s17, v1
	s_cbranch_execz .LBB99_17
; %bb.14:
	v_dual_mov_b32 v2, 0 :: v_dual_add_nc_u32 v1, s14, v1
	s_mov_b32 s21, exec_lo
	s_delay_alu instid0(VALU_DEP_1) | instskip(NEXT) | instid1(VALU_DEP_1)
	v_lshlrev_b64 v[3:4], 2, v[1:2]
	v_add_co_u32 v3, vcc_lo, s8, v3
	s_delay_alu instid0(VALU_DEP_2) | instskip(SKIP_3) | instid1(VALU_DEP_1)
	v_add_co_ci_u32_e32 v4, vcc_lo, s9, v4, vcc_lo
	global_load_b32 v3, v[3:4], off
	s_waitcnt vmcnt(0)
	v_ashrrev_i32_e32 v4, 31, v3
	v_lshlrev_b64 v[3:4], 2, v[3:4]
	s_delay_alu instid0(VALU_DEP_1) | instskip(NEXT) | instid1(VALU_DEP_2)
	v_add_co_u32 v3, vcc_lo, s0, v3
	v_add_co_ci_u32_e32 v4, vcc_lo, s1, v4, vcc_lo
	global_load_b64 v[3:4], v[3:4], off
	s_waitcnt vmcnt(0)
	v_sub_nc_u32_e32 v1, v4, v3
	s_delay_alu instid0(VALU_DEP_1)
	v_cmpx_lt_u32_e64 v6, v1
	s_cbranch_execz .LBB99_16
; %bb.15:
	v_dual_mov_b32 v2, 0 :: v_dual_add_nc_u32 v1, v3, v5
	global_load_i8 v4, v1, s[4:5]
	v_lshlrev_b64 v[2:3], 2, v[1:2]
	s_delay_alu instid0(VALU_DEP_1) | instskip(NEXT) | instid1(VALU_DEP_2)
	v_add_co_u32 v2, vcc_lo, s2, v2
	v_add_co_ci_u32_e32 v3, vcc_lo, s3, v3, vcc_lo
	global_load_b32 v2, v[2:3], off
	s_waitcnt vmcnt(0)
	v_subrev_nc_u32_e32 v2, s20, v2
	s_delay_alu instid0(VALU_DEP_1) | instskip(SKIP_1) | instid1(VALU_DEP_2)
	v_ashrrev_i32_e32 v3, 31, v2
	v_add_co_u32 v1, vcc_lo, s6, v2
	v_add_co_ci_u32_e32 v2, vcc_lo, s7, v3, vcc_lo
	global_load_i8 v1, v[1:2], off
	v_cvt_f32_i32_e32 v2, v4
	s_delay_alu instid0(VALU_DEP_1) | instskip(SKIP_2) | instid1(VALU_DEP_1)
	v_mul_f32_e32 v2, s18, v2
	s_waitcnt vmcnt(0)
	v_cvt_f32_i32_e32 v1, v1
	v_mul_f32_e32 v2, v2, v1
.LBB99_16:
	s_or_b32 exec_lo, exec_lo, s21
	v_lshlrev_b32_e32 v1, 2, v0
	ds_store_b32 v1, v2 offset:2048
.LBB99_17:
	s_or_b32 exec_lo, exec_lo, s19
	v_or_b32_e32 v1, 0x300, v0
	s_mov_b32 s19, exec_lo
	s_delay_alu instid0(VALU_DEP_1) | instskip(NEXT) | instid1(VALU_DEP_1)
	v_lshrrev_b32_e32 v1, s16, v1
	v_add_nc_u32_e32 v1, s15, v1
	s_delay_alu instid0(VALU_DEP_1)
	v_cmpx_gt_u32_e64 s17, v1
	s_cbranch_execz .LBB99_21
; %bb.18:
	v_dual_mov_b32 v2, 0 :: v_dual_add_nc_u32 v1, s14, v1
	s_delay_alu instid0(VALU_DEP_1) | instskip(NEXT) | instid1(VALU_DEP_1)
	v_lshlrev_b64 v[3:4], 2, v[1:2]
	v_add_co_u32 v3, vcc_lo, s8, v3
	s_delay_alu instid0(VALU_DEP_2) | instskip(SKIP_3) | instid1(VALU_DEP_1)
	v_add_co_ci_u32_e32 v4, vcc_lo, s9, v4, vcc_lo
	global_load_b32 v3, v[3:4], off
	s_waitcnt vmcnt(0)
	v_ashrrev_i32_e32 v4, 31, v3
	v_lshlrev_b64 v[3:4], 2, v[3:4]
	s_delay_alu instid0(VALU_DEP_1) | instskip(NEXT) | instid1(VALU_DEP_2)
	v_add_co_u32 v3, vcc_lo, s0, v3
	v_add_co_ci_u32_e32 v4, vcc_lo, s1, v4, vcc_lo
	s_mov_b32 s0, exec_lo
	global_load_b64 v[3:4], v[3:4], off
	s_waitcnt vmcnt(0)
	v_sub_nc_u32_e32 v1, v4, v3
	s_delay_alu instid0(VALU_DEP_1)
	v_cmpx_lt_u32_e64 v6, v1
	s_cbranch_execz .LBB99_20
; %bb.19:
	v_dual_mov_b32 v2, 0 :: v_dual_add_nc_u32 v1, v3, v5
	global_load_i8 v4, v1, s[4:5]
	v_lshlrev_b64 v[2:3], 2, v[1:2]
	s_delay_alu instid0(VALU_DEP_1) | instskip(NEXT) | instid1(VALU_DEP_2)
	v_add_co_u32 v2, vcc_lo, s2, v2
	v_add_co_ci_u32_e32 v3, vcc_lo, s3, v3, vcc_lo
	global_load_b32 v2, v[2:3], off
	s_waitcnt vmcnt(0)
	v_subrev_nc_u32_e32 v2, s20, v2
	s_delay_alu instid0(VALU_DEP_1) | instskip(SKIP_1) | instid1(VALU_DEP_2)
	v_ashrrev_i32_e32 v3, 31, v2
	v_add_co_u32 v1, vcc_lo, s6, v2
	v_add_co_ci_u32_e32 v2, vcc_lo, s7, v3, vcc_lo
	global_load_i8 v1, v[1:2], off
	v_cvt_f32_i32_e32 v2, v4
	s_delay_alu instid0(VALU_DEP_1) | instskip(SKIP_2) | instid1(VALU_DEP_1)
	v_mul_f32_e32 v2, s18, v2
	s_waitcnt vmcnt(0)
	v_cvt_f32_i32_e32 v1, v1
	v_mul_f32_e32 v2, v2, v1
.LBB99_20:
	s_or_b32 exec_lo, exec_lo, s0
	v_lshlrev_b32_e32 v1, 2, v0
	ds_store_b32 v1, v2 offset:3072
.LBB99_21:
	s_or_b32 exec_lo, exec_lo, s19
	s_cmp_lt_u32 s16, 11
	s_waitcnt lgkmcnt(0)
	s_barrier
	buffer_gl0_inv
	s_cbranch_scc0 .LBB99_30
; %bb.22:
	v_cmp_neq_f32_e64 s0, s12, 0
	v_mov_b32_e32 v2, 0
	s_sub_i32 s1, s17, s15
	s_add_i32 s14, s14, s15
	s_mov_b32 s2, 0
	s_set_inst_prefetch_distance 0x1
	s_branch .LBB99_25
	.p2align	6
.LBB99_23:                              ;   in Loop: Header=BB99_25 Depth=1
	s_delay_alu instid0(VALU_DEP_1) | instskip(NEXT) | instid1(VALU_DEP_2)
	v_add_co_u32 v3, vcc_lo, s10, v3
	v_add_co_ci_u32_e32 v4, vcc_lo, s11, v4, vcc_lo
	global_store_b32 v[3:4], v1, off
.LBB99_24:                              ;   in Loop: Header=BB99_25 Depth=1
	s_or_b32 exec_lo, exec_lo, s3
	s_addk_i32 s2, 0x100
	s_delay_alu instid0(SALU_CYCLE_1)
	s_cmp_lt_u32 s2, s13
	s_cbranch_scc0 .LBB99_30
.LBB99_25:                              ; =>This Loop Header: Depth=1
                                        ;     Child Loop BB99_27 Depth 2
	v_add_nc_u32_e32 v4, s2, v0
	s_mov_b32 s3, exec_lo
	s_delay_alu instid0(VALU_DEP_1)
	v_cmpx_gt_u32_e64 s1, v4
	s_cbranch_execz .LBB99_24
; %bb.26:                               ;   in Loop: Header=BB99_25 Depth=1
	v_add_nc_u32_e32 v1, s14, v4
	s_mov_b32 s4, 1
	s_delay_alu instid0(VALU_DEP_1) | instskip(SKIP_1) | instid1(VALU_DEP_1)
	v_lshlrev_b64 v[5:6], 2, v[1:2]
	v_lshlrev_b32_e32 v1, s16, v4
	v_dual_mov_b32 v1, 0 :: v_dual_lshlrev_b32 v4, 2, v1
	s_delay_alu instid0(VALU_DEP_3) | instskip(NEXT) | instid1(VALU_DEP_4)
	v_add_co_u32 v5, vcc_lo, s8, v5
	v_add_co_ci_u32_e32 v6, vcc_lo, s9, v6, vcc_lo
	global_load_b32 v3, v[5:6], off
.LBB99_27:                              ;   Parent Loop BB99_25 Depth=1
                                        ; =>  This Inner Loop Header: Depth=2
	ds_load_b32 v5, v4
	v_add_nc_u32_e32 v4, 4, v4
	s_lshr_b32 s5, s4, s16
	s_add_i32 s4, s4, 1
	s_cmp_lg_u32 s5, 0
	s_waitcnt lgkmcnt(0)
	v_add_f32_e32 v1, v1, v5
	s_cbranch_scc0 .LBB99_27
; %bb.28:                               ;   in Loop: Header=BB99_25 Depth=1
	s_waitcnt vmcnt(0)
	v_ashrrev_i32_e32 v4, 31, v3
	s_and_b32 vcc_lo, exec_lo, s0
	s_delay_alu instid0(VALU_DEP_1)
	v_lshlrev_b64 v[3:4], 2, v[3:4]
	s_cbranch_vccz .LBB99_23
; %bb.29:                               ;   in Loop: Header=BB99_25 Depth=1
	s_delay_alu instid0(VALU_DEP_1) | instskip(NEXT) | instid1(VALU_DEP_2)
	v_add_co_u32 v5, vcc_lo, s10, v3
	v_add_co_ci_u32_e32 v6, vcc_lo, s11, v4, vcc_lo
	global_load_b32 v5, v[5:6], off
	s_waitcnt vmcnt(0)
	v_fmac_f32_e32 v1, s12, v5
	s_branch .LBB99_23
.LBB99_30:
	s_set_inst_prefetch_distance 0x2
	s_nop 0
	s_sendmsg sendmsg(MSG_DEALLOC_VGPRS)
	s_endpgm
	.section	.rodata,"a",@progbits
	.p2align	6, 0x0
	.amdhsa_kernel _ZN9rocsparseL30csrmvn_lrb_short_rows_2_kernelIiiaaffEEvbT_PT0_S3_jNS_24const_host_device_scalarIT4_EEPKS1_PKS2_PKT1_PKT2_S6_PT3_21rocsparse_index_base_b
		.amdhsa_group_segment_fixed_size 4096
		.amdhsa_private_segment_fixed_size 0
		.amdhsa_kernarg_size 96
		.amdhsa_user_sgpr_count 15
		.amdhsa_user_sgpr_dispatch_ptr 0
		.amdhsa_user_sgpr_queue_ptr 0
		.amdhsa_user_sgpr_kernarg_segment_ptr 1
		.amdhsa_user_sgpr_dispatch_id 0
		.amdhsa_user_sgpr_private_segment_size 0
		.amdhsa_wavefront_size32 1
		.amdhsa_uses_dynamic_stack 0
		.amdhsa_enable_private_segment 0
		.amdhsa_system_sgpr_workgroup_id_x 1
		.amdhsa_system_sgpr_workgroup_id_y 0
		.amdhsa_system_sgpr_workgroup_id_z 0
		.amdhsa_system_sgpr_workgroup_info 0
		.amdhsa_system_vgpr_workitem_id 0
		.amdhsa_next_free_vgpr 7
		.amdhsa_next_free_sgpr 22
		.amdhsa_reserve_vcc 1
		.amdhsa_float_round_mode_32 0
		.amdhsa_float_round_mode_16_64 0
		.amdhsa_float_denorm_mode_32 3
		.amdhsa_float_denorm_mode_16_64 3
		.amdhsa_dx10_clamp 1
		.amdhsa_ieee_mode 1
		.amdhsa_fp16_overflow 0
		.amdhsa_workgroup_processor_mode 1
		.amdhsa_memory_ordered 1
		.amdhsa_forward_progress 0
		.amdhsa_shared_vgpr_count 0
		.amdhsa_exception_fp_ieee_invalid_op 0
		.amdhsa_exception_fp_denorm_src 0
		.amdhsa_exception_fp_ieee_div_zero 0
		.amdhsa_exception_fp_ieee_overflow 0
		.amdhsa_exception_fp_ieee_underflow 0
		.amdhsa_exception_fp_ieee_inexact 0
		.amdhsa_exception_int_div_zero 0
	.end_amdhsa_kernel
	.section	.text._ZN9rocsparseL30csrmvn_lrb_short_rows_2_kernelIiiaaffEEvbT_PT0_S3_jNS_24const_host_device_scalarIT4_EEPKS1_PKS2_PKT1_PKT2_S6_PT3_21rocsparse_index_base_b,"axG",@progbits,_ZN9rocsparseL30csrmvn_lrb_short_rows_2_kernelIiiaaffEEvbT_PT0_S3_jNS_24const_host_device_scalarIT4_EEPKS1_PKS2_PKT1_PKT2_S6_PT3_21rocsparse_index_base_b,comdat
.Lfunc_end99:
	.size	_ZN9rocsparseL30csrmvn_lrb_short_rows_2_kernelIiiaaffEEvbT_PT0_S3_jNS_24const_host_device_scalarIT4_EEPKS1_PKS2_PKT1_PKT2_S6_PT3_21rocsparse_index_base_b, .Lfunc_end99-_ZN9rocsparseL30csrmvn_lrb_short_rows_2_kernelIiiaaffEEvbT_PT0_S3_jNS_24const_host_device_scalarIT4_EEPKS1_PKS2_PKT1_PKT2_S6_PT3_21rocsparse_index_base_b
                                        ; -- End function
	.section	.AMDGPU.csdata,"",@progbits
; Kernel info:
; codeLenInByte = 1664
; NumSgprs: 24
; NumVgprs: 7
; ScratchSize: 0
; MemoryBound: 0
; FloatMode: 240
; IeeeMode: 1
; LDSByteSize: 4096 bytes/workgroup (compile time only)
; SGPRBlocks: 2
; VGPRBlocks: 0
; NumSGPRsForWavesPerEU: 24
; NumVGPRsForWavesPerEU: 7
; Occupancy: 16
; WaveLimiterHint : 1
; COMPUTE_PGM_RSRC2:SCRATCH_EN: 0
; COMPUTE_PGM_RSRC2:USER_SGPR: 15
; COMPUTE_PGM_RSRC2:TRAP_HANDLER: 0
; COMPUTE_PGM_RSRC2:TGID_X_EN: 1
; COMPUTE_PGM_RSRC2:TGID_Y_EN: 0
; COMPUTE_PGM_RSRC2:TGID_Z_EN: 0
; COMPUTE_PGM_RSRC2:TIDIG_COMP_CNT: 0
	.section	.text._ZN9rocsparseL41csrmvn_lrb_medium_rows_warp_reduce_kernelILj256ELj32EiiaaffEEvbT1_lPT2_S3_jNS_24const_host_device_scalarIT6_EEPKS1_PKS2_PKT3_PKT4_S6_PT5_21rocsparse_index_base_b,"axG",@progbits,_ZN9rocsparseL41csrmvn_lrb_medium_rows_warp_reduce_kernelILj256ELj32EiiaaffEEvbT1_lPT2_S3_jNS_24const_host_device_scalarIT6_EEPKS1_PKS2_PKT3_PKT4_S6_PT5_21rocsparse_index_base_b,comdat
	.globl	_ZN9rocsparseL41csrmvn_lrb_medium_rows_warp_reduce_kernelILj256ELj32EiiaaffEEvbT1_lPT2_S3_jNS_24const_host_device_scalarIT6_EEPKS1_PKS2_PKT3_PKT4_S6_PT5_21rocsparse_index_base_b ; -- Begin function _ZN9rocsparseL41csrmvn_lrb_medium_rows_warp_reduce_kernelILj256ELj32EiiaaffEEvbT1_lPT2_S3_jNS_24const_host_device_scalarIT6_EEPKS1_PKS2_PKT3_PKT4_S6_PT5_21rocsparse_index_base_b
	.p2align	8
	.type	_ZN9rocsparseL41csrmvn_lrb_medium_rows_warp_reduce_kernelILj256ELj32EiiaaffEEvbT1_lPT2_S3_jNS_24const_host_device_scalarIT6_EEPKS1_PKS2_PKT3_PKT4_S6_PT5_21rocsparse_index_base_b,@function
_ZN9rocsparseL41csrmvn_lrb_medium_rows_warp_reduce_kernelILj256ELj32EiiaaffEEvbT1_lPT2_S3_jNS_24const_host_device_scalarIT6_EEPKS1_PKS2_PKT3_PKT4_S6_PT5_21rocsparse_index_base_b: ; @_ZN9rocsparseL41csrmvn_lrb_medium_rows_warp_reduce_kernelILj256ELj32EiiaaffEEvbT1_lPT2_S3_jNS_24const_host_device_scalarIT6_EEPKS1_PKS2_PKT3_PKT4_S6_PT5_21rocsparse_index_base_b
; %bb.0:
	s_clause 0x2
	s_load_b64 s[8:9], s[0:1], 0x60
	s_load_b64 s[10:11], s[0:1], 0x28
	;; [unrolled: 1-line block ×3, first 2 shown]
	s_waitcnt lgkmcnt(0)
	s_bitcmp1_b32 s9, 0
	s_cselect_b32 s4, -1, 0
	s_delay_alu instid0(SALU_CYCLE_1)
	s_and_b32 vcc_lo, exec_lo, s4
	s_xor_b32 s4, s4, -1
	s_cbranch_vccnz .LBB100_2
; %bb.1:
	s_load_b32 s10, s[10:11], 0x0
.LBB100_2:
	s_and_not1_b32 vcc_lo, exec_lo, s4
	s_cbranch_vccnz .LBB100_4
; %bb.3:
	s_load_b32 s2, s[2:3], 0x0
.LBB100_4:
	s_waitcnt lgkmcnt(0)
	v_cmp_neq_f32_e64 s3, s10, 0
	v_cmp_neq_f32_e64 s4, s2, 1.0
	s_delay_alu instid0(VALU_DEP_1) | instskip(NEXT) | instid1(SALU_CYCLE_1)
	s_or_b32 s3, s3, s4
	s_and_not1_b32 vcc_lo, exec_lo, s3
	s_cbranch_vccnz .LBB100_14
; %bb.5:
	s_load_b64 s[4:5], s[0:1], 0x8
	v_lshrrev_b32_e32 v1, 5, v0
	s_mov_b32 s3, exec_lo
	s_delay_alu instid0(VALU_DEP_1) | instskip(NEXT) | instid1(VALU_DEP_1)
	v_lshl_or_b32 v1, s15, 3, v1
	v_ashrrev_i32_e32 v2, 31, v1
	s_waitcnt lgkmcnt(0)
	s_delay_alu instid0(VALU_DEP_1)
	v_cmpx_gt_i64_e64 s[4:5], v[1:2]
	s_cbranch_execz .LBB100_14
; %bb.6:
	s_clause 0x1
	s_load_b32 s14, s[0:1], 0x20
	s_load_b128 s[4:7], s[0:1], 0x10
	s_mov_b32 s15, 0
	v_and_b32_e32 v0, 31, v0
	s_delay_alu instid0(VALU_DEP_1) | instskip(SKIP_2) | instid1(SALU_CYCLE_1)
	v_subrev_nc_u32_e32 v5, s8, v0
	s_waitcnt lgkmcnt(0)
	s_lshl_b64 s[12:13], s[14:15], 2
	s_add_u32 s6, s6, s12
	s_addc_u32 s7, s7, s13
	s_load_b64 s[12:13], s[0:1], 0x58
	s_load_b32 s3, s[6:7], 0x0
	s_waitcnt lgkmcnt(0)
	v_add_nc_u32_e32 v1, s3, v1
	s_mov_b32 s3, exec_lo
	s_delay_alu instid0(VALU_DEP_1) | instskip(NEXT) | instid1(VALU_DEP_1)
	v_ashrrev_i32_e32 v2, 31, v1
	v_lshlrev_b64 v[1:2], 2, v[1:2]
	s_delay_alu instid0(VALU_DEP_1) | instskip(NEXT) | instid1(VALU_DEP_2)
	v_add_co_u32 v1, vcc_lo, s4, v1
	v_add_co_ci_u32_e32 v2, vcc_lo, s5, v2, vcc_lo
	s_load_b64 s[4:5], s[0:1], 0x30
	global_load_b32 v1, v[1:2], off
	s_waitcnt vmcnt(0)
	v_ashrrev_i32_e32 v2, 31, v1
	s_delay_alu instid0(VALU_DEP_1) | instskip(SKIP_1) | instid1(VALU_DEP_1)
	v_lshlrev_b64 v[1:2], 2, v[1:2]
	s_waitcnt lgkmcnt(0)
	v_add_co_u32 v3, vcc_lo, s4, v1
	s_delay_alu instid0(VALU_DEP_2)
	v_add_co_ci_u32_e32 v4, vcc_lo, s5, v2, vcc_lo
	global_load_b64 v[3:4], v[3:4], off
	s_waitcnt vmcnt(0)
	v_subrev_nc_u32_e32 v6, s8, v4
	v_add_nc_u32_e32 v3, v3, v5
	v_mov_b32_e32 v5, 0
	s_delay_alu instid0(VALU_DEP_2)
	v_cmpx_lt_i32_e64 v3, v6
	s_cbranch_execz .LBB100_10
; %bb.7:
	s_clause 0x1
	s_load_b128 s[4:7], s[0:1], 0x38
	s_load_b64 s[0:1], s[0:1], 0x48
	v_mov_b32_e32 v5, 0
	.p2align	6
.LBB100_8:                              ; =>This Inner Loop Header: Depth=1
	v_ashrrev_i32_e32 v4, 31, v3
	s_delay_alu instid0(VALU_DEP_1) | instskip(SKIP_1) | instid1(VALU_DEP_1)
	v_lshlrev_b64 v[7:8], 2, v[3:4]
	s_waitcnt lgkmcnt(0)
	v_add_co_u32 v7, vcc_lo, s4, v7
	s_delay_alu instid0(VALU_DEP_2)
	v_add_co_ci_u32_e32 v8, vcc_lo, s5, v8, vcc_lo
	global_load_b32 v7, v[7:8], off
	s_waitcnt vmcnt(0)
	v_subrev_nc_u32_e32 v9, s8, v7
	v_add_co_u32 v7, vcc_lo, s6, v3
	v_add_co_ci_u32_e32 v8, vcc_lo, s7, v4, vcc_lo
	s_delay_alu instid0(VALU_DEP_3)
	v_ashrrev_i32_e32 v4, 31, v9
	v_add_nc_u32_e32 v3, 32, v3
	global_load_i8 v10, v[7:8], off
	v_add_co_u32 v7, vcc_lo, s0, v9
	v_add_co_ci_u32_e32 v8, vcc_lo, s1, v4, vcc_lo
	v_cmp_ge_i32_e32 vcc_lo, v3, v6
	global_load_i8 v4, v[7:8], off
	s_or_b32 s15, vcc_lo, s15
	s_waitcnt vmcnt(1)
	v_cvt_f32_i32_e32 v7, v10
	s_delay_alu instid0(VALU_DEP_1) | instskip(SKIP_2) | instid1(VALU_DEP_1)
	v_mul_f32_e32 v7, s10, v7
	s_waitcnt vmcnt(0)
	v_cvt_f32_i32_e32 v4, v4
	v_fmac_f32_e32 v5, v7, v4
	s_and_not1_b32 exec_lo, exec_lo, s15
	s_cbranch_execnz .LBB100_8
; %bb.9:
	s_or_b32 exec_lo, exec_lo, s15
.LBB100_10:
	s_delay_alu instid0(SALU_CYCLE_1) | instskip(SKIP_1) | instid1(VALU_DEP_1)
	s_or_b32 exec_lo, exec_lo, s3
	v_mbcnt_lo_u32_b32 v3, -1, 0
	v_xor_b32_e32 v4, 16, v3
	v_xor_b32_e32 v6, 8, v3
	s_delay_alu instid0(VALU_DEP_2) | instskip(SKIP_1) | instid1(VALU_DEP_3)
	v_cmp_gt_i32_e32 vcc_lo, 32, v4
	v_cndmask_b32_e32 v4, v3, v4, vcc_lo
	v_cmp_gt_i32_e32 vcc_lo, 32, v6
	s_delay_alu instid0(VALU_DEP_2)
	v_lshlrev_b32_e32 v4, 2, v4
	v_cndmask_b32_e32 v6, v3, v6, vcc_lo
	ds_bpermute_b32 v4, v4, v5
	v_lshlrev_b32_e32 v6, 2, v6
	s_waitcnt lgkmcnt(0)
	v_add_f32_e32 v4, v5, v4
	ds_bpermute_b32 v5, v6, v4
	v_xor_b32_e32 v6, 4, v3
	s_delay_alu instid0(VALU_DEP_1) | instskip(SKIP_1) | instid1(VALU_DEP_1)
	v_cmp_gt_i32_e32 vcc_lo, 32, v6
	v_cndmask_b32_e32 v6, v3, v6, vcc_lo
	v_lshlrev_b32_e32 v6, 2, v6
	s_waitcnt lgkmcnt(0)
	v_add_f32_e32 v4, v4, v5
	ds_bpermute_b32 v5, v6, v4
	v_xor_b32_e32 v6, 2, v3
	s_delay_alu instid0(VALU_DEP_1) | instskip(SKIP_1) | instid1(VALU_DEP_1)
	v_cmp_gt_i32_e32 vcc_lo, 32, v6
	v_cndmask_b32_e32 v6, v3, v6, vcc_lo
	v_lshlrev_b32_e32 v6, 2, v6
	s_waitcnt lgkmcnt(0)
	v_add_f32_e32 v4, v4, v5
	ds_bpermute_b32 v5, v6, v4
	v_xor_b32_e32 v6, 1, v3
	s_delay_alu instid0(VALU_DEP_1) | instskip(SKIP_3) | instid1(VALU_DEP_2)
	v_cmp_gt_i32_e32 vcc_lo, 32, v6
	v_cndmask_b32_e32 v6, v3, v6, vcc_lo
	v_cmp_eq_u32_e32 vcc_lo, 31, v0
	s_waitcnt lgkmcnt(0)
	v_dual_add_f32 v3, v4, v5 :: v_dual_lshlrev_b32 v4, 2, v6
	ds_bpermute_b32 v4, v4, v3
	s_and_b32 exec_lo, exec_lo, vcc_lo
	s_cbranch_execz .LBB100_14
; %bb.11:
	v_cmp_eq_f32_e64 s0, s2, 0
	s_waitcnt lgkmcnt(0)
	v_add_f32_e32 v0, v3, v4
	s_delay_alu instid0(VALU_DEP_2)
	s_and_b32 vcc_lo, exec_lo, s0
	s_cbranch_vccnz .LBB100_13
; %bb.12:
	v_add_co_u32 v3, vcc_lo, s12, v1
	v_add_co_ci_u32_e32 v4, vcc_lo, s13, v2, vcc_lo
	global_load_b32 v3, v[3:4], off
	s_waitcnt vmcnt(0)
	v_fmac_f32_e32 v0, s2, v3
.LBB100_13:
	v_add_co_u32 v1, vcc_lo, s12, v1
	v_add_co_ci_u32_e32 v2, vcc_lo, s13, v2, vcc_lo
	global_store_b32 v[1:2], v0, off
.LBB100_14:
	s_nop 0
	s_sendmsg sendmsg(MSG_DEALLOC_VGPRS)
	s_endpgm
	.section	.rodata,"a",@progbits
	.p2align	6, 0x0
	.amdhsa_kernel _ZN9rocsparseL41csrmvn_lrb_medium_rows_warp_reduce_kernelILj256ELj32EiiaaffEEvbT1_lPT2_S3_jNS_24const_host_device_scalarIT6_EEPKS1_PKS2_PKT3_PKT4_S6_PT5_21rocsparse_index_base_b
		.amdhsa_group_segment_fixed_size 0
		.amdhsa_private_segment_fixed_size 0
		.amdhsa_kernarg_size 104
		.amdhsa_user_sgpr_count 15
		.amdhsa_user_sgpr_dispatch_ptr 0
		.amdhsa_user_sgpr_queue_ptr 0
		.amdhsa_user_sgpr_kernarg_segment_ptr 1
		.amdhsa_user_sgpr_dispatch_id 0
		.amdhsa_user_sgpr_private_segment_size 0
		.amdhsa_wavefront_size32 1
		.amdhsa_uses_dynamic_stack 0
		.amdhsa_enable_private_segment 0
		.amdhsa_system_sgpr_workgroup_id_x 1
		.amdhsa_system_sgpr_workgroup_id_y 0
		.amdhsa_system_sgpr_workgroup_id_z 0
		.amdhsa_system_sgpr_workgroup_info 0
		.amdhsa_system_vgpr_workitem_id 0
		.amdhsa_next_free_vgpr 11
		.amdhsa_next_free_sgpr 16
		.amdhsa_reserve_vcc 1
		.amdhsa_float_round_mode_32 0
		.amdhsa_float_round_mode_16_64 0
		.amdhsa_float_denorm_mode_32 3
		.amdhsa_float_denorm_mode_16_64 3
		.amdhsa_dx10_clamp 1
		.amdhsa_ieee_mode 1
		.amdhsa_fp16_overflow 0
		.amdhsa_workgroup_processor_mode 1
		.amdhsa_memory_ordered 1
		.amdhsa_forward_progress 0
		.amdhsa_shared_vgpr_count 0
		.amdhsa_exception_fp_ieee_invalid_op 0
		.amdhsa_exception_fp_denorm_src 0
		.amdhsa_exception_fp_ieee_div_zero 0
		.amdhsa_exception_fp_ieee_overflow 0
		.amdhsa_exception_fp_ieee_underflow 0
		.amdhsa_exception_fp_ieee_inexact 0
		.amdhsa_exception_int_div_zero 0
	.end_amdhsa_kernel
	.section	.text._ZN9rocsparseL41csrmvn_lrb_medium_rows_warp_reduce_kernelILj256ELj32EiiaaffEEvbT1_lPT2_S3_jNS_24const_host_device_scalarIT6_EEPKS1_PKS2_PKT3_PKT4_S6_PT5_21rocsparse_index_base_b,"axG",@progbits,_ZN9rocsparseL41csrmvn_lrb_medium_rows_warp_reduce_kernelILj256ELj32EiiaaffEEvbT1_lPT2_S3_jNS_24const_host_device_scalarIT6_EEPKS1_PKS2_PKT3_PKT4_S6_PT5_21rocsparse_index_base_b,comdat
.Lfunc_end100:
	.size	_ZN9rocsparseL41csrmvn_lrb_medium_rows_warp_reduce_kernelILj256ELj32EiiaaffEEvbT1_lPT2_S3_jNS_24const_host_device_scalarIT6_EEPKS1_PKS2_PKT3_PKT4_S6_PT5_21rocsparse_index_base_b, .Lfunc_end100-_ZN9rocsparseL41csrmvn_lrb_medium_rows_warp_reduce_kernelILj256ELj32EiiaaffEEvbT1_lPT2_S3_jNS_24const_host_device_scalarIT6_EEPKS1_PKS2_PKT3_PKT4_S6_PT5_21rocsparse_index_base_b
                                        ; -- End function
	.section	.AMDGPU.csdata,"",@progbits
; Kernel info:
; codeLenInByte = 840
; NumSgprs: 18
; NumVgprs: 11
; ScratchSize: 0
; MemoryBound: 0
; FloatMode: 240
; IeeeMode: 1
; LDSByteSize: 0 bytes/workgroup (compile time only)
; SGPRBlocks: 2
; VGPRBlocks: 1
; NumSGPRsForWavesPerEU: 18
; NumVGPRsForWavesPerEU: 11
; Occupancy: 16
; WaveLimiterHint : 1
; COMPUTE_PGM_RSRC2:SCRATCH_EN: 0
; COMPUTE_PGM_RSRC2:USER_SGPR: 15
; COMPUTE_PGM_RSRC2:TRAP_HANDLER: 0
; COMPUTE_PGM_RSRC2:TGID_X_EN: 1
; COMPUTE_PGM_RSRC2:TGID_Y_EN: 0
; COMPUTE_PGM_RSRC2:TGID_Z_EN: 0
; COMPUTE_PGM_RSRC2:TIDIG_COMP_CNT: 0
	.section	.text._ZN9rocsparseL41csrmvn_lrb_medium_rows_warp_reduce_kernelILj256ELj64EiiaaffEEvbT1_lPT2_S3_jNS_24const_host_device_scalarIT6_EEPKS1_PKS2_PKT3_PKT4_S6_PT5_21rocsparse_index_base_b,"axG",@progbits,_ZN9rocsparseL41csrmvn_lrb_medium_rows_warp_reduce_kernelILj256ELj64EiiaaffEEvbT1_lPT2_S3_jNS_24const_host_device_scalarIT6_EEPKS1_PKS2_PKT3_PKT4_S6_PT5_21rocsparse_index_base_b,comdat
	.globl	_ZN9rocsparseL41csrmvn_lrb_medium_rows_warp_reduce_kernelILj256ELj64EiiaaffEEvbT1_lPT2_S3_jNS_24const_host_device_scalarIT6_EEPKS1_PKS2_PKT3_PKT4_S6_PT5_21rocsparse_index_base_b ; -- Begin function _ZN9rocsparseL41csrmvn_lrb_medium_rows_warp_reduce_kernelILj256ELj64EiiaaffEEvbT1_lPT2_S3_jNS_24const_host_device_scalarIT6_EEPKS1_PKS2_PKT3_PKT4_S6_PT5_21rocsparse_index_base_b
	.p2align	8
	.type	_ZN9rocsparseL41csrmvn_lrb_medium_rows_warp_reduce_kernelILj256ELj64EiiaaffEEvbT1_lPT2_S3_jNS_24const_host_device_scalarIT6_EEPKS1_PKS2_PKT3_PKT4_S6_PT5_21rocsparse_index_base_b,@function
_ZN9rocsparseL41csrmvn_lrb_medium_rows_warp_reduce_kernelILj256ELj64EiiaaffEEvbT1_lPT2_S3_jNS_24const_host_device_scalarIT6_EEPKS1_PKS2_PKT3_PKT4_S6_PT5_21rocsparse_index_base_b: ; @_ZN9rocsparseL41csrmvn_lrb_medium_rows_warp_reduce_kernelILj256ELj64EiiaaffEEvbT1_lPT2_S3_jNS_24const_host_device_scalarIT6_EEPKS1_PKS2_PKT3_PKT4_S6_PT5_21rocsparse_index_base_b
; %bb.0:
	s_clause 0x2
	s_load_b64 s[8:9], s[0:1], 0x60
	s_load_b64 s[10:11], s[0:1], 0x28
	;; [unrolled: 1-line block ×3, first 2 shown]
	s_waitcnt lgkmcnt(0)
	s_bitcmp1_b32 s9, 0
	s_cselect_b32 s4, -1, 0
	s_delay_alu instid0(SALU_CYCLE_1)
	s_and_b32 vcc_lo, exec_lo, s4
	s_xor_b32 s4, s4, -1
	s_cbranch_vccnz .LBB101_2
; %bb.1:
	s_load_b32 s10, s[10:11], 0x0
.LBB101_2:
	s_and_not1_b32 vcc_lo, exec_lo, s4
	s_cbranch_vccnz .LBB101_4
; %bb.3:
	s_load_b32 s2, s[2:3], 0x0
.LBB101_4:
	s_waitcnt lgkmcnt(0)
	v_cmp_neq_f32_e64 s3, s10, 0
	v_cmp_neq_f32_e64 s4, s2, 1.0
	s_delay_alu instid0(VALU_DEP_1) | instskip(NEXT) | instid1(SALU_CYCLE_1)
	s_or_b32 s3, s3, s4
	s_and_not1_b32 vcc_lo, exec_lo, s3
	s_cbranch_vccnz .LBB101_14
; %bb.5:
	s_load_b64 s[4:5], s[0:1], 0x8
	v_lshrrev_b32_e32 v1, 6, v0
	s_mov_b32 s3, exec_lo
	s_delay_alu instid0(VALU_DEP_1) | instskip(NEXT) | instid1(VALU_DEP_1)
	v_lshl_or_b32 v1, s15, 2, v1
	v_ashrrev_i32_e32 v2, 31, v1
	s_waitcnt lgkmcnt(0)
	s_delay_alu instid0(VALU_DEP_1)
	v_cmpx_gt_i64_e64 s[4:5], v[1:2]
	s_cbranch_execz .LBB101_14
; %bb.6:
	s_clause 0x1
	s_load_b32 s14, s[0:1], 0x20
	s_load_b128 s[4:7], s[0:1], 0x10
	s_mov_b32 s15, 0
	v_and_b32_e32 v0, 63, v0
	s_delay_alu instid0(VALU_DEP_1) | instskip(SKIP_2) | instid1(SALU_CYCLE_1)
	v_subrev_nc_u32_e32 v5, s8, v0
	s_waitcnt lgkmcnt(0)
	s_lshl_b64 s[12:13], s[14:15], 2
	s_add_u32 s6, s6, s12
	s_addc_u32 s7, s7, s13
	s_load_b64 s[12:13], s[0:1], 0x58
	s_load_b32 s3, s[6:7], 0x0
	s_waitcnt lgkmcnt(0)
	v_add_nc_u32_e32 v1, s3, v1
	s_mov_b32 s3, exec_lo
	s_delay_alu instid0(VALU_DEP_1) | instskip(NEXT) | instid1(VALU_DEP_1)
	v_ashrrev_i32_e32 v2, 31, v1
	v_lshlrev_b64 v[1:2], 2, v[1:2]
	s_delay_alu instid0(VALU_DEP_1) | instskip(NEXT) | instid1(VALU_DEP_2)
	v_add_co_u32 v1, vcc_lo, s4, v1
	v_add_co_ci_u32_e32 v2, vcc_lo, s5, v2, vcc_lo
	s_load_b64 s[4:5], s[0:1], 0x30
	global_load_b32 v1, v[1:2], off
	s_waitcnt vmcnt(0)
	v_ashrrev_i32_e32 v2, 31, v1
	s_delay_alu instid0(VALU_DEP_1) | instskip(SKIP_1) | instid1(VALU_DEP_1)
	v_lshlrev_b64 v[1:2], 2, v[1:2]
	s_waitcnt lgkmcnt(0)
	v_add_co_u32 v3, vcc_lo, s4, v1
	s_delay_alu instid0(VALU_DEP_2)
	v_add_co_ci_u32_e32 v4, vcc_lo, s5, v2, vcc_lo
	global_load_b64 v[3:4], v[3:4], off
	s_waitcnt vmcnt(0)
	v_subrev_nc_u32_e32 v6, s8, v4
	v_add_nc_u32_e32 v3, v3, v5
	v_mov_b32_e32 v5, 0
	s_delay_alu instid0(VALU_DEP_2)
	v_cmpx_lt_i32_e64 v3, v6
	s_cbranch_execz .LBB101_10
; %bb.7:
	s_clause 0x1
	s_load_b128 s[4:7], s[0:1], 0x38
	s_load_b64 s[0:1], s[0:1], 0x48
	v_mov_b32_e32 v5, 0
	.p2align	6
.LBB101_8:                              ; =>This Inner Loop Header: Depth=1
	v_ashrrev_i32_e32 v4, 31, v3
	s_delay_alu instid0(VALU_DEP_1) | instskip(SKIP_1) | instid1(VALU_DEP_1)
	v_lshlrev_b64 v[7:8], 2, v[3:4]
	s_waitcnt lgkmcnt(0)
	v_add_co_u32 v7, vcc_lo, s4, v7
	s_delay_alu instid0(VALU_DEP_2)
	v_add_co_ci_u32_e32 v8, vcc_lo, s5, v8, vcc_lo
	global_load_b32 v7, v[7:8], off
	s_waitcnt vmcnt(0)
	v_subrev_nc_u32_e32 v9, s8, v7
	v_add_co_u32 v7, vcc_lo, s6, v3
	v_add_co_ci_u32_e32 v8, vcc_lo, s7, v4, vcc_lo
	s_delay_alu instid0(VALU_DEP_3)
	v_ashrrev_i32_e32 v4, 31, v9
	v_add_nc_u32_e32 v3, 64, v3
	global_load_i8 v10, v[7:8], off
	v_add_co_u32 v7, vcc_lo, s0, v9
	v_add_co_ci_u32_e32 v8, vcc_lo, s1, v4, vcc_lo
	v_cmp_ge_i32_e32 vcc_lo, v3, v6
	global_load_i8 v4, v[7:8], off
	s_or_b32 s15, vcc_lo, s15
	s_waitcnt vmcnt(1)
	v_cvt_f32_i32_e32 v7, v10
	s_delay_alu instid0(VALU_DEP_1) | instskip(SKIP_2) | instid1(VALU_DEP_1)
	v_mul_f32_e32 v7, s10, v7
	s_waitcnt vmcnt(0)
	v_cvt_f32_i32_e32 v4, v4
	v_fmac_f32_e32 v5, v7, v4
	s_and_not1_b32 exec_lo, exec_lo, s15
	s_cbranch_execnz .LBB101_8
; %bb.9:
	s_or_b32 exec_lo, exec_lo, s15
.LBB101_10:
	s_delay_alu instid0(SALU_CYCLE_1) | instskip(SKIP_1) | instid1(VALU_DEP_1)
	s_or_b32 exec_lo, exec_lo, s3
	v_mbcnt_lo_u32_b32 v3, -1, 0
	v_or_b32_e32 v4, 32, v3
	v_xor_b32_e32 v6, 16, v3
	s_delay_alu instid0(VALU_DEP_2) | instskip(SKIP_1) | instid1(VALU_DEP_3)
	v_cmp_gt_i32_e32 vcc_lo, 32, v4
	v_cndmask_b32_e32 v4, v3, v4, vcc_lo
	v_cmp_gt_i32_e32 vcc_lo, 32, v6
	s_delay_alu instid0(VALU_DEP_2)
	v_lshlrev_b32_e32 v4, 2, v4
	v_cndmask_b32_e32 v6, v3, v6, vcc_lo
	ds_bpermute_b32 v4, v4, v5
	v_lshlrev_b32_e32 v6, 2, v6
	s_waitcnt lgkmcnt(0)
	v_add_f32_e32 v4, v5, v4
	ds_bpermute_b32 v5, v6, v4
	v_xor_b32_e32 v6, 8, v3
	s_delay_alu instid0(VALU_DEP_1) | instskip(SKIP_1) | instid1(VALU_DEP_1)
	v_cmp_gt_i32_e32 vcc_lo, 32, v6
	v_cndmask_b32_e32 v6, v3, v6, vcc_lo
	v_lshlrev_b32_e32 v6, 2, v6
	s_waitcnt lgkmcnt(0)
	v_add_f32_e32 v4, v4, v5
	ds_bpermute_b32 v5, v6, v4
	v_xor_b32_e32 v6, 4, v3
	s_delay_alu instid0(VALU_DEP_1) | instskip(SKIP_1) | instid1(VALU_DEP_1)
	v_cmp_gt_i32_e32 vcc_lo, 32, v6
	v_cndmask_b32_e32 v6, v3, v6, vcc_lo
	;; [unrolled: 8-line block ×3, first 2 shown]
	v_lshlrev_b32_e32 v6, 2, v6
	s_waitcnt lgkmcnt(0)
	v_add_f32_e32 v4, v4, v5
	ds_bpermute_b32 v5, v6, v4
	v_xor_b32_e32 v6, 1, v3
	s_delay_alu instid0(VALU_DEP_1) | instskip(SKIP_3) | instid1(VALU_DEP_2)
	v_cmp_gt_i32_e32 vcc_lo, 32, v6
	v_cndmask_b32_e32 v6, v3, v6, vcc_lo
	v_cmp_eq_u32_e32 vcc_lo, 63, v0
	s_waitcnt lgkmcnt(0)
	v_dual_add_f32 v3, v4, v5 :: v_dual_lshlrev_b32 v4, 2, v6
	ds_bpermute_b32 v4, v4, v3
	s_and_b32 exec_lo, exec_lo, vcc_lo
	s_cbranch_execz .LBB101_14
; %bb.11:
	v_cmp_eq_f32_e64 s0, s2, 0
	s_waitcnt lgkmcnt(0)
	v_add_f32_e32 v0, v3, v4
	s_delay_alu instid0(VALU_DEP_2)
	s_and_b32 vcc_lo, exec_lo, s0
	s_cbranch_vccnz .LBB101_13
; %bb.12:
	v_add_co_u32 v3, vcc_lo, s12, v1
	v_add_co_ci_u32_e32 v4, vcc_lo, s13, v2, vcc_lo
	global_load_b32 v3, v[3:4], off
	s_waitcnt vmcnt(0)
	v_fmac_f32_e32 v0, s2, v3
.LBB101_13:
	v_add_co_u32 v1, vcc_lo, s12, v1
	v_add_co_ci_u32_e32 v2, vcc_lo, s13, v2, vcc_lo
	global_store_b32 v[1:2], v0, off
.LBB101_14:
	s_nop 0
	s_sendmsg sendmsg(MSG_DEALLOC_VGPRS)
	s_endpgm
	.section	.rodata,"a",@progbits
	.p2align	6, 0x0
	.amdhsa_kernel _ZN9rocsparseL41csrmvn_lrb_medium_rows_warp_reduce_kernelILj256ELj64EiiaaffEEvbT1_lPT2_S3_jNS_24const_host_device_scalarIT6_EEPKS1_PKS2_PKT3_PKT4_S6_PT5_21rocsparse_index_base_b
		.amdhsa_group_segment_fixed_size 0
		.amdhsa_private_segment_fixed_size 0
		.amdhsa_kernarg_size 104
		.amdhsa_user_sgpr_count 15
		.amdhsa_user_sgpr_dispatch_ptr 0
		.amdhsa_user_sgpr_queue_ptr 0
		.amdhsa_user_sgpr_kernarg_segment_ptr 1
		.amdhsa_user_sgpr_dispatch_id 0
		.amdhsa_user_sgpr_private_segment_size 0
		.amdhsa_wavefront_size32 1
		.amdhsa_uses_dynamic_stack 0
		.amdhsa_enable_private_segment 0
		.amdhsa_system_sgpr_workgroup_id_x 1
		.amdhsa_system_sgpr_workgroup_id_y 0
		.amdhsa_system_sgpr_workgroup_id_z 0
		.amdhsa_system_sgpr_workgroup_info 0
		.amdhsa_system_vgpr_workitem_id 0
		.amdhsa_next_free_vgpr 11
		.amdhsa_next_free_sgpr 16
		.amdhsa_reserve_vcc 1
		.amdhsa_float_round_mode_32 0
		.amdhsa_float_round_mode_16_64 0
		.amdhsa_float_denorm_mode_32 3
		.amdhsa_float_denorm_mode_16_64 3
		.amdhsa_dx10_clamp 1
		.amdhsa_ieee_mode 1
		.amdhsa_fp16_overflow 0
		.amdhsa_workgroup_processor_mode 1
		.amdhsa_memory_ordered 1
		.amdhsa_forward_progress 0
		.amdhsa_shared_vgpr_count 0
		.amdhsa_exception_fp_ieee_invalid_op 0
		.amdhsa_exception_fp_denorm_src 0
		.amdhsa_exception_fp_ieee_div_zero 0
		.amdhsa_exception_fp_ieee_overflow 0
		.amdhsa_exception_fp_ieee_underflow 0
		.amdhsa_exception_fp_ieee_inexact 0
		.amdhsa_exception_int_div_zero 0
	.end_amdhsa_kernel
	.section	.text._ZN9rocsparseL41csrmvn_lrb_medium_rows_warp_reduce_kernelILj256ELj64EiiaaffEEvbT1_lPT2_S3_jNS_24const_host_device_scalarIT6_EEPKS1_PKS2_PKT3_PKT4_S6_PT5_21rocsparse_index_base_b,"axG",@progbits,_ZN9rocsparseL41csrmvn_lrb_medium_rows_warp_reduce_kernelILj256ELj64EiiaaffEEvbT1_lPT2_S3_jNS_24const_host_device_scalarIT6_EEPKS1_PKS2_PKT3_PKT4_S6_PT5_21rocsparse_index_base_b,comdat
.Lfunc_end101:
	.size	_ZN9rocsparseL41csrmvn_lrb_medium_rows_warp_reduce_kernelILj256ELj64EiiaaffEEvbT1_lPT2_S3_jNS_24const_host_device_scalarIT6_EEPKS1_PKS2_PKT3_PKT4_S6_PT5_21rocsparse_index_base_b, .Lfunc_end101-_ZN9rocsparseL41csrmvn_lrb_medium_rows_warp_reduce_kernelILj256ELj64EiiaaffEEvbT1_lPT2_S3_jNS_24const_host_device_scalarIT6_EEPKS1_PKS2_PKT3_PKT4_S6_PT5_21rocsparse_index_base_b
                                        ; -- End function
	.section	.AMDGPU.csdata,"",@progbits
; Kernel info:
; codeLenInByte = 876
; NumSgprs: 18
; NumVgprs: 11
; ScratchSize: 0
; MemoryBound: 0
; FloatMode: 240
; IeeeMode: 1
; LDSByteSize: 0 bytes/workgroup (compile time only)
; SGPRBlocks: 2
; VGPRBlocks: 1
; NumSGPRsForWavesPerEU: 18
; NumVGPRsForWavesPerEU: 11
; Occupancy: 16
; WaveLimiterHint : 1
; COMPUTE_PGM_RSRC2:SCRATCH_EN: 0
; COMPUTE_PGM_RSRC2:USER_SGPR: 15
; COMPUTE_PGM_RSRC2:TRAP_HANDLER: 0
; COMPUTE_PGM_RSRC2:TGID_X_EN: 1
; COMPUTE_PGM_RSRC2:TGID_Y_EN: 0
; COMPUTE_PGM_RSRC2:TGID_Z_EN: 0
; COMPUTE_PGM_RSRC2:TIDIG_COMP_CNT: 0
	.section	.text._ZN9rocsparseL29csrmvn_lrb_medium_rows_kernelILj256EiiaaffEEvbT0_PT1_S3_jNS_24const_host_device_scalarIT5_EEPKS1_PKS2_PKT2_PKT3_S6_PT4_21rocsparse_index_base_b,"axG",@progbits,_ZN9rocsparseL29csrmvn_lrb_medium_rows_kernelILj256EiiaaffEEvbT0_PT1_S3_jNS_24const_host_device_scalarIT5_EEPKS1_PKS2_PKT2_PKT3_S6_PT4_21rocsparse_index_base_b,comdat
	.globl	_ZN9rocsparseL29csrmvn_lrb_medium_rows_kernelILj256EiiaaffEEvbT0_PT1_S3_jNS_24const_host_device_scalarIT5_EEPKS1_PKS2_PKT2_PKT3_S6_PT4_21rocsparse_index_base_b ; -- Begin function _ZN9rocsparseL29csrmvn_lrb_medium_rows_kernelILj256EiiaaffEEvbT0_PT1_S3_jNS_24const_host_device_scalarIT5_EEPKS1_PKS2_PKT2_PKT3_S6_PT4_21rocsparse_index_base_b
	.p2align	8
	.type	_ZN9rocsparseL29csrmvn_lrb_medium_rows_kernelILj256EiiaaffEEvbT0_PT1_S3_jNS_24const_host_device_scalarIT5_EEPKS1_PKS2_PKT2_PKT3_S6_PT4_21rocsparse_index_base_b,@function
_ZN9rocsparseL29csrmvn_lrb_medium_rows_kernelILj256EiiaaffEEvbT0_PT1_S3_jNS_24const_host_device_scalarIT5_EEPKS1_PKS2_PKT2_PKT3_S6_PT4_21rocsparse_index_base_b: ; @_ZN9rocsparseL29csrmvn_lrb_medium_rows_kernelILj256EiiaaffEEvbT0_PT1_S3_jNS_24const_host_device_scalarIT5_EEPKS1_PKS2_PKT2_PKT3_S6_PT4_21rocsparse_index_base_b
; %bb.0:
	s_clause 0x2
	s_load_b64 s[12:13], s[0:1], 0x58
	s_load_b64 s[16:17], s[0:1], 0x20
	;; [unrolled: 1-line block ×3, first 2 shown]
	s_waitcnt lgkmcnt(0)
	s_bitcmp1_b32 s13, 0
	s_cselect_b32 s4, -1, 0
	s_delay_alu instid0(SALU_CYCLE_1)
	s_and_b32 vcc_lo, exec_lo, s4
	s_xor_b32 s4, s4, -1
	s_cbranch_vccnz .LBB102_2
; %bb.1:
	s_load_b32 s16, s[16:17], 0x0
.LBB102_2:
	s_and_not1_b32 vcc_lo, exec_lo, s4
	s_cbranch_vccnz .LBB102_4
; %bb.3:
	s_load_b32 s2, s[2:3], 0x0
.LBB102_4:
	s_waitcnt lgkmcnt(0)
	v_cmp_neq_f32_e64 s3, s16, 0
	v_cmp_neq_f32_e64 s4, s2, 1.0
	s_mov_b32 s5, 0
	s_delay_alu instid0(VALU_DEP_1) | instskip(NEXT) | instid1(SALU_CYCLE_1)
	s_or_b32 s3, s3, s4
	s_and_not1_b32 vcc_lo, exec_lo, s3
	s_cbranch_vccnz .LBB102_29
; %bb.5:
	s_clause 0x1
	s_load_b32 s4, s[0:1], 0x18
	s_load_b128 s[8:11], s[0:1], 0x8
	v_subrev_nc_u32_e32 v1, s12, v0
	v_mov_b32_e32 v3, 0
	s_waitcnt lgkmcnt(0)
	s_lshl_b64 s[4:5], s[4:5], 2
	s_delay_alu instid0(SALU_CYCLE_1)
	s_add_u32 s4, s10, s4
	s_addc_u32 s5, s11, s5
	s_load_b32 s3, s[4:5], 0x0
	s_waitcnt lgkmcnt(0)
	s_add_i32 s4, s3, s15
	s_mov_b32 s3, exec_lo
	s_ashr_i32 s5, s4, 31
	s_delay_alu instid0(SALU_CYCLE_1) | instskip(NEXT) | instid1(SALU_CYCLE_1)
	s_lshl_b64 s[4:5], s[4:5], 2
	s_add_u32 s4, s8, s4
	s_addc_u32 s5, s9, s5
	s_load_b32 s4, s[4:5], 0x0
	s_load_b64 s[6:7], s[0:1], 0x28
	s_waitcnt lgkmcnt(0)
	s_ashr_i32 s5, s4, 31
	s_delay_alu instid0(SALU_CYCLE_1) | instskip(NEXT) | instid1(SALU_CYCLE_1)
	s_lshl_b64 s[8:9], s[4:5], 2
	s_add_u32 s4, s6, s8
	s_addc_u32 s5, s7, s9
	s_load_b64 s[4:5], s[4:5], 0x0
	s_load_b64 s[10:11], s[0:1], 0x50
	s_waitcnt lgkmcnt(0)
	v_add_nc_u32_e32 v1, s4, v1
	s_sub_i32 s13, s5, s12
	s_delay_alu instid0(VALU_DEP_1) | instid1(SALU_CYCLE_1)
	v_cmpx_gt_i32_e64 s13, v1
	s_cbranch_execz .LBB102_9
; %bb.6:
	s_clause 0x1
	s_load_b128 s[4:7], s[0:1], 0x30
	s_load_b64 s[0:1], s[0:1], 0x40
	v_mov_b32_e32 v3, 0
	s_mov_b32 s14, 0
	.p2align	6
.LBB102_7:                              ; =>This Inner Loop Header: Depth=1
	v_ashrrev_i32_e32 v2, 31, v1
	s_delay_alu instid0(VALU_DEP_1) | instskip(SKIP_1) | instid1(VALU_DEP_1)
	v_lshlrev_b64 v[4:5], 2, v[1:2]
	s_waitcnt lgkmcnt(0)
	v_add_co_u32 v4, vcc_lo, s4, v4
	s_delay_alu instid0(VALU_DEP_2)
	v_add_co_ci_u32_e32 v5, vcc_lo, s5, v5, vcc_lo
	global_load_b32 v4, v[4:5], off
	s_waitcnt vmcnt(0)
	v_subrev_nc_u32_e32 v6, s12, v4
	v_add_co_u32 v4, vcc_lo, s6, v1
	v_add_co_ci_u32_e32 v5, vcc_lo, s7, v2, vcc_lo
	s_delay_alu instid0(VALU_DEP_3)
	v_ashrrev_i32_e32 v2, 31, v6
	global_load_i8 v7, v[4:5], off
	v_add_co_u32 v4, vcc_lo, s0, v6
	v_add_co_ci_u32_e32 v5, vcc_lo, s1, v2, vcc_lo
	global_load_i8 v2, v[4:5], off
	s_waitcnt vmcnt(1)
	v_cvt_f32_i32_e32 v4, v7
	s_delay_alu instid0(VALU_DEP_1) | instskip(NEXT) | instid1(VALU_DEP_1)
	v_dual_mul_f32 v4, s16, v4 :: v_dual_add_nc_u32 v1, 0x100, v1
	v_cmp_le_i32_e32 vcc_lo, s13, v1
	s_waitcnt vmcnt(0)
	v_cvt_f32_i32_e32 v2, v2
	s_or_b32 s14, vcc_lo, s14
	s_delay_alu instid0(VALU_DEP_1)
	v_fmac_f32_e32 v3, v4, v2
	s_and_not1_b32 exec_lo, exec_lo, s14
	s_cbranch_execnz .LBB102_7
; %bb.8:
	s_or_b32 exec_lo, exec_lo, s14
.LBB102_9:
	s_delay_alu instid0(SALU_CYCLE_1)
	s_or_b32 exec_lo, exec_lo, s3
	v_lshlrev_b32_e32 v1, 2, v0
	s_mov_b32 s0, exec_lo
	ds_store_b32 v1, v3
	s_waitcnt lgkmcnt(0)
	s_barrier
	buffer_gl0_inv
	v_cmpx_gt_u32_e32 0x80, v0
	s_cbranch_execz .LBB102_11
; %bb.10:
	ds_load_2addr_stride64_b32 v[2:3], v1 offset1:2
	s_waitcnt lgkmcnt(0)
	v_add_f32_e32 v2, v2, v3
	ds_store_b32 v1, v2
.LBB102_11:
	s_or_b32 exec_lo, exec_lo, s0
	s_delay_alu instid0(SALU_CYCLE_1)
	s_mov_b32 s0, exec_lo
	s_waitcnt lgkmcnt(0)
	s_barrier
	buffer_gl0_inv
	v_cmpx_gt_u32_e32 64, v0
	s_cbranch_execz .LBB102_13
; %bb.12:
	ds_load_2addr_stride64_b32 v[2:3], v1 offset1:1
	s_waitcnt lgkmcnt(0)
	v_add_f32_e32 v2, v2, v3
	ds_store_b32 v1, v2
.LBB102_13:
	s_or_b32 exec_lo, exec_lo, s0
	s_delay_alu instid0(SALU_CYCLE_1)
	s_mov_b32 s0, exec_lo
	s_waitcnt lgkmcnt(0)
	s_barrier
	buffer_gl0_inv
	v_cmpx_gt_u32_e32 32, v0
	s_cbranch_execz .LBB102_15
; %bb.14:
	ds_load_2addr_b32 v[2:3], v1 offset1:32
	s_waitcnt lgkmcnt(0)
	v_add_f32_e32 v2, v2, v3
	ds_store_b32 v1, v2
.LBB102_15:
	s_or_b32 exec_lo, exec_lo, s0
	s_delay_alu instid0(SALU_CYCLE_1)
	s_mov_b32 s0, exec_lo
	s_waitcnt lgkmcnt(0)
	s_barrier
	buffer_gl0_inv
	v_cmpx_gt_u32_e32 16, v0
	s_cbranch_execz .LBB102_17
; %bb.16:
	ds_load_2addr_b32 v[2:3], v1 offset1:16
	s_waitcnt lgkmcnt(0)
	v_add_f32_e32 v2, v2, v3
	ds_store_b32 v1, v2
.LBB102_17:
	;; [unrolled: 14-line block ×5, first 2 shown]
	s_or_b32 exec_lo, exec_lo, s0
	v_cmp_eq_u32_e32 vcc_lo, 0, v0
	s_waitcnt lgkmcnt(0)
	s_barrier
	buffer_gl0_inv
	s_and_saveexec_b32 s0, vcc_lo
	s_cbranch_execz .LBB102_25
; %bb.24:
	v_mov_b32_e32 v2, 0
	ds_load_b64 v[0:1], v2
	s_waitcnt lgkmcnt(0)
	v_add_f32_e32 v0, v0, v1
	ds_store_b32 v2, v0
.LBB102_25:
	s_or_b32 exec_lo, exec_lo, s0
	s_waitcnt lgkmcnt(0)
	s_barrier
	buffer_gl0_inv
	s_and_saveexec_b32 s0, vcc_lo
	s_cbranch_execz .LBB102_29
; %bb.26:
	v_mov_b32_e32 v0, 0
	v_cmp_eq_f32_e64 s0, s2, 0
	ds_load_b32 v1, v0
	s_and_b32 vcc_lo, exec_lo, s0
	s_cbranch_vccnz .LBB102_28
; %bb.27:
	s_add_u32 s0, s10, s8
	s_addc_u32 s1, s11, s9
	s_load_b32 s0, s[0:1], 0x0
	s_waitcnt lgkmcnt(0)
	v_fmac_f32_e64 v1, s2, s0
.LBB102_28:
	s_add_u32 s0, s10, s8
	s_addc_u32 s1, s11, s9
	s_waitcnt lgkmcnt(0)
	global_store_b32 v0, v1, s[0:1]
.LBB102_29:
	s_nop 0
	s_sendmsg sendmsg(MSG_DEALLOC_VGPRS)
	s_endpgm
	.section	.rodata,"a",@progbits
	.p2align	6, 0x0
	.amdhsa_kernel _ZN9rocsparseL29csrmvn_lrb_medium_rows_kernelILj256EiiaaffEEvbT0_PT1_S3_jNS_24const_host_device_scalarIT5_EEPKS1_PKS2_PKT2_PKT3_S6_PT4_21rocsparse_index_base_b
		.amdhsa_group_segment_fixed_size 1024
		.amdhsa_private_segment_fixed_size 0
		.amdhsa_kernarg_size 96
		.amdhsa_user_sgpr_count 15
		.amdhsa_user_sgpr_dispatch_ptr 0
		.amdhsa_user_sgpr_queue_ptr 0
		.amdhsa_user_sgpr_kernarg_segment_ptr 1
		.amdhsa_user_sgpr_dispatch_id 0
		.amdhsa_user_sgpr_private_segment_size 0
		.amdhsa_wavefront_size32 1
		.amdhsa_uses_dynamic_stack 0
		.amdhsa_enable_private_segment 0
		.amdhsa_system_sgpr_workgroup_id_x 1
		.amdhsa_system_sgpr_workgroup_id_y 0
		.amdhsa_system_sgpr_workgroup_id_z 0
		.amdhsa_system_sgpr_workgroup_info 0
		.amdhsa_system_vgpr_workitem_id 0
		.amdhsa_next_free_vgpr 8
		.amdhsa_next_free_sgpr 18
		.amdhsa_reserve_vcc 1
		.amdhsa_float_round_mode_32 0
		.amdhsa_float_round_mode_16_64 0
		.amdhsa_float_denorm_mode_32 3
		.amdhsa_float_denorm_mode_16_64 3
		.amdhsa_dx10_clamp 1
		.amdhsa_ieee_mode 1
		.amdhsa_fp16_overflow 0
		.amdhsa_workgroup_processor_mode 1
		.amdhsa_memory_ordered 1
		.amdhsa_forward_progress 0
		.amdhsa_shared_vgpr_count 0
		.amdhsa_exception_fp_ieee_invalid_op 0
		.amdhsa_exception_fp_denorm_src 0
		.amdhsa_exception_fp_ieee_div_zero 0
		.amdhsa_exception_fp_ieee_overflow 0
		.amdhsa_exception_fp_ieee_underflow 0
		.amdhsa_exception_fp_ieee_inexact 0
		.amdhsa_exception_int_div_zero 0
	.end_amdhsa_kernel
	.section	.text._ZN9rocsparseL29csrmvn_lrb_medium_rows_kernelILj256EiiaaffEEvbT0_PT1_S3_jNS_24const_host_device_scalarIT5_EEPKS1_PKS2_PKT2_PKT3_S6_PT4_21rocsparse_index_base_b,"axG",@progbits,_ZN9rocsparseL29csrmvn_lrb_medium_rows_kernelILj256EiiaaffEEvbT0_PT1_S3_jNS_24const_host_device_scalarIT5_EEPKS1_PKS2_PKT2_PKT3_S6_PT4_21rocsparse_index_base_b,comdat
.Lfunc_end102:
	.size	_ZN9rocsparseL29csrmvn_lrb_medium_rows_kernelILj256EiiaaffEEvbT0_PT1_S3_jNS_24const_host_device_scalarIT5_EEPKS1_PKS2_PKT2_PKT3_S6_PT4_21rocsparse_index_base_b, .Lfunc_end102-_ZN9rocsparseL29csrmvn_lrb_medium_rows_kernelILj256EiiaaffEEvbT0_PT1_S3_jNS_24const_host_device_scalarIT5_EEPKS1_PKS2_PKT2_PKT3_S6_PT4_21rocsparse_index_base_b
                                        ; -- End function
	.section	.AMDGPU.csdata,"",@progbits
; Kernel info:
; codeLenInByte = 1092
; NumSgprs: 20
; NumVgprs: 8
; ScratchSize: 0
; MemoryBound: 0
; FloatMode: 240
; IeeeMode: 1
; LDSByteSize: 1024 bytes/workgroup (compile time only)
; SGPRBlocks: 2
; VGPRBlocks: 0
; NumSGPRsForWavesPerEU: 20
; NumVGPRsForWavesPerEU: 8
; Occupancy: 16
; WaveLimiterHint : 1
; COMPUTE_PGM_RSRC2:SCRATCH_EN: 0
; COMPUTE_PGM_RSRC2:USER_SGPR: 15
; COMPUTE_PGM_RSRC2:TRAP_HANDLER: 0
; COMPUTE_PGM_RSRC2:TGID_X_EN: 1
; COMPUTE_PGM_RSRC2:TGID_Y_EN: 0
; COMPUTE_PGM_RSRC2:TGID_Z_EN: 0
; COMPUTE_PGM_RSRC2:TIDIG_COMP_CNT: 0
	.section	.text._ZN9rocsparseL27csrmvn_lrb_long_rows_kernelIiiaaffEEvbT_PjPT0_S4_jNS_24const_host_device_scalarIT4_EEPKS1_PKS3_PKT1_PKT2_S7_PT3_21rocsparse_index_base_b,"axG",@progbits,_ZN9rocsparseL27csrmvn_lrb_long_rows_kernelIiiaaffEEvbT_PjPT0_S4_jNS_24const_host_device_scalarIT4_EEPKS1_PKS3_PKT1_PKT2_S7_PT3_21rocsparse_index_base_b,comdat
	.globl	_ZN9rocsparseL27csrmvn_lrb_long_rows_kernelIiiaaffEEvbT_PjPT0_S4_jNS_24const_host_device_scalarIT4_EEPKS1_PKS3_PKT1_PKT2_S7_PT3_21rocsparse_index_base_b ; -- Begin function _ZN9rocsparseL27csrmvn_lrb_long_rows_kernelIiiaaffEEvbT_PjPT0_S4_jNS_24const_host_device_scalarIT4_EEPKS1_PKS3_PKT1_PKT2_S7_PT3_21rocsparse_index_base_b
	.p2align	8
	.type	_ZN9rocsparseL27csrmvn_lrb_long_rows_kernelIiiaaffEEvbT_PjPT0_S4_jNS_24const_host_device_scalarIT4_EEPKS1_PKS3_PKT1_PKT2_S7_PT3_21rocsparse_index_base_b,@function
_ZN9rocsparseL27csrmvn_lrb_long_rows_kernelIiiaaffEEvbT_PjPT0_S4_jNS_24const_host_device_scalarIT4_EEPKS1_PKS3_PKT1_PKT2_S7_PT3_21rocsparse_index_base_b: ; @_ZN9rocsparseL27csrmvn_lrb_long_rows_kernelIiiaaffEEvbT_PjPT0_S4_jNS_24const_host_device_scalarIT4_EEPKS1_PKS3_PKT1_PKT2_S7_PT3_21rocsparse_index_base_b
; %bb.0:
	s_mov_b32 s8, s15
	s_clause 0x2
	s_load_b64 s[14:15], s[0:1], 0x60
	s_load_b64 s[16:17], s[0:1], 0x28
	;; [unrolled: 1-line block ×3, first 2 shown]
	s_waitcnt lgkmcnt(0)
	s_bitcmp1_b32 s15, 0
	s_cselect_b32 s4, -1, 0
	s_delay_alu instid0(SALU_CYCLE_1)
	s_and_b32 vcc_lo, exec_lo, s4
	s_xor_b32 s4, s4, -1
	s_cbranch_vccnz .LBB103_2
; %bb.1:
	s_load_b32 s16, s[16:17], 0x0
.LBB103_2:
	s_and_not1_b32 vcc_lo, exec_lo, s4
	s_cbranch_vccnz .LBB103_4
; %bb.3:
	s_load_b32 s2, s[2:3], 0x0
.LBB103_4:
	s_waitcnt lgkmcnt(0)
	v_cmp_neq_f32_e64 s3, s16, 0
	v_cmp_neq_f32_e64 s4, s2, 1.0
	s_mov_b32 s5, 0
	s_delay_alu instid0(VALU_DEP_1) | instskip(NEXT) | instid1(SALU_CYCLE_1)
	s_or_b32 s3, s3, s4
	s_and_not1_b32 vcc_lo, exec_lo, s3
	s_cbranch_vccnz .LBB103_39
; %bb.5:
	s_clause 0x1
	s_load_b32 s4, s[0:1], 0x20
	s_load_b64 s[6:7], s[0:1], 0x18
	v_mov_b32_e32 v3, 0
	s_waitcnt lgkmcnt(0)
	s_lshl_b64 s[10:11], s[4:5], 2
	s_delay_alu instid0(SALU_CYCLE_1) | instskip(SKIP_4) | instid1(SALU_CYCLE_1)
	s_add_u32 s6, s6, s10
	s_addc_u32 s7, s7, s11
	s_lshl_b32 s3, -1, s4
	s_load_b32 s10, s[6:7], 0x0
	s_not_b32 s3, s3
	s_mul_hi_u32 s3, s3, 0x2aaaaaab
	s_delay_alu instid0(SALU_CYCLE_1) | instskip(NEXT) | instid1(SALU_CYCLE_1)
	s_lshr_b32 s3, s3, 7
	s_add_i32 s9, s3, 1
	s_not_b32 s3, s3
	v_cvt_f32_u32_e32 v1, s9
	s_delay_alu instid0(VALU_DEP_1) | instskip(SKIP_2) | instid1(VALU_DEP_1)
	v_rcp_iflag_f32_e32 v1, v1
	s_waitcnt_depctr 0xfff
	v_mul_f32_e32 v1, 0x4f7ffffe, v1
	v_cvt_u32_f32_e32 v1, v1
	s_delay_alu instid0(VALU_DEP_1) | instskip(NEXT) | instid1(VALU_DEP_1)
	v_readfirstlane_b32 s4, v1
	s_mul_i32 s3, s3, s4
	s_delay_alu instid0(SALU_CYCLE_1) | instskip(NEXT) | instid1(SALU_CYCLE_1)
	s_mul_hi_u32 s3, s4, s3
	s_add_i32 s4, s4, s3
	s_delay_alu instid0(SALU_CYCLE_1) | instskip(SKIP_4) | instid1(SALU_CYCLE_1)
	s_mul_hi_u32 s3, s8, s4
	s_load_b128 s[4:7], s[0:1], 0x8
	s_mul_i32 s11, s3, s9
	s_add_i32 s12, s3, 1
	s_sub_i32 s11, s8, s11
	s_sub_i32 s13, s11, s9
	s_cmp_ge_u32 s11, s9
	s_cselect_b32 s3, s12, s3
	s_cselect_b32 s11, s13, s11
	s_add_i32 s12, s3, 1
	s_cmp_ge_u32 s11, s9
	s_cselect_b32 s3, s12, s3
	s_waitcnt lgkmcnt(0)
	s_add_i32 s10, s3, s10
	s_mul_i32 s12, s3, s9
	s_ashr_i32 s11, s10, 31
	s_sub_i32 s17, s8, s12
	s_lshl_b64 s[10:11], s[10:11], 2
	v_or_b32_e32 v1, s17, v0
	s_add_u32 s6, s6, s10
	s_addc_u32 s7, s7, s11
	s_load_b32 s6, s[6:7], 0x0
	s_load_b64 s[10:11], s[0:1], 0x30
	s_mov_b32 s3, exec_lo
	s_waitcnt lgkmcnt(0)
	s_ashr_i32 s7, s6, 31
	s_delay_alu instid0(SALU_CYCLE_1) | instskip(NEXT) | instid1(SALU_CYCLE_1)
	s_lshl_b64 s[6:7], s[6:7], 2
	s_add_u32 s18, s10, s6
	s_addc_u32 s19, s11, s7
	s_ashr_i32 s9, s8, 31
	s_delay_alu instid0(SALU_CYCLE_1)
	s_lshl_b64 s[10:11], s[8:9], 2
	s_load_b64 s[8:9], s[0:1], 0x58
	s_add_u32 s10, s4, s10
	s_addc_u32 s11, s5, s11
	s_load_b64 s[18:19], s[18:19], 0x0
	s_load_b32 s15, s[10:11], 0x0
	v_cmpx_eq_u32_e32 0, v1
	s_cbranch_execz .LBB103_9
; %bb.6:
	s_waitcnt lgkmcnt(0)
	s_add_u32 s22, s8, s6
	s_addc_u32 s23, s9, s7
	s_mov_b32 s21, exec_lo
	s_load_b32 s20, s[22:23], 0x0
	v_mbcnt_lo_u32_b32 v2, s21, 0
	v_add_f32_e64 v1, s2, -1.0
	s_mov_b32 s2, exec_lo
	s_waitcnt vmcnt(0) expcnt(0) lgkmcnt(0)
	s_delay_alu instid0(VALU_DEP_2)
	v_cmpx_eq_u32_e32 0, v2
	s_cbranch_execz .LBB103_8
; %bb.7:
	s_ashr_i32 s13, s12, 31
	s_delay_alu instid0(SALU_CYCLE_1) | instskip(NEXT) | instid1(SALU_CYCLE_1)
	s_lshl_b64 s[22:23], s[12:13], 2
	s_add_u32 s22, s4, s22
	s_addc_u32 s23, s5, s23
	s_bcnt1_i32_b32 s13, s21
	s_delay_alu instid0(SALU_CYCLE_1) | instskip(NEXT) | instid1(SALU_CYCLE_1)
	s_and_b32 s13, s13, 1
	v_dual_mov_b32 v2, 0 :: v_dual_mov_b32 v3, s13
	global_atomic_xor_b32 v2, v3, s[22:23]
.LBB103_8:
	s_or_b32 exec_lo, exec_lo, s2
	v_mul_f32_e32 v3, s20, v1
.LBB103_9:
	s_or_b32 exec_lo, exec_lo, s3
	s_mul_i32 s2, s17, 0x300
	s_waitcnt lgkmcnt(0)
	s_sub_i32 s3, s19, s14
	s_sub_i32 s2, s2, s14
	s_mov_b32 s13, exec_lo
	s_add_i32 s2, s2, s18
	s_delay_alu instid0(SALU_CYCLE_1) | instskip(SKIP_1) | instid1(SALU_CYCLE_1)
	v_add_nc_u32_e32 v1, s2, v0
	s_addk_i32 s2, 0x300
	s_min_i32 s20, s2, s3
	s_delay_alu instid0(VALU_DEP_1) | instid1(SALU_CYCLE_1)
	v_cmpx_gt_i32_e64 s20, v1
	s_cbranch_execz .LBB103_13
; %bb.10:
	s_clause 0x1
	s_load_b64 s[18:19], s[0:1], 0x48
	s_load_b128 s[0:3], s[0:1], 0x38
	s_mov_b32 s21, 0
	.p2align	6
.LBB103_11:                             ; =>This Inner Loop Header: Depth=1
	v_ashrrev_i32_e32 v2, 31, v1
	s_delay_alu instid0(VALU_DEP_1) | instskip(SKIP_1) | instid1(VALU_DEP_1)
	v_lshlrev_b64 v[4:5], 2, v[1:2]
	s_waitcnt lgkmcnt(0)
	v_add_co_u32 v4, vcc_lo, s0, v4
	s_delay_alu instid0(VALU_DEP_2)
	v_add_co_ci_u32_e32 v5, vcc_lo, s1, v5, vcc_lo
	global_load_b32 v4, v[4:5], off
	s_waitcnt vmcnt(0)
	v_subrev_nc_u32_e32 v6, s14, v4
	v_add_co_u32 v4, vcc_lo, s2, v1
	v_add_co_ci_u32_e32 v5, vcc_lo, s3, v2, vcc_lo
	s_delay_alu instid0(VALU_DEP_3)
	v_ashrrev_i32_e32 v2, 31, v6
	global_load_i8 v7, v[4:5], off
	v_add_co_u32 v4, vcc_lo, s18, v6
	v_add_co_ci_u32_e32 v5, vcc_lo, s19, v2, vcc_lo
	global_load_i8 v2, v[4:5], off
	s_waitcnt vmcnt(1)
	v_cvt_f32_i32_e32 v4, v7
	s_delay_alu instid0(VALU_DEP_1) | instskip(NEXT) | instid1(VALU_DEP_1)
	v_dual_mul_f32 v4, s16, v4 :: v_dual_add_nc_u32 v1, 0x100, v1
	v_cmp_le_i32_e32 vcc_lo, s20, v1
	s_waitcnt vmcnt(0)
	v_cvt_f32_i32_e32 v2, v2
	s_or_b32 s21, vcc_lo, s21
	s_delay_alu instid0(VALU_DEP_1)
	v_fmac_f32_e32 v3, v4, v2
	s_and_not1_b32 exec_lo, exec_lo, s21
	s_cbranch_execnz .LBB103_11
; %bb.12:
	s_or_b32 exec_lo, exec_lo, s21
.LBB103_13:
	s_delay_alu instid0(SALU_CYCLE_1)
	s_or_b32 exec_lo, exec_lo, s13
	v_lshlrev_b32_e32 v1, 2, v0
	s_mov_b32 s0, exec_lo
	ds_store_b32 v1, v3
	s_waitcnt lgkmcnt(0)
	s_waitcnt_vscnt null, 0x0
	s_barrier
	buffer_gl0_inv
	v_cmpx_gt_u32_e32 0x80, v0
	s_cbranch_execz .LBB103_15
; %bb.14:
	ds_load_2addr_stride64_b32 v[2:3], v1 offset1:2
	s_waitcnt lgkmcnt(0)
	v_add_f32_e32 v2, v2, v3
	ds_store_b32 v1, v2
.LBB103_15:
	s_or_b32 exec_lo, exec_lo, s0
	s_delay_alu instid0(SALU_CYCLE_1)
	s_mov_b32 s0, exec_lo
	s_waitcnt lgkmcnt(0)
	s_barrier
	buffer_gl0_inv
	v_cmpx_gt_u32_e32 64, v0
	s_cbranch_execz .LBB103_17
; %bb.16:
	ds_load_2addr_stride64_b32 v[2:3], v1 offset1:1
	s_waitcnt lgkmcnt(0)
	v_add_f32_e32 v2, v2, v3
	ds_store_b32 v1, v2
.LBB103_17:
	s_or_b32 exec_lo, exec_lo, s0
	s_delay_alu instid0(SALU_CYCLE_1)
	s_mov_b32 s0, exec_lo
	s_waitcnt lgkmcnt(0)
	s_barrier
	buffer_gl0_inv
	v_cmpx_gt_u32_e32 32, v0
	s_cbranch_execz .LBB103_19
; %bb.18:
	ds_load_2addr_b32 v[2:3], v1 offset1:32
	s_waitcnt lgkmcnt(0)
	v_add_f32_e32 v2, v2, v3
	ds_store_b32 v1, v2
.LBB103_19:
	s_or_b32 exec_lo, exec_lo, s0
	s_delay_alu instid0(SALU_CYCLE_1)
	s_mov_b32 s0, exec_lo
	s_waitcnt lgkmcnt(0)
	s_barrier
	buffer_gl0_inv
	v_cmpx_gt_u32_e32 16, v0
	s_cbranch_execz .LBB103_21
; %bb.20:
	ds_load_2addr_b32 v[2:3], v1 offset1:16
	s_waitcnt lgkmcnt(0)
	v_add_f32_e32 v2, v2, v3
	ds_store_b32 v1, v2
.LBB103_21:
	;; [unrolled: 14-line block ×5, first 2 shown]
	s_or_b32 exec_lo, exec_lo, s0
	v_cmp_eq_u32_e32 vcc_lo, 0, v0
	s_waitcnt lgkmcnt(0)
	s_barrier
	buffer_gl0_inv
	s_and_saveexec_b32 s0, vcc_lo
	s_cbranch_execz .LBB103_29
; %bb.28:
	v_mov_b32_e32 v2, 0
	ds_load_b64 v[0:1], v2
	s_waitcnt lgkmcnt(0)
	v_add_f32_e32 v0, v0, v1
	ds_store_b32 v2, v0
.LBB103_29:
	s_or_b32 exec_lo, exec_lo, s0
	s_waitcnt lgkmcnt(0)
	s_barrier
	buffer_gl0_inv
	s_and_saveexec_b32 s0, vcc_lo
	s_cbranch_execz .LBB103_39
; %bb.30:
	s_cmp_eq_u32 s17, 0
	s_cbranch_scc1 .LBB103_36
; %bb.31:
	s_ashr_i32 s13, s12, 31
	v_mov_b32_e32 v0, 0
	s_lshl_b64 s[0:1], s[12:13], 2
	s_delay_alu instid0(SALU_CYCLE_1)
	s_add_u32 s0, s4, s0
	s_addc_u32 s1, s5, s1
	s_branch .LBB103_33
.LBB103_32:                             ;   in Loop: Header=BB103_33 Depth=1
	s_or_b32 exec_lo, exec_lo, s2
	s_waitcnt vmcnt(0)
	v_readfirstlane_b32 s2, v1
	s_delay_alu instid0(VALU_DEP_1)
	s_cmp_eq_u32 s2, s15
	s_cbranch_scc0 .LBB103_35
.LBB103_33:                             ; =>This Inner Loop Header: Depth=1
	v_mbcnt_lo_u32_b32 v1, exec_lo, 0
	s_delay_alu instid0(VALU_DEP_1)
	v_cmp_eq_u32_e32 vcc_lo, 0, v1
                                        ; implicit-def: $vgpr1
	s_and_saveexec_b32 s2, vcc_lo
	s_cbranch_execz .LBB103_32
; %bb.34:                               ;   in Loop: Header=BB103_33 Depth=1
	global_load_b32 v1, v0, s[0:1] glc
	s_branch .LBB103_32
.LBB103_35:
	v_mov_b32_e32 v0, 0
	global_load_b32 v1, v0, s[10:11]
	s_waitcnt vmcnt(0)
	v_xor_b32_e32 v1, 1, v1
	global_store_b32 v0, v1, s[10:11]
.LBB103_36:
	s_mov_b32 s2, exec_lo
	s_delay_alu instid0(SALU_CYCLE_1) | instskip(NEXT) | instid1(VALU_DEP_1)
	v_mbcnt_lo_u32_b32 v0, s2, 0
	v_cmp_eq_u32_e32 vcc_lo, 0, v0
	s_and_b32 s0, exec_lo, vcc_lo
	s_delay_alu instid0(SALU_CYCLE_1)
	s_mov_b32 exec_lo, s0
	s_cbranch_execz .LBB103_39
; %bb.37:
	s_add_u32 s0, s8, s6
	s_addc_u32 s1, s9, s7
	s_bcnt1_i32_b32 s2, s2
	s_delay_alu instid0(SALU_CYCLE_1)
	v_cvt_f32_ubyte0_e32 v3, s2
	v_mov_b32_e32 v2, 0
	s_mov_b32 s2, 0
	global_load_b32 v1, v2, s[0:1]
	ds_load_b32 v0, v2
	s_waitcnt lgkmcnt(0)
	v_mul_f32_e32 v3, v0, v3
.LBB103_38:                             ; =>This Inner Loop Header: Depth=1
	s_waitcnt vmcnt(0)
	s_delay_alu instid0(VALU_DEP_1)
	v_add_f32_e32 v0, v1, v3
	global_atomic_cmpswap_b32 v0, v2, v[0:1], s[0:1] glc
	s_waitcnt vmcnt(0)
	v_cmp_eq_u32_e32 vcc_lo, v0, v1
	v_mov_b32_e32 v1, v0
	s_or_b32 s2, vcc_lo, s2
	s_delay_alu instid0(SALU_CYCLE_1)
	s_and_not1_b32 exec_lo, exec_lo, s2
	s_cbranch_execnz .LBB103_38
.LBB103_39:
	s_nop 0
	s_sendmsg sendmsg(MSG_DEALLOC_VGPRS)
	s_endpgm
	.section	.rodata,"a",@progbits
	.p2align	6, 0x0
	.amdhsa_kernel _ZN9rocsparseL27csrmvn_lrb_long_rows_kernelIiiaaffEEvbT_PjPT0_S4_jNS_24const_host_device_scalarIT4_EEPKS1_PKS3_PKT1_PKT2_S7_PT3_21rocsparse_index_base_b
		.amdhsa_group_segment_fixed_size 1024
		.amdhsa_private_segment_fixed_size 0
		.amdhsa_kernarg_size 104
		.amdhsa_user_sgpr_count 15
		.amdhsa_user_sgpr_dispatch_ptr 0
		.amdhsa_user_sgpr_queue_ptr 0
		.amdhsa_user_sgpr_kernarg_segment_ptr 1
		.amdhsa_user_sgpr_dispatch_id 0
		.amdhsa_user_sgpr_private_segment_size 0
		.amdhsa_wavefront_size32 1
		.amdhsa_uses_dynamic_stack 0
		.amdhsa_enable_private_segment 0
		.amdhsa_system_sgpr_workgroup_id_x 1
		.amdhsa_system_sgpr_workgroup_id_y 0
		.amdhsa_system_sgpr_workgroup_id_z 0
		.amdhsa_system_sgpr_workgroup_info 0
		.amdhsa_system_vgpr_workitem_id 0
		.amdhsa_next_free_vgpr 8
		.amdhsa_next_free_sgpr 24
		.amdhsa_reserve_vcc 1
		.amdhsa_float_round_mode_32 0
		.amdhsa_float_round_mode_16_64 0
		.amdhsa_float_denorm_mode_32 3
		.amdhsa_float_denorm_mode_16_64 3
		.amdhsa_dx10_clamp 1
		.amdhsa_ieee_mode 1
		.amdhsa_fp16_overflow 0
		.amdhsa_workgroup_processor_mode 1
		.amdhsa_memory_ordered 1
		.amdhsa_forward_progress 0
		.amdhsa_shared_vgpr_count 0
		.amdhsa_exception_fp_ieee_invalid_op 0
		.amdhsa_exception_fp_denorm_src 0
		.amdhsa_exception_fp_ieee_div_zero 0
		.amdhsa_exception_fp_ieee_overflow 0
		.amdhsa_exception_fp_ieee_underflow 0
		.amdhsa_exception_fp_ieee_inexact 0
		.amdhsa_exception_int_div_zero 0
	.end_amdhsa_kernel
	.section	.text._ZN9rocsparseL27csrmvn_lrb_long_rows_kernelIiiaaffEEvbT_PjPT0_S4_jNS_24const_host_device_scalarIT4_EEPKS1_PKS3_PKT1_PKT2_S7_PT3_21rocsparse_index_base_b,"axG",@progbits,_ZN9rocsparseL27csrmvn_lrb_long_rows_kernelIiiaaffEEvbT_PjPT0_S4_jNS_24const_host_device_scalarIT4_EEPKS1_PKS3_PKT1_PKT2_S7_PT3_21rocsparse_index_base_b,comdat
.Lfunc_end103:
	.size	_ZN9rocsparseL27csrmvn_lrb_long_rows_kernelIiiaaffEEvbT_PjPT0_S4_jNS_24const_host_device_scalarIT4_EEPKS1_PKS3_PKT1_PKT2_S7_PT3_21rocsparse_index_base_b, .Lfunc_end103-_ZN9rocsparseL27csrmvn_lrb_long_rows_kernelIiiaaffEEvbT_PjPT0_S4_jNS_24const_host_device_scalarIT4_EEPKS1_PKS3_PKT1_PKT2_S7_PT3_21rocsparse_index_base_b
                                        ; -- End function
	.section	.AMDGPU.csdata,"",@progbits
; Kernel info:
; codeLenInByte = 1612
; NumSgprs: 26
; NumVgprs: 8
; ScratchSize: 0
; MemoryBound: 0
; FloatMode: 240
; IeeeMode: 1
; LDSByteSize: 1024 bytes/workgroup (compile time only)
; SGPRBlocks: 3
; VGPRBlocks: 0
; NumSGPRsForWavesPerEU: 26
; NumVGPRsForWavesPerEU: 8
; Occupancy: 16
; WaveLimiterHint : 1
; COMPUTE_PGM_RSRC2:SCRATCH_EN: 0
; COMPUTE_PGM_RSRC2:USER_SGPR: 15
; COMPUTE_PGM_RSRC2:TRAP_HANDLER: 0
; COMPUTE_PGM_RSRC2:TGID_X_EN: 1
; COMPUTE_PGM_RSRC2:TGID_Y_EN: 0
; COMPUTE_PGM_RSRC2:TGID_Z_EN: 0
; COMPUTE_PGM_RSRC2:TIDIG_COMP_CNT: 0
	.section	.text._ZN9rocsparseL28csrmvn_lrb_short_rows_kernelIliaaffEEvbT_PT0_S3_jNS_24const_host_device_scalarIT4_EEPKS1_PKS2_PKT1_PKT2_S6_PT3_21rocsparse_index_base_b,"axG",@progbits,_ZN9rocsparseL28csrmvn_lrb_short_rows_kernelIliaaffEEvbT_PT0_S3_jNS_24const_host_device_scalarIT4_EEPKS1_PKS2_PKT1_PKT2_S6_PT3_21rocsparse_index_base_b,comdat
	.globl	_ZN9rocsparseL28csrmvn_lrb_short_rows_kernelIliaaffEEvbT_PT0_S3_jNS_24const_host_device_scalarIT4_EEPKS1_PKS2_PKT1_PKT2_S6_PT3_21rocsparse_index_base_b ; -- Begin function _ZN9rocsparseL28csrmvn_lrb_short_rows_kernelIliaaffEEvbT_PT0_S3_jNS_24const_host_device_scalarIT4_EEPKS1_PKS2_PKT1_PKT2_S6_PT3_21rocsparse_index_base_b
	.p2align	8
	.type	_ZN9rocsparseL28csrmvn_lrb_short_rows_kernelIliaaffEEvbT_PT0_S3_jNS_24const_host_device_scalarIT4_EEPKS1_PKS2_PKT1_PKT2_S6_PT3_21rocsparse_index_base_b,@function
_ZN9rocsparseL28csrmvn_lrb_short_rows_kernelIliaaffEEvbT_PT0_S3_jNS_24const_host_device_scalarIT4_EEPKS1_PKS2_PKT1_PKT2_S6_PT3_21rocsparse_index_base_b: ; @_ZN9rocsparseL28csrmvn_lrb_short_rows_kernelIliaaffEEvbT_PT0_S3_jNS_24const_host_device_scalarIT4_EEPKS1_PKS2_PKT1_PKT2_S6_PT3_21rocsparse_index_base_b
; %bb.0:
	s_clause 0x2
	s_load_b64 s[20:21], s[0:1], 0x60
	s_load_b64 s[22:23], s[0:1], 0x28
	;; [unrolled: 1-line block ×3, first 2 shown]
	s_waitcnt lgkmcnt(0)
	s_bitcmp1_b32 s21, 0
	s_cselect_b32 s4, -1, 0
	s_delay_alu instid0(SALU_CYCLE_1)
	s_and_b32 vcc_lo, exec_lo, s4
	s_xor_b32 s4, s4, -1
	s_cbranch_vccnz .LBB104_2
; %bb.1:
	s_load_b32 s22, s[22:23], 0x0
.LBB104_2:
	s_and_not1_b32 vcc_lo, exec_lo, s4
	s_cbranch_vccnz .LBB104_4
; %bb.3:
	s_load_b32 s2, s[2:3], 0x0
.LBB104_4:
	s_waitcnt lgkmcnt(0)
	v_cmp_neq_f32_e64 s3, s22, 0
	v_cmp_neq_f32_e64 s4, s2, 1.0
	s_mov_b32 s13, 0
	s_delay_alu instid0(VALU_DEP_1) | instskip(NEXT) | instid1(SALU_CYCLE_1)
	s_or_b32 s3, s3, s4
	s_and_not1_b32 vcc_lo, exec_lo, s3
	s_cbranch_vccnz .LBB104_18
; %bb.5:
	s_clause 0x1
	s_load_b32 s12, s[0:1], 0x20
	s_load_b128 s[16:19], s[0:1], 0x10
	s_mov_b32 s7, s13
	s_waitcnt lgkmcnt(0)
	s_lshl_b64 s[4:5], s[12:13], 2
	s_delay_alu instid0(SALU_CYCLE_1) | instskip(SKIP_2) | instid1(SALU_CYCLE_1)
	s_add_u32 s4, s18, s4
	s_addc_u32 s5, s19, s5
	s_add_i32 s6, s12, 1
	s_lshl_b64 s[6:7], s[6:7], 2
	s_delay_alu instid0(SALU_CYCLE_1)
	s_add_u32 s6, s18, s6
	s_addc_u32 s7, s19, s7
	s_clause 0x1
	s_load_b32 s3, s[4:5], 0x0
	s_load_b32 s4, s[6:7], 0x0
	s_lshl_b32 s13, s15, 8
	s_delay_alu instid0(SALU_CYCLE_1) | instskip(SKIP_2) | instid1(SALU_CYCLE_1)
	s_add_i32 s5, s13, 0x100
	s_waitcnt lgkmcnt(0)
	s_sub_i32 s4, s4, s3
	s_min_u32 s14, s4, s5
	s_cmp_gt_u32 s12, 23
	s_cbranch_scc1 .LBB104_12
; %bb.6:
	s_load_b256 s[4:11], s[0:1], 0x30
	v_mov_b32_e32 v5, 0
	v_bfe_u32 v6, v0, 0, s12
	v_lshl_add_u32 v8, v0, 2, 0
	s_lshl_b32 s15, 0x100, s12
	s_mov_b32 s18, 0
	v_mov_b32_e32 v7, v5
	s_branch .LBB104_9
.LBB104_7:                              ;   in Loop: Header=BB104_9 Depth=1
	s_or_b32 exec_lo, exec_lo, s21
	ds_store_b32 v8, v3
.LBB104_8:                              ;   in Loop: Header=BB104_9 Depth=1
	s_or_b32 exec_lo, exec_lo, s19
	v_add_nc_u32_e32 v8, 0x400, v8
	s_addk_i32 s18, 0x100
	s_delay_alu instid0(SALU_CYCLE_1)
	s_cmp_ge_u32 s18, s15
	s_cbranch_scc1 .LBB104_12
.LBB104_9:                              ; =>This Inner Loop Header: Depth=1
	v_add_nc_u32_e32 v1, s18, v0
	s_mov_b32 s19, exec_lo
	s_delay_alu instid0(VALU_DEP_1) | instskip(NEXT) | instid1(VALU_DEP_1)
	v_lshrrev_b32_e32 v1, s12, v1
	v_add_nc_u32_e32 v1, s13, v1
	s_delay_alu instid0(VALU_DEP_1)
	v_cmpx_gt_u32_e64 s14, v1
	s_cbranch_execz .LBB104_8
; %bb.10:                               ;   in Loop: Header=BB104_9 Depth=1
	v_add_nc_u32_e32 v4, s3, v1
	s_delay_alu instid0(VALU_DEP_1) | instskip(NEXT) | instid1(VALU_DEP_1)
	v_lshlrev_b64 v[1:2], 2, v[4:5]
	v_add_co_u32 v1, vcc_lo, s16, v1
	s_delay_alu instid0(VALU_DEP_2) | instskip(SKIP_3) | instid1(VALU_DEP_1)
	v_add_co_ci_u32_e32 v2, vcc_lo, s17, v2, vcc_lo
	global_load_b32 v1, v[1:2], off
	s_waitcnt vmcnt(0)
	v_ashrrev_i32_e32 v2, 31, v1
	v_lshlrev_b64 v[1:2], 3, v[1:2]
	s_waitcnt lgkmcnt(0)
	s_delay_alu instid0(VALU_DEP_1) | instskip(NEXT) | instid1(VALU_DEP_2)
	v_add_co_u32 v1, vcc_lo, s4, v1
	v_add_co_ci_u32_e32 v2, vcc_lo, s5, v2, vcc_lo
	global_load_b128 v[1:4], v[1:2], off
	s_waitcnt vmcnt(0)
	v_sub_co_u32 v3, vcc_lo, v3, v1
	v_sub_co_ci_u32_e32 v4, vcc_lo, v4, v2, vcc_lo
	s_delay_alu instid0(VALU_DEP_1)
	v_cmp_gt_i64_e32 vcc_lo, v[3:4], v[6:7]
	v_mov_b32_e32 v3, 0
	s_and_saveexec_b32 s21, vcc_lo
	s_cbranch_execz .LBB104_7
; %bb.11:                               ;   in Loop: Header=BB104_9 Depth=1
	v_sub_co_u32 v1, vcc_lo, v1, s20
	v_subrev_co_ci_u32_e32 v2, vcc_lo, 0, v2, vcc_lo
	s_delay_alu instid0(VALU_DEP_2) | instskip(NEXT) | instid1(VALU_DEP_2)
	v_add_co_u32 v1, vcc_lo, v1, v6
	v_add_co_ci_u32_e32 v2, vcc_lo, 0, v2, vcc_lo
	s_delay_alu instid0(VALU_DEP_1) | instskip(NEXT) | instid1(VALU_DEP_1)
	v_lshlrev_b64 v[3:4], 2, v[1:2]
	v_add_co_u32 v3, vcc_lo, s6, v3
	s_delay_alu instid0(VALU_DEP_2)
	v_add_co_ci_u32_e32 v4, vcc_lo, s7, v4, vcc_lo
	v_add_co_u32 v1, vcc_lo, s8, v1
	v_add_co_ci_u32_e32 v2, vcc_lo, s9, v2, vcc_lo
	global_load_b32 v3, v[3:4], off
	global_load_i8 v9, v[1:2], off
	s_waitcnt vmcnt(1)
	v_subrev_nc_u32_e32 v3, s20, v3
	s_delay_alu instid0(VALU_DEP_1) | instskip(SKIP_1) | instid1(VALU_DEP_2)
	v_ashrrev_i32_e32 v4, 31, v3
	v_add_co_u32 v1, vcc_lo, s10, v3
	v_add_co_ci_u32_e32 v2, vcc_lo, s11, v4, vcc_lo
	global_load_i8 v1, v[1:2], off
	s_waitcnt vmcnt(1)
	v_cvt_f32_i32_e32 v2, v9
	s_delay_alu instid0(VALU_DEP_1) | instskip(SKIP_2) | instid1(VALU_DEP_1)
	v_mul_f32_e32 v2, s22, v2
	s_waitcnt vmcnt(0)
	v_cvt_f32_i32_e32 v1, v1
	v_mul_f32_e32 v3, v2, v1
	s_branch .LBB104_7
.LBB104_12:
	s_waitcnt lgkmcnt(0)
	s_sub_i32 s4, s14, s13
	s_delay_alu instid0(SALU_CYCLE_1)
	v_cmp_gt_u32_e32 vcc_lo, s4, v0
	s_barrier
	buffer_gl0_inv
	s_and_saveexec_b32 s4, vcc_lo
	s_cbranch_execz .LBB104_18
; %bb.13:
	v_add3_u32 v1, s3, s13, v0
	v_mov_b32_e32 v2, 0
	s_load_b64 s[0:1], s[0:1], 0x58
	v_lshlrev_b32_e32 v0, s12, v0
	s_mov_b32 s3, 1
	s_delay_alu instid0(VALU_DEP_2) | instskip(NEXT) | instid1(VALU_DEP_2)
	v_lshlrev_b64 v[3:4], 2, v[1:2]
	v_lshl_add_u32 v0, v0, 2, 0
	s_delay_alu instid0(VALU_DEP_2) | instskip(NEXT) | instid1(VALU_DEP_3)
	v_add_co_u32 v3, vcc_lo, s16, v3
	v_add_co_ci_u32_e32 v4, vcc_lo, s17, v4, vcc_lo
	global_load_b32 v3, v[3:4], off
.LBB104_14:                             ; =>This Inner Loop Header: Depth=1
	ds_load_b32 v1, v0
	v_add_nc_u32_e32 v0, 4, v0
	s_lshr_b32 s4, s3, s12
	s_add_i32 s3, s3, 1
	s_cmp_lg_u32 s4, 0
	s_waitcnt lgkmcnt(0)
	v_add_f32_e32 v2, v2, v1
	s_cbranch_scc0 .LBB104_14
; %bb.15:
	s_waitcnt vmcnt(0)
	v_ashrrev_i32_e32 v4, 31, v3
	v_cmp_neq_f32_e64 s3, s2, 0
	s_delay_alu instid0(VALU_DEP_2) | instskip(NEXT) | instid1(VALU_DEP_2)
	v_lshlrev_b64 v[0:1], 2, v[3:4]
	s_and_b32 vcc_lo, exec_lo, s3
	s_cbranch_vccz .LBB104_17
; %bb.16:
	s_delay_alu instid0(VALU_DEP_1) | instskip(NEXT) | instid1(VALU_DEP_2)
	v_add_co_u32 v3, vcc_lo, s0, v0
	v_add_co_ci_u32_e32 v4, vcc_lo, s1, v1, vcc_lo
	global_load_b32 v3, v[3:4], off
	s_waitcnt vmcnt(0)
	v_fmac_f32_e32 v2, s2, v3
.LBB104_17:
	s_delay_alu instid0(VALU_DEP_1) | instskip(NEXT) | instid1(VALU_DEP_2)
	v_add_co_u32 v0, vcc_lo, s0, v0
	v_add_co_ci_u32_e32 v1, vcc_lo, s1, v1, vcc_lo
	global_store_b32 v[0:1], v2, off
.LBB104_18:
	s_nop 0
	s_sendmsg sendmsg(MSG_DEALLOC_VGPRS)
	s_endpgm
	.section	.rodata,"a",@progbits
	.p2align	6, 0x0
	.amdhsa_kernel _ZN9rocsparseL28csrmvn_lrb_short_rows_kernelIliaaffEEvbT_PT0_S3_jNS_24const_host_device_scalarIT4_EEPKS1_PKS2_PKT1_PKT2_S6_PT3_21rocsparse_index_base_b
		.amdhsa_group_segment_fixed_size 0
		.amdhsa_private_segment_fixed_size 0
		.amdhsa_kernarg_size 104
		.amdhsa_user_sgpr_count 15
		.amdhsa_user_sgpr_dispatch_ptr 0
		.amdhsa_user_sgpr_queue_ptr 0
		.amdhsa_user_sgpr_kernarg_segment_ptr 1
		.amdhsa_user_sgpr_dispatch_id 0
		.amdhsa_user_sgpr_private_segment_size 0
		.amdhsa_wavefront_size32 1
		.amdhsa_uses_dynamic_stack 0
		.amdhsa_enable_private_segment 0
		.amdhsa_system_sgpr_workgroup_id_x 1
		.amdhsa_system_sgpr_workgroup_id_y 0
		.amdhsa_system_sgpr_workgroup_id_z 0
		.amdhsa_system_sgpr_workgroup_info 0
		.amdhsa_system_vgpr_workitem_id 0
		.amdhsa_next_free_vgpr 10
		.amdhsa_next_free_sgpr 24
		.amdhsa_reserve_vcc 1
		.amdhsa_float_round_mode_32 0
		.amdhsa_float_round_mode_16_64 0
		.amdhsa_float_denorm_mode_32 3
		.amdhsa_float_denorm_mode_16_64 3
		.amdhsa_dx10_clamp 1
		.amdhsa_ieee_mode 1
		.amdhsa_fp16_overflow 0
		.amdhsa_workgroup_processor_mode 1
		.amdhsa_memory_ordered 1
		.amdhsa_forward_progress 0
		.amdhsa_shared_vgpr_count 0
		.amdhsa_exception_fp_ieee_invalid_op 0
		.amdhsa_exception_fp_denorm_src 0
		.amdhsa_exception_fp_ieee_div_zero 0
		.amdhsa_exception_fp_ieee_overflow 0
		.amdhsa_exception_fp_ieee_underflow 0
		.amdhsa_exception_fp_ieee_inexact 0
		.amdhsa_exception_int_div_zero 0
	.end_amdhsa_kernel
	.section	.text._ZN9rocsparseL28csrmvn_lrb_short_rows_kernelIliaaffEEvbT_PT0_S3_jNS_24const_host_device_scalarIT4_EEPKS1_PKS2_PKT1_PKT2_S6_PT3_21rocsparse_index_base_b,"axG",@progbits,_ZN9rocsparseL28csrmvn_lrb_short_rows_kernelIliaaffEEvbT_PT0_S3_jNS_24const_host_device_scalarIT4_EEPKS1_PKS2_PKT1_PKT2_S6_PT3_21rocsparse_index_base_b,comdat
.Lfunc_end104:
	.size	_ZN9rocsparseL28csrmvn_lrb_short_rows_kernelIliaaffEEvbT_PT0_S3_jNS_24const_host_device_scalarIT4_EEPKS1_PKS2_PKT1_PKT2_S6_PT3_21rocsparse_index_base_b, .Lfunc_end104-_ZN9rocsparseL28csrmvn_lrb_short_rows_kernelIliaaffEEvbT_PT0_S3_jNS_24const_host_device_scalarIT4_EEPKS1_PKS2_PKT1_PKT2_S6_PT3_21rocsparse_index_base_b
                                        ; -- End function
	.section	.AMDGPU.csdata,"",@progbits
; Kernel info:
; codeLenInByte = 884
; NumSgprs: 26
; NumVgprs: 10
; ScratchSize: 0
; MemoryBound: 0
; FloatMode: 240
; IeeeMode: 1
; LDSByteSize: 0 bytes/workgroup (compile time only)
; SGPRBlocks: 3
; VGPRBlocks: 1
; NumSGPRsForWavesPerEU: 26
; NumVGPRsForWavesPerEU: 10
; Occupancy: 16
; WaveLimiterHint : 1
; COMPUTE_PGM_RSRC2:SCRATCH_EN: 0
; COMPUTE_PGM_RSRC2:USER_SGPR: 15
; COMPUTE_PGM_RSRC2:TRAP_HANDLER: 0
; COMPUTE_PGM_RSRC2:TGID_X_EN: 1
; COMPUTE_PGM_RSRC2:TGID_Y_EN: 0
; COMPUTE_PGM_RSRC2:TGID_Z_EN: 0
; COMPUTE_PGM_RSRC2:TIDIG_COMP_CNT: 0
	.section	.text._ZN9rocsparseL30csrmvn_lrb_short_rows_2_kernelIliaaffEEvbT_PT0_S3_jNS_24const_host_device_scalarIT4_EEPKS1_PKS2_PKT1_PKT2_S6_PT3_21rocsparse_index_base_b,"axG",@progbits,_ZN9rocsparseL30csrmvn_lrb_short_rows_2_kernelIliaaffEEvbT_PT0_S3_jNS_24const_host_device_scalarIT4_EEPKS1_PKS2_PKT1_PKT2_S6_PT3_21rocsparse_index_base_b,comdat
	.globl	_ZN9rocsparseL30csrmvn_lrb_short_rows_2_kernelIliaaffEEvbT_PT0_S3_jNS_24const_host_device_scalarIT4_EEPKS1_PKS2_PKT1_PKT2_S6_PT3_21rocsparse_index_base_b ; -- Begin function _ZN9rocsparseL30csrmvn_lrb_short_rows_2_kernelIliaaffEEvbT_PT0_S3_jNS_24const_host_device_scalarIT4_EEPKS1_PKS2_PKT1_PKT2_S6_PT3_21rocsparse_index_base_b
	.p2align	8
	.type	_ZN9rocsparseL30csrmvn_lrb_short_rows_2_kernelIliaaffEEvbT_PT0_S3_jNS_24const_host_device_scalarIT4_EEPKS1_PKS2_PKT1_PKT2_S6_PT3_21rocsparse_index_base_b,@function
_ZN9rocsparseL30csrmvn_lrb_short_rows_2_kernelIliaaffEEvbT_PT0_S3_jNS_24const_host_device_scalarIT4_EEPKS1_PKS2_PKT1_PKT2_S6_PT3_21rocsparse_index_base_b: ; @_ZN9rocsparseL30csrmvn_lrb_short_rows_2_kernelIliaaffEEvbT_PT0_S3_jNS_24const_host_device_scalarIT4_EEPKS1_PKS2_PKT1_PKT2_S6_PT3_21rocsparse_index_base_b
; %bb.0:
	s_clause 0x2
	s_load_b64 s[20:21], s[0:1], 0x60
	s_load_b64 s[18:19], s[0:1], 0x28
	;; [unrolled: 1-line block ×3, first 2 shown]
	s_waitcnt lgkmcnt(0)
	s_bitcmp1_b32 s21, 0
	s_cselect_b32 s2, -1, 0
	s_delay_alu instid0(SALU_CYCLE_1)
	s_and_b32 vcc_lo, exec_lo, s2
	s_xor_b32 s2, s2, -1
	s_cbranch_vccnz .LBB105_2
; %bb.1:
	s_load_b32 s18, s[18:19], 0x0
.LBB105_2:
	s_and_not1_b32 vcc_lo, exec_lo, s2
	s_cbranch_vccnz .LBB105_4
; %bb.3:
	s_load_b32 s12, s[12:13], 0x0
.LBB105_4:
	s_waitcnt lgkmcnt(0)
	v_cmp_neq_f32_e64 s2, s18, 0
	v_cmp_neq_f32_e64 s3, s12, 1.0
	s_mov_b32 s17, 0
	s_delay_alu instid0(VALU_DEP_1) | instskip(NEXT) | instid1(SALU_CYCLE_1)
	s_or_b32 s2, s2, s3
	s_and_not1_b32 vcc_lo, exec_lo, s2
	s_cbranch_vccnz .LBB105_30
; %bb.5:
	s_clause 0x1
	s_load_b32 s16, s[0:1], 0x20
	s_load_b128 s[8:11], s[0:1], 0x10
	s_mov_b32 s5, s17
	v_mov_b32_e32 v6, 0
	s_waitcnt lgkmcnt(0)
	s_lshl_b64 s[2:3], s[16:17], 2
	v_lshrrev_b32_e32 v1, s16, v0
	s_add_u32 s2, s10, s2
	s_addc_u32 s3, s11, s3
	s_add_i32 s4, s16, 1
	v_bfe_u32 v5, v0, 0, s16
	s_lshl_b64 s[4:5], s[4:5], 2
	s_delay_alu instid0(SALU_CYCLE_1)
	s_add_u32 s4, s10, s4
	s_addc_u32 s5, s11, s5
	s_clause 0x1
	s_load_b32 s14, s[2:3], 0x0
	s_load_b32 s17, s[4:5], 0x0
	s_clause 0x1
	s_load_b64 s[10:11], s[0:1], 0x58
	s_load_b256 s[0:7], s[0:1], 0x30
	s_lshr_b32 s13, 0x400, s16
	s_delay_alu instid0(SALU_CYCLE_1) | instskip(NEXT) | instid1(SALU_CYCLE_1)
	s_mul_i32 s15, s13, s15
	v_add_nc_u32_e32 v1, s15, v1
	s_add_i32 s19, s15, s13
	s_waitcnt lgkmcnt(0)
	s_sub_i32 s17, s17, s14
	s_delay_alu instid0(SALU_CYCLE_1)
	s_min_u32 s17, s17, s19
	s_mov_b32 s19, exec_lo
	v_cmpx_gt_u32_e64 s17, v1
	s_cbranch_execz .LBB105_9
; %bb.6:
	v_dual_mov_b32 v2, v6 :: v_dual_add_nc_u32 v1, s14, v1
	s_delay_alu instid0(VALU_DEP_1) | instskip(NEXT) | instid1(VALU_DEP_1)
	v_lshlrev_b64 v[1:2], 2, v[1:2]
	v_add_co_u32 v1, vcc_lo, s8, v1
	s_delay_alu instid0(VALU_DEP_2) | instskip(SKIP_3) | instid1(VALU_DEP_1)
	v_add_co_ci_u32_e32 v2, vcc_lo, s9, v2, vcc_lo
	global_load_b32 v1, v[1:2], off
	s_waitcnt vmcnt(0)
	v_ashrrev_i32_e32 v2, 31, v1
	v_lshlrev_b64 v[1:2], 3, v[1:2]
	s_delay_alu instid0(VALU_DEP_1) | instskip(NEXT) | instid1(VALU_DEP_2)
	v_add_co_u32 v1, vcc_lo, s0, v1
	v_add_co_ci_u32_e32 v2, vcc_lo, s1, v2, vcc_lo
	global_load_b128 v[1:4], v[1:2], off
	s_waitcnt vmcnt(0)
	v_sub_co_u32 v3, vcc_lo, v3, v1
	v_sub_co_ci_u32_e32 v4, vcc_lo, v4, v2, vcc_lo
	s_delay_alu instid0(VALU_DEP_1)
	v_cmp_gt_i64_e32 vcc_lo, v[3:4], v[5:6]
	v_mov_b32_e32 v3, v6
	s_and_saveexec_b32 s21, vcc_lo
	s_cbranch_execz .LBB105_8
; %bb.7:
	v_sub_co_u32 v1, vcc_lo, v1, s20
	v_subrev_co_ci_u32_e32 v2, vcc_lo, 0, v2, vcc_lo
	s_delay_alu instid0(VALU_DEP_2) | instskip(NEXT) | instid1(VALU_DEP_2)
	v_add_co_u32 v1, vcc_lo, v1, v5
	v_add_co_ci_u32_e32 v2, vcc_lo, 0, v2, vcc_lo
	s_delay_alu instid0(VALU_DEP_1) | instskip(NEXT) | instid1(VALU_DEP_1)
	v_lshlrev_b64 v[3:4], 2, v[1:2]
	v_add_co_u32 v3, vcc_lo, s2, v3
	s_delay_alu instid0(VALU_DEP_2)
	v_add_co_ci_u32_e32 v4, vcc_lo, s3, v4, vcc_lo
	v_add_co_u32 v1, vcc_lo, s4, v1
	v_add_co_ci_u32_e32 v2, vcc_lo, s5, v2, vcc_lo
	global_load_b32 v3, v[3:4], off
	global_load_i8 v7, v[1:2], off
	s_waitcnt vmcnt(1)
	v_subrev_nc_u32_e32 v3, s20, v3
	s_delay_alu instid0(VALU_DEP_1) | instskip(SKIP_1) | instid1(VALU_DEP_2)
	v_ashrrev_i32_e32 v4, 31, v3
	v_add_co_u32 v1, vcc_lo, s6, v3
	v_add_co_ci_u32_e32 v2, vcc_lo, s7, v4, vcc_lo
	global_load_i8 v1, v[1:2], off
	s_waitcnt vmcnt(1)
	v_cvt_f32_i32_e32 v2, v7
	s_delay_alu instid0(VALU_DEP_1) | instskip(SKIP_2) | instid1(VALU_DEP_1)
	v_mul_f32_e32 v2, s18, v2
	s_waitcnt vmcnt(0)
	v_cvt_f32_i32_e32 v1, v1
	v_mul_f32_e32 v3, v2, v1
.LBB105_8:
	s_or_b32 exec_lo, exec_lo, s21
	v_lshlrev_b32_e32 v1, 2, v0
	ds_store_b32 v1, v3
.LBB105_9:
	s_or_b32 exec_lo, exec_lo, s19
	v_or_b32_e32 v1, 0x100, v0
	s_mov_b32 s19, exec_lo
	s_delay_alu instid0(VALU_DEP_1) | instskip(NEXT) | instid1(VALU_DEP_1)
	v_lshrrev_b32_e32 v1, s16, v1
	v_add_nc_u32_e32 v1, s15, v1
	s_delay_alu instid0(VALU_DEP_1)
	v_cmpx_gt_u32_e64 s17, v1
	s_cbranch_execz .LBB105_13
; %bb.10:
	v_dual_mov_b32 v8, 0 :: v_dual_add_nc_u32 v7, s14, v1
	s_mov_b32 s21, exec_lo
	s_delay_alu instid0(VALU_DEP_1) | instskip(NEXT) | instid1(VALU_DEP_1)
	v_lshlrev_b64 v[1:2], 2, v[7:8]
	v_add_co_u32 v1, vcc_lo, s8, v1
	s_delay_alu instid0(VALU_DEP_2) | instskip(SKIP_3) | instid1(VALU_DEP_1)
	v_add_co_ci_u32_e32 v2, vcc_lo, s9, v2, vcc_lo
	global_load_b32 v1, v[1:2], off
	s_waitcnt vmcnt(0)
	v_ashrrev_i32_e32 v2, 31, v1
	v_lshlrev_b64 v[1:2], 3, v[1:2]
	s_delay_alu instid0(VALU_DEP_1) | instskip(NEXT) | instid1(VALU_DEP_2)
	v_add_co_u32 v1, vcc_lo, s0, v1
	v_add_co_ci_u32_e32 v2, vcc_lo, s1, v2, vcc_lo
	global_load_b128 v[1:4], v[1:2], off
	s_waitcnt vmcnt(0)
	v_sub_co_u32 v3, vcc_lo, v3, v1
	v_sub_co_ci_u32_e32 v4, vcc_lo, v4, v2, vcc_lo
	s_delay_alu instid0(VALU_DEP_1)
	v_cmpx_gt_i64_e64 v[3:4], v[5:6]
	s_cbranch_execz .LBB105_12
; %bb.11:
	v_sub_co_u32 v1, vcc_lo, v1, s20
	v_subrev_co_ci_u32_e32 v2, vcc_lo, 0, v2, vcc_lo
	s_delay_alu instid0(VALU_DEP_2) | instskip(NEXT) | instid1(VALU_DEP_2)
	v_add_co_u32 v1, vcc_lo, v1, v5
	v_add_co_ci_u32_e32 v2, vcc_lo, 0, v2, vcc_lo
	s_delay_alu instid0(VALU_DEP_1) | instskip(NEXT) | instid1(VALU_DEP_1)
	v_lshlrev_b64 v[3:4], 2, v[1:2]
	v_add_co_u32 v3, vcc_lo, s2, v3
	s_delay_alu instid0(VALU_DEP_2)
	v_add_co_ci_u32_e32 v4, vcc_lo, s3, v4, vcc_lo
	v_add_co_u32 v1, vcc_lo, s4, v1
	v_add_co_ci_u32_e32 v2, vcc_lo, s5, v2, vcc_lo
	global_load_b32 v3, v[3:4], off
	global_load_i8 v7, v[1:2], off
	s_waitcnt vmcnt(1)
	v_subrev_nc_u32_e32 v3, s20, v3
	s_delay_alu instid0(VALU_DEP_1) | instskip(SKIP_1) | instid1(VALU_DEP_2)
	v_ashrrev_i32_e32 v4, 31, v3
	v_add_co_u32 v1, vcc_lo, s6, v3
	v_add_co_ci_u32_e32 v2, vcc_lo, s7, v4, vcc_lo
	global_load_i8 v1, v[1:2], off
	s_waitcnt vmcnt(1)
	v_cvt_f32_i32_e32 v2, v7
	s_delay_alu instid0(VALU_DEP_1) | instskip(SKIP_2) | instid1(VALU_DEP_1)
	v_mul_f32_e32 v2, s18, v2
	s_waitcnt vmcnt(0)
	v_cvt_f32_i32_e32 v1, v1
	v_mul_f32_e32 v8, v2, v1
.LBB105_12:
	s_or_b32 exec_lo, exec_lo, s21
	v_lshlrev_b32_e32 v1, 2, v0
	ds_store_b32 v1, v8 offset:1024
.LBB105_13:
	s_or_b32 exec_lo, exec_lo, s19
	v_or_b32_e32 v1, 0x200, v0
	s_mov_b32 s19, exec_lo
	s_delay_alu instid0(VALU_DEP_1) | instskip(NEXT) | instid1(VALU_DEP_1)
	v_lshrrev_b32_e32 v1, s16, v1
	v_add_nc_u32_e32 v1, s15, v1
	s_delay_alu instid0(VALU_DEP_1)
	v_cmpx_gt_u32_e64 s17, v1
	s_cbranch_execz .LBB105_17
; %bb.14:
	v_dual_mov_b32 v8, 0 :: v_dual_add_nc_u32 v7, s14, v1
	s_mov_b32 s21, exec_lo
	s_delay_alu instid0(VALU_DEP_1) | instskip(NEXT) | instid1(VALU_DEP_1)
	v_lshlrev_b64 v[1:2], 2, v[7:8]
	v_add_co_u32 v1, vcc_lo, s8, v1
	s_delay_alu instid0(VALU_DEP_2) | instskip(SKIP_3) | instid1(VALU_DEP_1)
	v_add_co_ci_u32_e32 v2, vcc_lo, s9, v2, vcc_lo
	global_load_b32 v1, v[1:2], off
	s_waitcnt vmcnt(0)
	v_ashrrev_i32_e32 v2, 31, v1
	v_lshlrev_b64 v[1:2], 3, v[1:2]
	s_delay_alu instid0(VALU_DEP_1) | instskip(NEXT) | instid1(VALU_DEP_2)
	v_add_co_u32 v1, vcc_lo, s0, v1
	v_add_co_ci_u32_e32 v2, vcc_lo, s1, v2, vcc_lo
	global_load_b128 v[1:4], v[1:2], off
	s_waitcnt vmcnt(0)
	v_sub_co_u32 v3, vcc_lo, v3, v1
	v_sub_co_ci_u32_e32 v4, vcc_lo, v4, v2, vcc_lo
	s_delay_alu instid0(VALU_DEP_1)
	v_cmpx_gt_i64_e64 v[3:4], v[5:6]
	s_cbranch_execz .LBB105_16
; %bb.15:
	v_sub_co_u32 v1, vcc_lo, v1, s20
	v_subrev_co_ci_u32_e32 v2, vcc_lo, 0, v2, vcc_lo
	s_delay_alu instid0(VALU_DEP_2) | instskip(NEXT) | instid1(VALU_DEP_2)
	v_add_co_u32 v1, vcc_lo, v1, v5
	v_add_co_ci_u32_e32 v2, vcc_lo, 0, v2, vcc_lo
	s_delay_alu instid0(VALU_DEP_1) | instskip(NEXT) | instid1(VALU_DEP_1)
	v_lshlrev_b64 v[3:4], 2, v[1:2]
	v_add_co_u32 v3, vcc_lo, s2, v3
	s_delay_alu instid0(VALU_DEP_2)
	v_add_co_ci_u32_e32 v4, vcc_lo, s3, v4, vcc_lo
	v_add_co_u32 v1, vcc_lo, s4, v1
	v_add_co_ci_u32_e32 v2, vcc_lo, s5, v2, vcc_lo
	global_load_b32 v3, v[3:4], off
	global_load_i8 v7, v[1:2], off
	s_waitcnt vmcnt(1)
	v_subrev_nc_u32_e32 v3, s20, v3
	s_delay_alu instid0(VALU_DEP_1) | instskip(SKIP_1) | instid1(VALU_DEP_2)
	v_ashrrev_i32_e32 v4, 31, v3
	v_add_co_u32 v1, vcc_lo, s6, v3
	v_add_co_ci_u32_e32 v2, vcc_lo, s7, v4, vcc_lo
	global_load_i8 v1, v[1:2], off
	s_waitcnt vmcnt(1)
	v_cvt_f32_i32_e32 v2, v7
	s_delay_alu instid0(VALU_DEP_1) | instskip(SKIP_2) | instid1(VALU_DEP_1)
	v_mul_f32_e32 v2, s18, v2
	s_waitcnt vmcnt(0)
	v_cvt_f32_i32_e32 v1, v1
	v_mul_f32_e32 v8, v2, v1
.LBB105_16:
	s_or_b32 exec_lo, exec_lo, s21
	v_lshlrev_b32_e32 v1, 2, v0
	ds_store_b32 v1, v8 offset:2048
.LBB105_17:
	s_or_b32 exec_lo, exec_lo, s19
	v_or_b32_e32 v1, 0x300, v0
	s_mov_b32 s19, exec_lo
	s_delay_alu instid0(VALU_DEP_1) | instskip(NEXT) | instid1(VALU_DEP_1)
	v_lshrrev_b32_e32 v1, s16, v1
	v_add_nc_u32_e32 v1, s15, v1
	s_delay_alu instid0(VALU_DEP_1)
	v_cmpx_gt_u32_e64 s17, v1
	s_cbranch_execz .LBB105_21
; %bb.18:
	v_dual_mov_b32 v8, 0 :: v_dual_add_nc_u32 v7, s14, v1
	s_delay_alu instid0(VALU_DEP_1) | instskip(NEXT) | instid1(VALU_DEP_1)
	v_lshlrev_b64 v[1:2], 2, v[7:8]
	v_add_co_u32 v1, vcc_lo, s8, v1
	s_delay_alu instid0(VALU_DEP_2) | instskip(SKIP_3) | instid1(VALU_DEP_1)
	v_add_co_ci_u32_e32 v2, vcc_lo, s9, v2, vcc_lo
	global_load_b32 v1, v[1:2], off
	s_waitcnt vmcnt(0)
	v_ashrrev_i32_e32 v2, 31, v1
	v_lshlrev_b64 v[1:2], 3, v[1:2]
	s_delay_alu instid0(VALU_DEP_1) | instskip(NEXT) | instid1(VALU_DEP_2)
	v_add_co_u32 v1, vcc_lo, s0, v1
	v_add_co_ci_u32_e32 v2, vcc_lo, s1, v2, vcc_lo
	s_mov_b32 s0, exec_lo
	global_load_b128 v[1:4], v[1:2], off
	s_waitcnt vmcnt(0)
	v_sub_co_u32 v3, vcc_lo, v3, v1
	v_sub_co_ci_u32_e32 v4, vcc_lo, v4, v2, vcc_lo
	s_delay_alu instid0(VALU_DEP_1)
	v_cmpx_gt_i64_e64 v[3:4], v[5:6]
	s_cbranch_execz .LBB105_20
; %bb.19:
	v_sub_co_u32 v1, vcc_lo, v1, s20
	v_subrev_co_ci_u32_e32 v2, vcc_lo, 0, v2, vcc_lo
	s_delay_alu instid0(VALU_DEP_2) | instskip(NEXT) | instid1(VALU_DEP_2)
	v_add_co_u32 v1, vcc_lo, v1, v5
	v_add_co_ci_u32_e32 v2, vcc_lo, 0, v2, vcc_lo
	s_delay_alu instid0(VALU_DEP_1) | instskip(NEXT) | instid1(VALU_DEP_1)
	v_lshlrev_b64 v[3:4], 2, v[1:2]
	v_add_co_u32 v3, vcc_lo, s2, v3
	s_delay_alu instid0(VALU_DEP_2)
	v_add_co_ci_u32_e32 v4, vcc_lo, s3, v4, vcc_lo
	v_add_co_u32 v1, vcc_lo, s4, v1
	v_add_co_ci_u32_e32 v2, vcc_lo, s5, v2, vcc_lo
	global_load_b32 v3, v[3:4], off
	global_load_i8 v5, v[1:2], off
	s_waitcnt vmcnt(1)
	v_subrev_nc_u32_e32 v3, s20, v3
	s_delay_alu instid0(VALU_DEP_1) | instskip(SKIP_1) | instid1(VALU_DEP_2)
	v_ashrrev_i32_e32 v4, 31, v3
	v_add_co_u32 v1, vcc_lo, s6, v3
	v_add_co_ci_u32_e32 v2, vcc_lo, s7, v4, vcc_lo
	global_load_i8 v1, v[1:2], off
	s_waitcnt vmcnt(1)
	v_cvt_f32_i32_e32 v2, v5
	s_delay_alu instid0(VALU_DEP_1) | instskip(SKIP_2) | instid1(VALU_DEP_1)
	v_mul_f32_e32 v2, s18, v2
	s_waitcnt vmcnt(0)
	v_cvt_f32_i32_e32 v1, v1
	v_mul_f32_e32 v8, v2, v1
.LBB105_20:
	s_or_b32 exec_lo, exec_lo, s0
	v_lshlrev_b32_e32 v1, 2, v0
	ds_store_b32 v1, v8 offset:3072
.LBB105_21:
	s_or_b32 exec_lo, exec_lo, s19
	s_cmp_lt_u32 s16, 11
	s_waitcnt lgkmcnt(0)
	s_barrier
	buffer_gl0_inv
	s_cbranch_scc0 .LBB105_30
; %bb.22:
	v_cmp_neq_f32_e64 s0, s12, 0
	v_mov_b32_e32 v2, 0
	s_sub_i32 s1, s17, s15
	s_add_i32 s14, s14, s15
	s_mov_b32 s2, 0
	s_set_inst_prefetch_distance 0x1
	s_branch .LBB105_25
	.p2align	6
.LBB105_23:                             ;   in Loop: Header=BB105_25 Depth=1
	s_delay_alu instid0(VALU_DEP_1) | instskip(NEXT) | instid1(VALU_DEP_2)
	v_add_co_u32 v3, vcc_lo, s10, v3
	v_add_co_ci_u32_e32 v4, vcc_lo, s11, v4, vcc_lo
	global_store_b32 v[3:4], v1, off
.LBB105_24:                             ;   in Loop: Header=BB105_25 Depth=1
	s_or_b32 exec_lo, exec_lo, s3
	s_addk_i32 s2, 0x100
	s_delay_alu instid0(SALU_CYCLE_1)
	s_cmp_lt_u32 s2, s13
	s_cbranch_scc0 .LBB105_30
.LBB105_25:                             ; =>This Loop Header: Depth=1
                                        ;     Child Loop BB105_27 Depth 2
	v_add_nc_u32_e32 v4, s2, v0
	s_mov_b32 s3, exec_lo
	s_delay_alu instid0(VALU_DEP_1)
	v_cmpx_gt_u32_e64 s1, v4
	s_cbranch_execz .LBB105_24
; %bb.26:                               ;   in Loop: Header=BB105_25 Depth=1
	v_add_nc_u32_e32 v1, s14, v4
	s_mov_b32 s4, 1
	s_delay_alu instid0(VALU_DEP_1) | instskip(SKIP_1) | instid1(VALU_DEP_1)
	v_lshlrev_b64 v[5:6], 2, v[1:2]
	v_lshlrev_b32_e32 v1, s16, v4
	v_dual_mov_b32 v1, 0 :: v_dual_lshlrev_b32 v4, 2, v1
	s_delay_alu instid0(VALU_DEP_3) | instskip(NEXT) | instid1(VALU_DEP_4)
	v_add_co_u32 v5, vcc_lo, s8, v5
	v_add_co_ci_u32_e32 v6, vcc_lo, s9, v6, vcc_lo
	global_load_b32 v3, v[5:6], off
.LBB105_27:                             ;   Parent Loop BB105_25 Depth=1
                                        ; =>  This Inner Loop Header: Depth=2
	ds_load_b32 v5, v4
	v_add_nc_u32_e32 v4, 4, v4
	s_lshr_b32 s5, s4, s16
	s_add_i32 s4, s4, 1
	s_cmp_lg_u32 s5, 0
	s_waitcnt lgkmcnt(0)
	v_add_f32_e32 v1, v1, v5
	s_cbranch_scc0 .LBB105_27
; %bb.28:                               ;   in Loop: Header=BB105_25 Depth=1
	s_waitcnt vmcnt(0)
	v_ashrrev_i32_e32 v4, 31, v3
	s_and_b32 vcc_lo, exec_lo, s0
	s_delay_alu instid0(VALU_DEP_1)
	v_lshlrev_b64 v[3:4], 2, v[3:4]
	s_cbranch_vccz .LBB105_23
; %bb.29:                               ;   in Loop: Header=BB105_25 Depth=1
	s_delay_alu instid0(VALU_DEP_1) | instskip(NEXT) | instid1(VALU_DEP_2)
	v_add_co_u32 v5, vcc_lo, s10, v3
	v_add_co_ci_u32_e32 v6, vcc_lo, s11, v4, vcc_lo
	global_load_b32 v5, v[5:6], off
	s_waitcnt vmcnt(0)
	v_fmac_f32_e32 v1, s12, v5
	s_branch .LBB105_23
.LBB105_30:
	s_set_inst_prefetch_distance 0x2
	s_nop 0
	s_sendmsg sendmsg(MSG_DEALLOC_VGPRS)
	s_endpgm
	.section	.rodata,"a",@progbits
	.p2align	6, 0x0
	.amdhsa_kernel _ZN9rocsparseL30csrmvn_lrb_short_rows_2_kernelIliaaffEEvbT_PT0_S3_jNS_24const_host_device_scalarIT4_EEPKS1_PKS2_PKT1_PKT2_S6_PT3_21rocsparse_index_base_b
		.amdhsa_group_segment_fixed_size 4096
		.amdhsa_private_segment_fixed_size 0
		.amdhsa_kernarg_size 104
		.amdhsa_user_sgpr_count 15
		.amdhsa_user_sgpr_dispatch_ptr 0
		.amdhsa_user_sgpr_queue_ptr 0
		.amdhsa_user_sgpr_kernarg_segment_ptr 1
		.amdhsa_user_sgpr_dispatch_id 0
		.amdhsa_user_sgpr_private_segment_size 0
		.amdhsa_wavefront_size32 1
		.amdhsa_uses_dynamic_stack 0
		.amdhsa_enable_private_segment 0
		.amdhsa_system_sgpr_workgroup_id_x 1
		.amdhsa_system_sgpr_workgroup_id_y 0
		.amdhsa_system_sgpr_workgroup_id_z 0
		.amdhsa_system_sgpr_workgroup_info 0
		.amdhsa_system_vgpr_workitem_id 0
		.amdhsa_next_free_vgpr 9
		.amdhsa_next_free_sgpr 22
		.amdhsa_reserve_vcc 1
		.amdhsa_float_round_mode_32 0
		.amdhsa_float_round_mode_16_64 0
		.amdhsa_float_denorm_mode_32 3
		.amdhsa_float_denorm_mode_16_64 3
		.amdhsa_dx10_clamp 1
		.amdhsa_ieee_mode 1
		.amdhsa_fp16_overflow 0
		.amdhsa_workgroup_processor_mode 1
		.amdhsa_memory_ordered 1
		.amdhsa_forward_progress 0
		.amdhsa_shared_vgpr_count 0
		.amdhsa_exception_fp_ieee_invalid_op 0
		.amdhsa_exception_fp_denorm_src 0
		.amdhsa_exception_fp_ieee_div_zero 0
		.amdhsa_exception_fp_ieee_overflow 0
		.amdhsa_exception_fp_ieee_underflow 0
		.amdhsa_exception_fp_ieee_inexact 0
		.amdhsa_exception_int_div_zero 0
	.end_amdhsa_kernel
	.section	.text._ZN9rocsparseL30csrmvn_lrb_short_rows_2_kernelIliaaffEEvbT_PT0_S3_jNS_24const_host_device_scalarIT4_EEPKS1_PKS2_PKT1_PKT2_S6_PT3_21rocsparse_index_base_b,"axG",@progbits,_ZN9rocsparseL30csrmvn_lrb_short_rows_2_kernelIliaaffEEvbT_PT0_S3_jNS_24const_host_device_scalarIT4_EEPKS1_PKS2_PKT1_PKT2_S6_PT3_21rocsparse_index_base_b,comdat
.Lfunc_end105:
	.size	_ZN9rocsparseL30csrmvn_lrb_short_rows_2_kernelIliaaffEEvbT_PT0_S3_jNS_24const_host_device_scalarIT4_EEPKS1_PKS2_PKT1_PKT2_S6_PT3_21rocsparse_index_base_b, .Lfunc_end105-_ZN9rocsparseL30csrmvn_lrb_short_rows_2_kernelIliaaffEEvbT_PT0_S3_jNS_24const_host_device_scalarIT4_EEPKS1_PKS2_PKT1_PKT2_S6_PT3_21rocsparse_index_base_b
                                        ; -- End function
	.section	.AMDGPU.csdata,"",@progbits
; Kernel info:
; codeLenInByte = 1860
; NumSgprs: 24
; NumVgprs: 9
; ScratchSize: 0
; MemoryBound: 0
; FloatMode: 240
; IeeeMode: 1
; LDSByteSize: 4096 bytes/workgroup (compile time only)
; SGPRBlocks: 2
; VGPRBlocks: 1
; NumSGPRsForWavesPerEU: 24
; NumVGPRsForWavesPerEU: 9
; Occupancy: 16
; WaveLimiterHint : 1
; COMPUTE_PGM_RSRC2:SCRATCH_EN: 0
; COMPUTE_PGM_RSRC2:USER_SGPR: 15
; COMPUTE_PGM_RSRC2:TRAP_HANDLER: 0
; COMPUTE_PGM_RSRC2:TGID_X_EN: 1
; COMPUTE_PGM_RSRC2:TGID_Y_EN: 0
; COMPUTE_PGM_RSRC2:TGID_Z_EN: 0
; COMPUTE_PGM_RSRC2:TIDIG_COMP_CNT: 0
	.section	.text._ZN9rocsparseL41csrmvn_lrb_medium_rows_warp_reduce_kernelILj256ELj32EliaaffEEvbT1_lPT2_S3_jNS_24const_host_device_scalarIT6_EEPKS1_PKS2_PKT3_PKT4_S6_PT5_21rocsparse_index_base_b,"axG",@progbits,_ZN9rocsparseL41csrmvn_lrb_medium_rows_warp_reduce_kernelILj256ELj32EliaaffEEvbT1_lPT2_S3_jNS_24const_host_device_scalarIT6_EEPKS1_PKS2_PKT3_PKT4_S6_PT5_21rocsparse_index_base_b,comdat
	.globl	_ZN9rocsparseL41csrmvn_lrb_medium_rows_warp_reduce_kernelILj256ELj32EliaaffEEvbT1_lPT2_S3_jNS_24const_host_device_scalarIT6_EEPKS1_PKS2_PKT3_PKT4_S6_PT5_21rocsparse_index_base_b ; -- Begin function _ZN9rocsparseL41csrmvn_lrb_medium_rows_warp_reduce_kernelILj256ELj32EliaaffEEvbT1_lPT2_S3_jNS_24const_host_device_scalarIT6_EEPKS1_PKS2_PKT3_PKT4_S6_PT5_21rocsparse_index_base_b
	.p2align	8
	.type	_ZN9rocsparseL41csrmvn_lrb_medium_rows_warp_reduce_kernelILj256ELj32EliaaffEEvbT1_lPT2_S3_jNS_24const_host_device_scalarIT6_EEPKS1_PKS2_PKT3_PKT4_S6_PT5_21rocsparse_index_base_b,@function
_ZN9rocsparseL41csrmvn_lrb_medium_rows_warp_reduce_kernelILj256ELj32EliaaffEEvbT1_lPT2_S3_jNS_24const_host_device_scalarIT6_EEPKS1_PKS2_PKT3_PKT4_S6_PT5_21rocsparse_index_base_b: ; @_ZN9rocsparseL41csrmvn_lrb_medium_rows_warp_reduce_kernelILj256ELj32EliaaffEEvbT1_lPT2_S3_jNS_24const_host_device_scalarIT6_EEPKS1_PKS2_PKT3_PKT4_S6_PT5_21rocsparse_index_base_b
; %bb.0:
	s_clause 0x2
	s_load_b64 s[8:9], s[0:1], 0x68
	s_load_b64 s[10:11], s[0:1], 0x30
	;; [unrolled: 1-line block ×3, first 2 shown]
	s_waitcnt lgkmcnt(0)
	s_bitcmp1_b32 s9, 0
	s_cselect_b32 s4, -1, 0
	s_delay_alu instid0(SALU_CYCLE_1)
	s_and_b32 vcc_lo, exec_lo, s4
	s_xor_b32 s4, s4, -1
	s_cbranch_vccnz .LBB106_2
; %bb.1:
	s_load_b32 s10, s[10:11], 0x0
.LBB106_2:
	s_and_not1_b32 vcc_lo, exec_lo, s4
	s_cbranch_vccnz .LBB106_4
; %bb.3:
	s_load_b32 s2, s[2:3], 0x0
.LBB106_4:
	s_waitcnt lgkmcnt(0)
	v_cmp_neq_f32_e64 s3, s10, 0
	v_cmp_neq_f32_e64 s4, s2, 1.0
	s_delay_alu instid0(VALU_DEP_1) | instskip(NEXT) | instid1(SALU_CYCLE_1)
	s_or_b32 s3, s3, s4
	s_and_not1_b32 vcc_lo, exec_lo, s3
	s_cbranch_vccnz .LBB106_14
; %bb.5:
	s_load_b64 s[4:5], s[0:1], 0x10
	v_lshrrev_b32_e32 v1, 5, v0
	s_mov_b32 s3, exec_lo
	s_delay_alu instid0(VALU_DEP_1) | instskip(NEXT) | instid1(VALU_DEP_1)
	v_lshl_or_b32 v1, s15, 3, v1
	v_ashrrev_i32_e32 v2, 31, v1
	s_waitcnt lgkmcnt(0)
	s_delay_alu instid0(VALU_DEP_1)
	v_cmpx_gt_i64_e64 s[4:5], v[1:2]
	s_cbranch_execz .LBB106_14
; %bb.6:
	s_clause 0x1
	s_load_b32 s14, s[0:1], 0x28
	s_load_b128 s[4:7], s[0:1], 0x18
	s_mov_b32 s15, 0
	v_and_b32_e32 v0, 31, v0
	s_waitcnt lgkmcnt(0)
	s_lshl_b64 s[12:13], s[14:15], 2
	s_delay_alu instid0(SALU_CYCLE_1)
	s_add_u32 s6, s6, s12
	s_addc_u32 s7, s7, s13
	s_load_b64 s[12:13], s[0:1], 0x60
	s_load_b32 s3, s[6:7], 0x0
	s_waitcnt lgkmcnt(0)
	v_add_nc_u32_e32 v1, s3, v1
	v_sub_co_u32 v9, s3, v0, s8
	s_delay_alu instid0(VALU_DEP_1) | instskip(NEXT) | instid1(VALU_DEP_3)
	v_sub_co_ci_u32_e64 v10, null, 0, 0, s3
	v_ashrrev_i32_e32 v2, 31, v1
	s_mov_b32 s3, exec_lo
	s_delay_alu instid0(VALU_DEP_1) | instskip(NEXT) | instid1(VALU_DEP_1)
	v_lshlrev_b64 v[1:2], 2, v[1:2]
	v_add_co_u32 v1, vcc_lo, s4, v1
	s_delay_alu instid0(VALU_DEP_2) | instskip(SKIP_4) | instid1(VALU_DEP_1)
	v_add_co_ci_u32_e32 v2, vcc_lo, s5, v2, vcc_lo
	s_load_b64 s[4:5], s[0:1], 0x38
	global_load_b32 v1, v[1:2], off
	s_waitcnt vmcnt(0)
	v_ashrrev_i32_e32 v2, 31, v1
	v_lshlrev_b64 v[3:4], 3, v[1:2]
	s_waitcnt lgkmcnt(0)
	s_delay_alu instid0(VALU_DEP_1) | instskip(NEXT) | instid1(VALU_DEP_2)
	v_add_co_u32 v3, vcc_lo, s4, v3
	v_add_co_ci_u32_e32 v4, vcc_lo, s5, v4, vcc_lo
	global_load_b128 v[5:8], v[3:4], off
	s_waitcnt vmcnt(0)
	v_sub_co_u32 v3, vcc_lo, v7, s8
	v_subrev_co_ci_u32_e32 v4, vcc_lo, 0, v8, vcc_lo
	v_add_co_u32 v5, vcc_lo, v5, v9
	v_add_co_ci_u32_e32 v6, vcc_lo, v6, v10, vcc_lo
	v_mov_b32_e32 v9, 0
	s_delay_alu instid0(VALU_DEP_2)
	v_cmpx_lt_i64_e64 v[5:6], v[3:4]
	s_cbranch_execz .LBB106_10
; %bb.7:
	s_clause 0x1
	s_load_b128 s[4:7], s[0:1], 0x40
	s_load_b64 s[16:17], s[0:1], 0x50
	v_lshlrev_b64 v[7:8], 2, v[5:6]
	v_mov_b32_e32 v9, 0
	s_waitcnt lgkmcnt(0)
	s_delay_alu instid0(VALU_DEP_2) | instskip(NEXT) | instid1(VALU_DEP_3)
	v_add_co_u32 v7, vcc_lo, s4, v7
	v_add_co_ci_u32_e32 v8, vcc_lo, s5, v8, vcc_lo
	.p2align	6
.LBB106_8:                              ; =>This Inner Loop Header: Depth=1
	global_load_b32 v11, v[7:8], off
	v_add_co_u32 v10, vcc_lo, s6, v5
	v_add_co_u32 v7, s0, 0x80, v7
	s_delay_alu instid0(VALU_DEP_1) | instskip(SKIP_3) | instid1(VALU_DEP_2)
	v_add_co_ci_u32_e64 v8, s0, 0, v8, s0
	s_waitcnt vmcnt(0)
	v_subrev_nc_u32_e32 v12, s8, v11
	v_add_co_ci_u32_e32 v11, vcc_lo, s7, v6, vcc_lo
	v_ashrrev_i32_e32 v13, 31, v12
	global_load_i8 v14, v[10:11], off
	v_add_co_u32 v10, vcc_lo, s16, v12
	v_add_co_ci_u32_e32 v11, vcc_lo, s17, v13, vcc_lo
	v_add_co_u32 v5, vcc_lo, v5, 32
	v_add_co_ci_u32_e32 v6, vcc_lo, 0, v6, vcc_lo
	global_load_i8 v10, v[10:11], off
	v_cmp_ge_i64_e32 vcc_lo, v[5:6], v[3:4]
	s_or_b32 s15, vcc_lo, s15
	s_waitcnt vmcnt(1)
	v_cvt_f32_i32_e32 v11, v14
	s_delay_alu instid0(VALU_DEP_1) | instskip(SKIP_2) | instid1(VALU_DEP_1)
	v_mul_f32_e32 v11, s10, v11
	s_waitcnt vmcnt(0)
	v_cvt_f32_i32_e32 v10, v10
	v_fmac_f32_e32 v9, v11, v10
	s_and_not1_b32 exec_lo, exec_lo, s15
	s_cbranch_execnz .LBB106_8
; %bb.9:
	s_or_b32 exec_lo, exec_lo, s15
.LBB106_10:
	s_delay_alu instid0(SALU_CYCLE_1) | instskip(SKIP_1) | instid1(VALU_DEP_1)
	s_or_b32 exec_lo, exec_lo, s3
	v_mbcnt_lo_u32_b32 v3, -1, 0
	v_xor_b32_e32 v4, 16, v3
	v_xor_b32_e32 v5, 8, v3
	;; [unrolled: 1-line block ×3, first 2 shown]
	s_delay_alu instid0(VALU_DEP_3) | instskip(SKIP_1) | instid1(VALU_DEP_4)
	v_cmp_gt_i32_e32 vcc_lo, 32, v4
	v_cndmask_b32_e32 v4, v3, v4, vcc_lo
	v_cmp_gt_i32_e32 vcc_lo, 32, v5
	v_cndmask_b32_e32 v5, v3, v5, vcc_lo
	v_cmp_gt_i32_e32 vcc_lo, 32, v6
	s_delay_alu instid0(VALU_DEP_2)
	v_lshlrev_b32_e32 v5, 2, v5
	v_lshlrev_b32_e32 v4, 2, v4
	v_cndmask_b32_e32 v6, v3, v6, vcc_lo
	ds_bpermute_b32 v4, v4, v9
	v_lshlrev_b32_e32 v6, 2, v6
	s_waitcnt lgkmcnt(0)
	v_add_f32_e32 v4, v9, v4
	ds_bpermute_b32 v5, v5, v4
	s_waitcnt lgkmcnt(0)
	v_add_f32_e32 v4, v4, v5
	ds_bpermute_b32 v5, v6, v4
	v_xor_b32_e32 v6, 2, v3
	s_delay_alu instid0(VALU_DEP_1) | instskip(SKIP_1) | instid1(VALU_DEP_1)
	v_cmp_gt_i32_e32 vcc_lo, 32, v6
	v_cndmask_b32_e32 v6, v3, v6, vcc_lo
	v_lshlrev_b32_e32 v6, 2, v6
	s_waitcnt lgkmcnt(0)
	v_add_f32_e32 v4, v4, v5
	ds_bpermute_b32 v5, v6, v4
	v_xor_b32_e32 v6, 1, v3
	s_delay_alu instid0(VALU_DEP_1) | instskip(SKIP_3) | instid1(VALU_DEP_2)
	v_cmp_gt_i32_e32 vcc_lo, 32, v6
	v_cndmask_b32_e32 v6, v3, v6, vcc_lo
	v_cmp_eq_u32_e32 vcc_lo, 31, v0
	s_waitcnt lgkmcnt(0)
	v_dual_add_f32 v3, v4, v5 :: v_dual_lshlrev_b32 v4, 2, v6
	ds_bpermute_b32 v4, v4, v3
	s_and_b32 exec_lo, exec_lo, vcc_lo
	s_cbranch_execz .LBB106_14
; %bb.11:
	v_cmp_eq_f32_e64 s0, s2, 0
	v_lshlrev_b64 v[0:1], 2, v[1:2]
	s_waitcnt lgkmcnt(0)
	v_add_f32_e32 v3, v3, v4
	s_delay_alu instid0(VALU_DEP_3)
	s_and_b32 vcc_lo, exec_lo, s0
	s_cbranch_vccnz .LBB106_13
; %bb.12:
	s_delay_alu instid0(VALU_DEP_2)
	v_add_co_u32 v4, vcc_lo, s12, v0
	v_add_co_ci_u32_e32 v5, vcc_lo, s13, v1, vcc_lo
	global_load_b32 v2, v[4:5], off
	s_waitcnt vmcnt(0)
	v_fmac_f32_e32 v3, s2, v2
.LBB106_13:
	s_delay_alu instid0(VALU_DEP_2)
	v_add_co_u32 v0, vcc_lo, s12, v0
	v_add_co_ci_u32_e32 v1, vcc_lo, s13, v1, vcc_lo
	global_store_b32 v[0:1], v3, off
.LBB106_14:
	s_nop 0
	s_sendmsg sendmsg(MSG_DEALLOC_VGPRS)
	s_endpgm
	.section	.rodata,"a",@progbits
	.p2align	6, 0x0
	.amdhsa_kernel _ZN9rocsparseL41csrmvn_lrb_medium_rows_warp_reduce_kernelILj256ELj32EliaaffEEvbT1_lPT2_S3_jNS_24const_host_device_scalarIT6_EEPKS1_PKS2_PKT3_PKT4_S6_PT5_21rocsparse_index_base_b
		.amdhsa_group_segment_fixed_size 0
		.amdhsa_private_segment_fixed_size 0
		.amdhsa_kernarg_size 112
		.amdhsa_user_sgpr_count 15
		.amdhsa_user_sgpr_dispatch_ptr 0
		.amdhsa_user_sgpr_queue_ptr 0
		.amdhsa_user_sgpr_kernarg_segment_ptr 1
		.amdhsa_user_sgpr_dispatch_id 0
		.amdhsa_user_sgpr_private_segment_size 0
		.amdhsa_wavefront_size32 1
		.amdhsa_uses_dynamic_stack 0
		.amdhsa_enable_private_segment 0
		.amdhsa_system_sgpr_workgroup_id_x 1
		.amdhsa_system_sgpr_workgroup_id_y 0
		.amdhsa_system_sgpr_workgroup_id_z 0
		.amdhsa_system_sgpr_workgroup_info 0
		.amdhsa_system_vgpr_workitem_id 0
		.amdhsa_next_free_vgpr 15
		.amdhsa_next_free_sgpr 18
		.amdhsa_reserve_vcc 1
		.amdhsa_float_round_mode_32 0
		.amdhsa_float_round_mode_16_64 0
		.amdhsa_float_denorm_mode_32 3
		.amdhsa_float_denorm_mode_16_64 3
		.amdhsa_dx10_clamp 1
		.amdhsa_ieee_mode 1
		.amdhsa_fp16_overflow 0
		.amdhsa_workgroup_processor_mode 1
		.amdhsa_memory_ordered 1
		.amdhsa_forward_progress 0
		.amdhsa_shared_vgpr_count 0
		.amdhsa_exception_fp_ieee_invalid_op 0
		.amdhsa_exception_fp_denorm_src 0
		.amdhsa_exception_fp_ieee_div_zero 0
		.amdhsa_exception_fp_ieee_overflow 0
		.amdhsa_exception_fp_ieee_underflow 0
		.amdhsa_exception_fp_ieee_inexact 0
		.amdhsa_exception_int_div_zero 0
	.end_amdhsa_kernel
	.section	.text._ZN9rocsparseL41csrmvn_lrb_medium_rows_warp_reduce_kernelILj256ELj32EliaaffEEvbT1_lPT2_S3_jNS_24const_host_device_scalarIT6_EEPKS1_PKS2_PKT3_PKT4_S6_PT5_21rocsparse_index_base_b,"axG",@progbits,_ZN9rocsparseL41csrmvn_lrb_medium_rows_warp_reduce_kernelILj256ELj32EliaaffEEvbT1_lPT2_S3_jNS_24const_host_device_scalarIT6_EEPKS1_PKS2_PKT3_PKT4_S6_PT5_21rocsparse_index_base_b,comdat
.Lfunc_end106:
	.size	_ZN9rocsparseL41csrmvn_lrb_medium_rows_warp_reduce_kernelILj256ELj32EliaaffEEvbT1_lPT2_S3_jNS_24const_host_device_scalarIT6_EEPKS1_PKS2_PKT3_PKT4_S6_PT5_21rocsparse_index_base_b, .Lfunc_end106-_ZN9rocsparseL41csrmvn_lrb_medium_rows_warp_reduce_kernelILj256ELj32EliaaffEEvbT1_lPT2_S3_jNS_24const_host_device_scalarIT6_EEPKS1_PKS2_PKT3_PKT4_S6_PT5_21rocsparse_index_base_b
                                        ; -- End function
	.section	.AMDGPU.csdata,"",@progbits
; Kernel info:
; codeLenInByte = 900
; NumSgprs: 20
; NumVgprs: 15
; ScratchSize: 0
; MemoryBound: 0
; FloatMode: 240
; IeeeMode: 1
; LDSByteSize: 0 bytes/workgroup (compile time only)
; SGPRBlocks: 2
; VGPRBlocks: 1
; NumSGPRsForWavesPerEU: 20
; NumVGPRsForWavesPerEU: 15
; Occupancy: 16
; WaveLimiterHint : 1
; COMPUTE_PGM_RSRC2:SCRATCH_EN: 0
; COMPUTE_PGM_RSRC2:USER_SGPR: 15
; COMPUTE_PGM_RSRC2:TRAP_HANDLER: 0
; COMPUTE_PGM_RSRC2:TGID_X_EN: 1
; COMPUTE_PGM_RSRC2:TGID_Y_EN: 0
; COMPUTE_PGM_RSRC2:TGID_Z_EN: 0
; COMPUTE_PGM_RSRC2:TIDIG_COMP_CNT: 0
	.section	.text._ZN9rocsparseL41csrmvn_lrb_medium_rows_warp_reduce_kernelILj256ELj64EliaaffEEvbT1_lPT2_S3_jNS_24const_host_device_scalarIT6_EEPKS1_PKS2_PKT3_PKT4_S6_PT5_21rocsparse_index_base_b,"axG",@progbits,_ZN9rocsparseL41csrmvn_lrb_medium_rows_warp_reduce_kernelILj256ELj64EliaaffEEvbT1_lPT2_S3_jNS_24const_host_device_scalarIT6_EEPKS1_PKS2_PKT3_PKT4_S6_PT5_21rocsparse_index_base_b,comdat
	.globl	_ZN9rocsparseL41csrmvn_lrb_medium_rows_warp_reduce_kernelILj256ELj64EliaaffEEvbT1_lPT2_S3_jNS_24const_host_device_scalarIT6_EEPKS1_PKS2_PKT3_PKT4_S6_PT5_21rocsparse_index_base_b ; -- Begin function _ZN9rocsparseL41csrmvn_lrb_medium_rows_warp_reduce_kernelILj256ELj64EliaaffEEvbT1_lPT2_S3_jNS_24const_host_device_scalarIT6_EEPKS1_PKS2_PKT3_PKT4_S6_PT5_21rocsparse_index_base_b
	.p2align	8
	.type	_ZN9rocsparseL41csrmvn_lrb_medium_rows_warp_reduce_kernelILj256ELj64EliaaffEEvbT1_lPT2_S3_jNS_24const_host_device_scalarIT6_EEPKS1_PKS2_PKT3_PKT4_S6_PT5_21rocsparse_index_base_b,@function
_ZN9rocsparseL41csrmvn_lrb_medium_rows_warp_reduce_kernelILj256ELj64EliaaffEEvbT1_lPT2_S3_jNS_24const_host_device_scalarIT6_EEPKS1_PKS2_PKT3_PKT4_S6_PT5_21rocsparse_index_base_b: ; @_ZN9rocsparseL41csrmvn_lrb_medium_rows_warp_reduce_kernelILj256ELj64EliaaffEEvbT1_lPT2_S3_jNS_24const_host_device_scalarIT6_EEPKS1_PKS2_PKT3_PKT4_S6_PT5_21rocsparse_index_base_b
; %bb.0:
	s_clause 0x2
	s_load_b64 s[8:9], s[0:1], 0x68
	s_load_b64 s[10:11], s[0:1], 0x30
	;; [unrolled: 1-line block ×3, first 2 shown]
	s_waitcnt lgkmcnt(0)
	s_bitcmp1_b32 s9, 0
	s_cselect_b32 s4, -1, 0
	s_delay_alu instid0(SALU_CYCLE_1)
	s_and_b32 vcc_lo, exec_lo, s4
	s_xor_b32 s4, s4, -1
	s_cbranch_vccnz .LBB107_2
; %bb.1:
	s_load_b32 s10, s[10:11], 0x0
.LBB107_2:
	s_and_not1_b32 vcc_lo, exec_lo, s4
	s_cbranch_vccnz .LBB107_4
; %bb.3:
	s_load_b32 s2, s[2:3], 0x0
.LBB107_4:
	s_waitcnt lgkmcnt(0)
	v_cmp_neq_f32_e64 s3, s10, 0
	v_cmp_neq_f32_e64 s4, s2, 1.0
	s_delay_alu instid0(VALU_DEP_1) | instskip(NEXT) | instid1(SALU_CYCLE_1)
	s_or_b32 s3, s3, s4
	s_and_not1_b32 vcc_lo, exec_lo, s3
	s_cbranch_vccnz .LBB107_14
; %bb.5:
	s_load_b64 s[4:5], s[0:1], 0x10
	v_lshrrev_b32_e32 v1, 6, v0
	s_mov_b32 s3, exec_lo
	s_delay_alu instid0(VALU_DEP_1) | instskip(NEXT) | instid1(VALU_DEP_1)
	v_lshl_or_b32 v1, s15, 2, v1
	v_ashrrev_i32_e32 v2, 31, v1
	s_waitcnt lgkmcnt(0)
	s_delay_alu instid0(VALU_DEP_1)
	v_cmpx_gt_i64_e64 s[4:5], v[1:2]
	s_cbranch_execz .LBB107_14
; %bb.6:
	s_clause 0x1
	s_load_b32 s14, s[0:1], 0x28
	s_load_b128 s[4:7], s[0:1], 0x18
	s_mov_b32 s15, 0
	v_and_b32_e32 v0, 63, v0
	s_waitcnt lgkmcnt(0)
	s_lshl_b64 s[12:13], s[14:15], 2
	s_delay_alu instid0(SALU_CYCLE_1)
	s_add_u32 s6, s6, s12
	s_addc_u32 s7, s7, s13
	s_load_b64 s[12:13], s[0:1], 0x60
	s_load_b32 s3, s[6:7], 0x0
	s_waitcnt lgkmcnt(0)
	v_add_nc_u32_e32 v1, s3, v1
	v_sub_co_u32 v9, s3, v0, s8
	s_delay_alu instid0(VALU_DEP_1) | instskip(NEXT) | instid1(VALU_DEP_3)
	v_sub_co_ci_u32_e64 v10, null, 0, 0, s3
	v_ashrrev_i32_e32 v2, 31, v1
	s_mov_b32 s3, exec_lo
	s_delay_alu instid0(VALU_DEP_1) | instskip(NEXT) | instid1(VALU_DEP_1)
	v_lshlrev_b64 v[1:2], 2, v[1:2]
	v_add_co_u32 v1, vcc_lo, s4, v1
	s_delay_alu instid0(VALU_DEP_2) | instskip(SKIP_4) | instid1(VALU_DEP_1)
	v_add_co_ci_u32_e32 v2, vcc_lo, s5, v2, vcc_lo
	s_load_b64 s[4:5], s[0:1], 0x38
	global_load_b32 v1, v[1:2], off
	s_waitcnt vmcnt(0)
	v_ashrrev_i32_e32 v2, 31, v1
	v_lshlrev_b64 v[3:4], 3, v[1:2]
	s_waitcnt lgkmcnt(0)
	s_delay_alu instid0(VALU_DEP_1) | instskip(NEXT) | instid1(VALU_DEP_2)
	v_add_co_u32 v3, vcc_lo, s4, v3
	v_add_co_ci_u32_e32 v4, vcc_lo, s5, v4, vcc_lo
	global_load_b128 v[5:8], v[3:4], off
	s_waitcnt vmcnt(0)
	v_sub_co_u32 v3, vcc_lo, v7, s8
	v_subrev_co_ci_u32_e32 v4, vcc_lo, 0, v8, vcc_lo
	v_add_co_u32 v5, vcc_lo, v5, v9
	v_add_co_ci_u32_e32 v6, vcc_lo, v6, v10, vcc_lo
	v_mov_b32_e32 v9, 0
	s_delay_alu instid0(VALU_DEP_2)
	v_cmpx_lt_i64_e64 v[5:6], v[3:4]
	s_cbranch_execz .LBB107_10
; %bb.7:
	s_clause 0x1
	s_load_b128 s[4:7], s[0:1], 0x40
	s_load_b64 s[16:17], s[0:1], 0x50
	v_lshlrev_b64 v[7:8], 2, v[5:6]
	v_mov_b32_e32 v9, 0
	s_waitcnt lgkmcnt(0)
	s_delay_alu instid0(VALU_DEP_2) | instskip(NEXT) | instid1(VALU_DEP_3)
	v_add_co_u32 v7, vcc_lo, s4, v7
	v_add_co_ci_u32_e32 v8, vcc_lo, s5, v8, vcc_lo
	.p2align	6
.LBB107_8:                              ; =>This Inner Loop Header: Depth=1
	global_load_b32 v11, v[7:8], off
	v_add_co_u32 v10, vcc_lo, s6, v5
	v_add_co_u32 v7, s0, 0x100, v7
	s_delay_alu instid0(VALU_DEP_1) | instskip(SKIP_3) | instid1(VALU_DEP_2)
	v_add_co_ci_u32_e64 v8, s0, 0, v8, s0
	s_waitcnt vmcnt(0)
	v_subrev_nc_u32_e32 v12, s8, v11
	v_add_co_ci_u32_e32 v11, vcc_lo, s7, v6, vcc_lo
	v_ashrrev_i32_e32 v13, 31, v12
	global_load_i8 v14, v[10:11], off
	v_add_co_u32 v10, vcc_lo, s16, v12
	v_add_co_ci_u32_e32 v11, vcc_lo, s17, v13, vcc_lo
	v_add_co_u32 v5, vcc_lo, v5, 64
	v_add_co_ci_u32_e32 v6, vcc_lo, 0, v6, vcc_lo
	global_load_i8 v10, v[10:11], off
	v_cmp_ge_i64_e32 vcc_lo, v[5:6], v[3:4]
	s_or_b32 s15, vcc_lo, s15
	s_waitcnt vmcnt(1)
	v_cvt_f32_i32_e32 v11, v14
	s_delay_alu instid0(VALU_DEP_1) | instskip(SKIP_2) | instid1(VALU_DEP_1)
	v_mul_f32_e32 v11, s10, v11
	s_waitcnt vmcnt(0)
	v_cvt_f32_i32_e32 v10, v10
	v_fmac_f32_e32 v9, v11, v10
	s_and_not1_b32 exec_lo, exec_lo, s15
	s_cbranch_execnz .LBB107_8
; %bb.9:
	s_or_b32 exec_lo, exec_lo, s15
.LBB107_10:
	s_delay_alu instid0(SALU_CYCLE_1) | instskip(SKIP_1) | instid1(VALU_DEP_1)
	s_or_b32 exec_lo, exec_lo, s3
	v_mbcnt_lo_u32_b32 v3, -1, 0
	v_or_b32_e32 v4, 32, v3
	v_xor_b32_e32 v5, 16, v3
	v_xor_b32_e32 v6, 8, v3
	s_delay_alu instid0(VALU_DEP_3) | instskip(SKIP_1) | instid1(VALU_DEP_4)
	v_cmp_gt_i32_e32 vcc_lo, 32, v4
	v_cndmask_b32_e32 v4, v3, v4, vcc_lo
	v_cmp_gt_i32_e32 vcc_lo, 32, v5
	v_cndmask_b32_e32 v5, v3, v5, vcc_lo
	v_cmp_gt_i32_e32 vcc_lo, 32, v6
	s_delay_alu instid0(VALU_DEP_2)
	v_lshlrev_b32_e32 v5, 2, v5
	v_lshlrev_b32_e32 v4, 2, v4
	v_cndmask_b32_e32 v6, v3, v6, vcc_lo
	ds_bpermute_b32 v4, v4, v9
	v_lshlrev_b32_e32 v6, 2, v6
	s_waitcnt lgkmcnt(0)
	v_add_f32_e32 v4, v9, v4
	ds_bpermute_b32 v5, v5, v4
	s_waitcnt lgkmcnt(0)
	v_add_f32_e32 v4, v4, v5
	ds_bpermute_b32 v5, v6, v4
	v_xor_b32_e32 v6, 4, v3
	s_delay_alu instid0(VALU_DEP_1) | instskip(SKIP_1) | instid1(VALU_DEP_1)
	v_cmp_gt_i32_e32 vcc_lo, 32, v6
	v_cndmask_b32_e32 v6, v3, v6, vcc_lo
	v_lshlrev_b32_e32 v6, 2, v6
	s_waitcnt lgkmcnt(0)
	v_add_f32_e32 v4, v4, v5
	ds_bpermute_b32 v5, v6, v4
	v_xor_b32_e32 v6, 2, v3
	s_delay_alu instid0(VALU_DEP_1) | instskip(SKIP_1) | instid1(VALU_DEP_1)
	v_cmp_gt_i32_e32 vcc_lo, 32, v6
	v_cndmask_b32_e32 v6, v3, v6, vcc_lo
	v_lshlrev_b32_e32 v6, 2, v6
	s_waitcnt lgkmcnt(0)
	v_add_f32_e32 v4, v4, v5
	ds_bpermute_b32 v5, v6, v4
	v_xor_b32_e32 v6, 1, v3
	s_delay_alu instid0(VALU_DEP_1) | instskip(SKIP_3) | instid1(VALU_DEP_2)
	v_cmp_gt_i32_e32 vcc_lo, 32, v6
	v_cndmask_b32_e32 v6, v3, v6, vcc_lo
	v_cmp_eq_u32_e32 vcc_lo, 63, v0
	s_waitcnt lgkmcnt(0)
	v_dual_add_f32 v3, v4, v5 :: v_dual_lshlrev_b32 v4, 2, v6
	ds_bpermute_b32 v4, v4, v3
	s_and_b32 exec_lo, exec_lo, vcc_lo
	s_cbranch_execz .LBB107_14
; %bb.11:
	v_cmp_eq_f32_e64 s0, s2, 0
	v_lshlrev_b64 v[0:1], 2, v[1:2]
	s_waitcnt lgkmcnt(0)
	v_add_f32_e32 v3, v3, v4
	s_delay_alu instid0(VALU_DEP_3)
	s_and_b32 vcc_lo, exec_lo, s0
	s_cbranch_vccnz .LBB107_13
; %bb.12:
	s_delay_alu instid0(VALU_DEP_2)
	v_add_co_u32 v4, vcc_lo, s12, v0
	v_add_co_ci_u32_e32 v5, vcc_lo, s13, v1, vcc_lo
	global_load_b32 v2, v[4:5], off
	s_waitcnt vmcnt(0)
	v_fmac_f32_e32 v3, s2, v2
.LBB107_13:
	s_delay_alu instid0(VALU_DEP_2)
	v_add_co_u32 v0, vcc_lo, s12, v0
	v_add_co_ci_u32_e32 v1, vcc_lo, s13, v1, vcc_lo
	global_store_b32 v[0:1], v3, off
.LBB107_14:
	s_nop 0
	s_sendmsg sendmsg(MSG_DEALLOC_VGPRS)
	s_endpgm
	.section	.rodata,"a",@progbits
	.p2align	6, 0x0
	.amdhsa_kernel _ZN9rocsparseL41csrmvn_lrb_medium_rows_warp_reduce_kernelILj256ELj64EliaaffEEvbT1_lPT2_S3_jNS_24const_host_device_scalarIT6_EEPKS1_PKS2_PKT3_PKT4_S6_PT5_21rocsparse_index_base_b
		.amdhsa_group_segment_fixed_size 0
		.amdhsa_private_segment_fixed_size 0
		.amdhsa_kernarg_size 112
		.amdhsa_user_sgpr_count 15
		.amdhsa_user_sgpr_dispatch_ptr 0
		.amdhsa_user_sgpr_queue_ptr 0
		.amdhsa_user_sgpr_kernarg_segment_ptr 1
		.amdhsa_user_sgpr_dispatch_id 0
		.amdhsa_user_sgpr_private_segment_size 0
		.amdhsa_wavefront_size32 1
		.amdhsa_uses_dynamic_stack 0
		.amdhsa_enable_private_segment 0
		.amdhsa_system_sgpr_workgroup_id_x 1
		.amdhsa_system_sgpr_workgroup_id_y 0
		.amdhsa_system_sgpr_workgroup_id_z 0
		.amdhsa_system_sgpr_workgroup_info 0
		.amdhsa_system_vgpr_workitem_id 0
		.amdhsa_next_free_vgpr 15
		.amdhsa_next_free_sgpr 18
		.amdhsa_reserve_vcc 1
		.amdhsa_float_round_mode_32 0
		.amdhsa_float_round_mode_16_64 0
		.amdhsa_float_denorm_mode_32 3
		.amdhsa_float_denorm_mode_16_64 3
		.amdhsa_dx10_clamp 1
		.amdhsa_ieee_mode 1
		.amdhsa_fp16_overflow 0
		.amdhsa_workgroup_processor_mode 1
		.amdhsa_memory_ordered 1
		.amdhsa_forward_progress 0
		.amdhsa_shared_vgpr_count 0
		.amdhsa_exception_fp_ieee_invalid_op 0
		.amdhsa_exception_fp_denorm_src 0
		.amdhsa_exception_fp_ieee_div_zero 0
		.amdhsa_exception_fp_ieee_overflow 0
		.amdhsa_exception_fp_ieee_underflow 0
		.amdhsa_exception_fp_ieee_inexact 0
		.amdhsa_exception_int_div_zero 0
	.end_amdhsa_kernel
	.section	.text._ZN9rocsparseL41csrmvn_lrb_medium_rows_warp_reduce_kernelILj256ELj64EliaaffEEvbT1_lPT2_S3_jNS_24const_host_device_scalarIT6_EEPKS1_PKS2_PKT3_PKT4_S6_PT5_21rocsparse_index_base_b,"axG",@progbits,_ZN9rocsparseL41csrmvn_lrb_medium_rows_warp_reduce_kernelILj256ELj64EliaaffEEvbT1_lPT2_S3_jNS_24const_host_device_scalarIT6_EEPKS1_PKS2_PKT3_PKT4_S6_PT5_21rocsparse_index_base_b,comdat
.Lfunc_end107:
	.size	_ZN9rocsparseL41csrmvn_lrb_medium_rows_warp_reduce_kernelILj256ELj64EliaaffEEvbT1_lPT2_S3_jNS_24const_host_device_scalarIT6_EEPKS1_PKS2_PKT3_PKT4_S6_PT5_21rocsparse_index_base_b, .Lfunc_end107-_ZN9rocsparseL41csrmvn_lrb_medium_rows_warp_reduce_kernelILj256ELj64EliaaffEEvbT1_lPT2_S3_jNS_24const_host_device_scalarIT6_EEPKS1_PKS2_PKT3_PKT4_S6_PT5_21rocsparse_index_base_b
                                        ; -- End function
	.section	.AMDGPU.csdata,"",@progbits
; Kernel info:
; codeLenInByte = 936
; NumSgprs: 20
; NumVgprs: 15
; ScratchSize: 0
; MemoryBound: 0
; FloatMode: 240
; IeeeMode: 1
; LDSByteSize: 0 bytes/workgroup (compile time only)
; SGPRBlocks: 2
; VGPRBlocks: 1
; NumSGPRsForWavesPerEU: 20
; NumVGPRsForWavesPerEU: 15
; Occupancy: 16
; WaveLimiterHint : 1
; COMPUTE_PGM_RSRC2:SCRATCH_EN: 0
; COMPUTE_PGM_RSRC2:USER_SGPR: 15
; COMPUTE_PGM_RSRC2:TRAP_HANDLER: 0
; COMPUTE_PGM_RSRC2:TGID_X_EN: 1
; COMPUTE_PGM_RSRC2:TGID_Y_EN: 0
; COMPUTE_PGM_RSRC2:TGID_Z_EN: 0
; COMPUTE_PGM_RSRC2:TIDIG_COMP_CNT: 0
	.section	.text._ZN9rocsparseL29csrmvn_lrb_medium_rows_kernelILj256EliaaffEEvbT0_PT1_S3_jNS_24const_host_device_scalarIT5_EEPKS1_PKS2_PKT2_PKT3_S6_PT4_21rocsparse_index_base_b,"axG",@progbits,_ZN9rocsparseL29csrmvn_lrb_medium_rows_kernelILj256EliaaffEEvbT0_PT1_S3_jNS_24const_host_device_scalarIT5_EEPKS1_PKS2_PKT2_PKT3_S6_PT4_21rocsparse_index_base_b,comdat
	.globl	_ZN9rocsparseL29csrmvn_lrb_medium_rows_kernelILj256EliaaffEEvbT0_PT1_S3_jNS_24const_host_device_scalarIT5_EEPKS1_PKS2_PKT2_PKT3_S6_PT4_21rocsparse_index_base_b ; -- Begin function _ZN9rocsparseL29csrmvn_lrb_medium_rows_kernelILj256EliaaffEEvbT0_PT1_S3_jNS_24const_host_device_scalarIT5_EEPKS1_PKS2_PKT2_PKT3_S6_PT4_21rocsparse_index_base_b
	.p2align	8
	.type	_ZN9rocsparseL29csrmvn_lrb_medium_rows_kernelILj256EliaaffEEvbT0_PT1_S3_jNS_24const_host_device_scalarIT5_EEPKS1_PKS2_PKT2_PKT3_S6_PT4_21rocsparse_index_base_b,@function
_ZN9rocsparseL29csrmvn_lrb_medium_rows_kernelILj256EliaaffEEvbT0_PT1_S3_jNS_24const_host_device_scalarIT5_EEPKS1_PKS2_PKT2_PKT3_S6_PT4_21rocsparse_index_base_b: ; @_ZN9rocsparseL29csrmvn_lrb_medium_rows_kernelILj256EliaaffEEvbT0_PT1_S3_jNS_24const_host_device_scalarIT5_EEPKS1_PKS2_PKT2_PKT3_S6_PT4_21rocsparse_index_base_b
; %bb.0:
	s_clause 0x2
	s_load_b64 s[12:13], s[0:1], 0x60
	s_load_b64 s[16:17], s[0:1], 0x28
	;; [unrolled: 1-line block ×3, first 2 shown]
	s_waitcnt lgkmcnt(0)
	s_bitcmp1_b32 s13, 0
	s_cselect_b32 s4, -1, 0
	s_delay_alu instid0(SALU_CYCLE_1)
	s_and_b32 vcc_lo, exec_lo, s4
	s_xor_b32 s4, s4, -1
	s_cbranch_vccnz .LBB108_2
; %bb.1:
	s_load_b32 s16, s[16:17], 0x0
.LBB108_2:
	s_and_not1_b32 vcc_lo, exec_lo, s4
	s_cbranch_vccnz .LBB108_4
; %bb.3:
	s_load_b32 s2, s[2:3], 0x0
.LBB108_4:
	s_waitcnt lgkmcnt(0)
	v_cmp_neq_f32_e64 s3, s16, 0
	v_cmp_neq_f32_e64 s4, s2, 1.0
	s_mov_b32 s5, 0
	s_delay_alu instid0(VALU_DEP_1) | instskip(NEXT) | instid1(SALU_CYCLE_1)
	s_or_b32 s3, s3, s4
	s_and_not1_b32 vcc_lo, exec_lo, s3
	s_cbranch_vccnz .LBB108_29
; %bb.5:
	s_clause 0x1
	s_load_b32 s4, s[0:1], 0x20
	s_load_b128 s[8:11], s[0:1], 0x10
	v_mov_b32_e32 v5, 0
	s_waitcnt lgkmcnt(0)
	s_lshl_b64 s[4:5], s[4:5], 2
	s_delay_alu instid0(SALU_CYCLE_1)
	s_add_u32 s4, s10, s4
	s_addc_u32 s5, s11, s5
	s_load_b32 s3, s[4:5], 0x0
	s_waitcnt lgkmcnt(0)
	s_add_i32 s4, s3, s15
	v_sub_co_u32 v1, s3, v0, s12
	s_ashr_i32 s5, s4, 31
	v_sub_co_ci_u32_e64 v2, null, 0, 0, s3
	s_lshl_b64 s[4:5], s[4:5], 2
	s_mov_b32 s3, exec_lo
	s_add_u32 s4, s8, s4
	s_addc_u32 s5, s9, s5
	s_load_b32 s8, s[4:5], 0x0
	s_load_b64 s[4:5], s[0:1], 0x30
	s_waitcnt lgkmcnt(0)
	s_ashr_i32 s9, s8, 31
	s_delay_alu instid0(SALU_CYCLE_1) | instskip(NEXT) | instid1(SALU_CYCLE_1)
	s_lshl_b64 s[6:7], s[8:9], 3
	s_add_u32 s4, s4, s6
	s_addc_u32 s5, s5, s7
	s_load_b128 s[4:7], s[4:5], 0x0
	s_load_b64 s[10:11], s[0:1], 0x58
	s_waitcnt lgkmcnt(0)
	v_add_co_u32 v1, vcc_lo, s4, v1
	v_add_co_ci_u32_e32 v2, vcc_lo, s5, v2, vcc_lo
	s_sub_u32 s14, s6, s12
	s_subb_u32 s15, s7, 0
	s_delay_alu instid0(VALU_DEP_1) | instid1(SALU_CYCLE_1)
	v_cmpx_gt_i64_e64 s[14:15], v[1:2]
	s_cbranch_execz .LBB108_9
; %bb.6:
	s_clause 0x1
	s_load_b128 s[4:7], s[0:1], 0x38
	s_load_b64 s[18:19], s[0:1], 0x48
	v_lshlrev_b64 v[3:4], 2, v[1:2]
	v_mov_b32_e32 v5, 0
	s_mov_b32 s1, 0
	s_waitcnt lgkmcnt(0)
	s_delay_alu instid0(VALU_DEP_2) | instskip(NEXT) | instid1(VALU_DEP_3)
	v_add_co_u32 v3, vcc_lo, s4, v3
	v_add_co_ci_u32_e32 v4, vcc_lo, s5, v4, vcc_lo
	.p2align	6
.LBB108_7:                              ; =>This Inner Loop Header: Depth=1
	global_load_b32 v7, v[3:4], off
	v_add_co_u32 v6, vcc_lo, s6, v1
	v_add_co_u32 v3, s0, 0x400, v3
	s_delay_alu instid0(VALU_DEP_1) | instskip(SKIP_3) | instid1(VALU_DEP_2)
	v_add_co_ci_u32_e64 v4, s0, 0, v4, s0
	s_waitcnt vmcnt(0)
	v_subrev_nc_u32_e32 v8, s12, v7
	v_add_co_ci_u32_e32 v7, vcc_lo, s7, v2, vcc_lo
	v_ashrrev_i32_e32 v9, 31, v8
	global_load_i8 v10, v[6:7], off
	v_add_co_u32 v6, vcc_lo, s18, v8
	v_add_co_ci_u32_e32 v7, vcc_lo, s19, v9, vcc_lo
	v_add_co_u32 v1, vcc_lo, 0x100, v1
	v_add_co_ci_u32_e32 v2, vcc_lo, 0, v2, vcc_lo
	global_load_i8 v6, v[6:7], off
	v_cmp_le_i64_e32 vcc_lo, s[14:15], v[1:2]
	s_or_b32 s1, vcc_lo, s1
	s_waitcnt vmcnt(1)
	v_cvt_f32_i32_e32 v7, v10
	s_delay_alu instid0(VALU_DEP_1) | instskip(SKIP_2) | instid1(VALU_DEP_1)
	v_mul_f32_e32 v7, s16, v7
	s_waitcnt vmcnt(0)
	v_cvt_f32_i32_e32 v6, v6
	v_fmac_f32_e32 v5, v7, v6
	s_and_not1_b32 exec_lo, exec_lo, s1
	s_cbranch_execnz .LBB108_7
; %bb.8:
	s_or_b32 exec_lo, exec_lo, s1
.LBB108_9:
	s_delay_alu instid0(SALU_CYCLE_1)
	s_or_b32 exec_lo, exec_lo, s3
	v_lshlrev_b32_e32 v1, 2, v0
	s_mov_b32 s0, exec_lo
	ds_store_b32 v1, v5
	s_waitcnt lgkmcnt(0)
	s_barrier
	buffer_gl0_inv
	v_cmpx_gt_u32_e32 0x80, v0
	s_cbranch_execz .LBB108_11
; %bb.10:
	ds_load_2addr_stride64_b32 v[2:3], v1 offset1:2
	s_waitcnt lgkmcnt(0)
	v_add_f32_e32 v2, v2, v3
	ds_store_b32 v1, v2
.LBB108_11:
	s_or_b32 exec_lo, exec_lo, s0
	s_delay_alu instid0(SALU_CYCLE_1)
	s_mov_b32 s0, exec_lo
	s_waitcnt lgkmcnt(0)
	s_barrier
	buffer_gl0_inv
	v_cmpx_gt_u32_e32 64, v0
	s_cbranch_execz .LBB108_13
; %bb.12:
	ds_load_2addr_stride64_b32 v[2:3], v1 offset1:1
	s_waitcnt lgkmcnt(0)
	v_add_f32_e32 v2, v2, v3
	ds_store_b32 v1, v2
.LBB108_13:
	s_or_b32 exec_lo, exec_lo, s0
	s_delay_alu instid0(SALU_CYCLE_1)
	s_mov_b32 s0, exec_lo
	s_waitcnt lgkmcnt(0)
	s_barrier
	buffer_gl0_inv
	v_cmpx_gt_u32_e32 32, v0
	s_cbranch_execz .LBB108_15
; %bb.14:
	ds_load_2addr_b32 v[2:3], v1 offset1:32
	s_waitcnt lgkmcnt(0)
	v_add_f32_e32 v2, v2, v3
	ds_store_b32 v1, v2
.LBB108_15:
	s_or_b32 exec_lo, exec_lo, s0
	s_delay_alu instid0(SALU_CYCLE_1)
	s_mov_b32 s0, exec_lo
	s_waitcnt lgkmcnt(0)
	s_barrier
	buffer_gl0_inv
	v_cmpx_gt_u32_e32 16, v0
	s_cbranch_execz .LBB108_17
; %bb.16:
	ds_load_2addr_b32 v[2:3], v1 offset1:16
	s_waitcnt lgkmcnt(0)
	v_add_f32_e32 v2, v2, v3
	ds_store_b32 v1, v2
.LBB108_17:
	;; [unrolled: 14-line block ×5, first 2 shown]
	s_or_b32 exec_lo, exec_lo, s0
	v_cmp_eq_u32_e32 vcc_lo, 0, v0
	s_waitcnt lgkmcnt(0)
	s_barrier
	buffer_gl0_inv
	s_and_saveexec_b32 s0, vcc_lo
	s_cbranch_execz .LBB108_25
; %bb.24:
	v_mov_b32_e32 v2, 0
	ds_load_b64 v[0:1], v2
	s_waitcnt lgkmcnt(0)
	v_add_f32_e32 v0, v0, v1
	ds_store_b32 v2, v0
.LBB108_25:
	s_or_b32 exec_lo, exec_lo, s0
	s_waitcnt lgkmcnt(0)
	s_barrier
	buffer_gl0_inv
	s_and_saveexec_b32 s0, vcc_lo
	s_cbranch_execz .LBB108_29
; %bb.26:
	v_mov_b32_e32 v0, 0
	v_cmp_eq_f32_e64 s0, s2, 0
	ds_load_b32 v1, v0
	s_and_b32 vcc_lo, exec_lo, s0
	s_cbranch_vccnz .LBB108_28
; %bb.27:
	s_lshl_b64 s[0:1], s[8:9], 2
	s_delay_alu instid0(SALU_CYCLE_1)
	s_add_u32 s0, s10, s0
	s_addc_u32 s1, s11, s1
	s_load_b32 s0, s[0:1], 0x0
	s_waitcnt lgkmcnt(0)
	v_fmac_f32_e64 v1, s2, s0
.LBB108_28:
	s_lshl_b64 s[0:1], s[8:9], 2
	s_delay_alu instid0(SALU_CYCLE_1)
	s_add_u32 s0, s10, s0
	s_addc_u32 s1, s11, s1
	s_waitcnt lgkmcnt(0)
	global_store_b32 v0, v1, s[0:1]
.LBB108_29:
	s_nop 0
	s_sendmsg sendmsg(MSG_DEALLOC_VGPRS)
	s_endpgm
	.section	.rodata,"a",@progbits
	.p2align	6, 0x0
	.amdhsa_kernel _ZN9rocsparseL29csrmvn_lrb_medium_rows_kernelILj256EliaaffEEvbT0_PT1_S3_jNS_24const_host_device_scalarIT5_EEPKS1_PKS2_PKT2_PKT3_S6_PT4_21rocsparse_index_base_b
		.amdhsa_group_segment_fixed_size 1024
		.amdhsa_private_segment_fixed_size 0
		.amdhsa_kernarg_size 104
		.amdhsa_user_sgpr_count 15
		.amdhsa_user_sgpr_dispatch_ptr 0
		.amdhsa_user_sgpr_queue_ptr 0
		.amdhsa_user_sgpr_kernarg_segment_ptr 1
		.amdhsa_user_sgpr_dispatch_id 0
		.amdhsa_user_sgpr_private_segment_size 0
		.amdhsa_wavefront_size32 1
		.amdhsa_uses_dynamic_stack 0
		.amdhsa_enable_private_segment 0
		.amdhsa_system_sgpr_workgroup_id_x 1
		.amdhsa_system_sgpr_workgroup_id_y 0
		.amdhsa_system_sgpr_workgroup_id_z 0
		.amdhsa_system_sgpr_workgroup_info 0
		.amdhsa_system_vgpr_workitem_id 0
		.amdhsa_next_free_vgpr 11
		.amdhsa_next_free_sgpr 20
		.amdhsa_reserve_vcc 1
		.amdhsa_float_round_mode_32 0
		.amdhsa_float_round_mode_16_64 0
		.amdhsa_float_denorm_mode_32 3
		.amdhsa_float_denorm_mode_16_64 3
		.amdhsa_dx10_clamp 1
		.amdhsa_ieee_mode 1
		.amdhsa_fp16_overflow 0
		.amdhsa_workgroup_processor_mode 1
		.amdhsa_memory_ordered 1
		.amdhsa_forward_progress 0
		.amdhsa_shared_vgpr_count 0
		.amdhsa_exception_fp_ieee_invalid_op 0
		.amdhsa_exception_fp_denorm_src 0
		.amdhsa_exception_fp_ieee_div_zero 0
		.amdhsa_exception_fp_ieee_overflow 0
		.amdhsa_exception_fp_ieee_underflow 0
		.amdhsa_exception_fp_ieee_inexact 0
		.amdhsa_exception_int_div_zero 0
	.end_amdhsa_kernel
	.section	.text._ZN9rocsparseL29csrmvn_lrb_medium_rows_kernelILj256EliaaffEEvbT0_PT1_S3_jNS_24const_host_device_scalarIT5_EEPKS1_PKS2_PKT2_PKT3_S6_PT4_21rocsparse_index_base_b,"axG",@progbits,_ZN9rocsparseL29csrmvn_lrb_medium_rows_kernelILj256EliaaffEEvbT0_PT1_S3_jNS_24const_host_device_scalarIT5_EEPKS1_PKS2_PKT2_PKT3_S6_PT4_21rocsparse_index_base_b,comdat
.Lfunc_end108:
	.size	_ZN9rocsparseL29csrmvn_lrb_medium_rows_kernelILj256EliaaffEEvbT0_PT1_S3_jNS_24const_host_device_scalarIT5_EEPKS1_PKS2_PKT2_PKT3_S6_PT4_21rocsparse_index_base_b, .Lfunc_end108-_ZN9rocsparseL29csrmvn_lrb_medium_rows_kernelILj256EliaaffEEvbT0_PT1_S3_jNS_24const_host_device_scalarIT5_EEPKS1_PKS2_PKT2_PKT3_S6_PT4_21rocsparse_index_base_b
                                        ; -- End function
	.section	.AMDGPU.csdata,"",@progbits
; Kernel info:
; codeLenInByte = 1144
; NumSgprs: 22
; NumVgprs: 11
; ScratchSize: 0
; MemoryBound: 0
; FloatMode: 240
; IeeeMode: 1
; LDSByteSize: 1024 bytes/workgroup (compile time only)
; SGPRBlocks: 2
; VGPRBlocks: 1
; NumSGPRsForWavesPerEU: 22
; NumVGPRsForWavesPerEU: 11
; Occupancy: 16
; WaveLimiterHint : 1
; COMPUTE_PGM_RSRC2:SCRATCH_EN: 0
; COMPUTE_PGM_RSRC2:USER_SGPR: 15
; COMPUTE_PGM_RSRC2:TRAP_HANDLER: 0
; COMPUTE_PGM_RSRC2:TGID_X_EN: 1
; COMPUTE_PGM_RSRC2:TGID_Y_EN: 0
; COMPUTE_PGM_RSRC2:TGID_Z_EN: 0
; COMPUTE_PGM_RSRC2:TIDIG_COMP_CNT: 0
	.section	.text._ZN9rocsparseL27csrmvn_lrb_long_rows_kernelIliaaffEEvbT_PjPT0_S4_jNS_24const_host_device_scalarIT4_EEPKS1_PKS3_PKT1_PKT2_S7_PT3_21rocsparse_index_base_b,"axG",@progbits,_ZN9rocsparseL27csrmvn_lrb_long_rows_kernelIliaaffEEvbT_PjPT0_S4_jNS_24const_host_device_scalarIT4_EEPKS1_PKS3_PKT1_PKT2_S7_PT3_21rocsparse_index_base_b,comdat
	.globl	_ZN9rocsparseL27csrmvn_lrb_long_rows_kernelIliaaffEEvbT_PjPT0_S4_jNS_24const_host_device_scalarIT4_EEPKS1_PKS3_PKT1_PKT2_S7_PT3_21rocsparse_index_base_b ; -- Begin function _ZN9rocsparseL27csrmvn_lrb_long_rows_kernelIliaaffEEvbT_PjPT0_S4_jNS_24const_host_device_scalarIT4_EEPKS1_PKS3_PKT1_PKT2_S7_PT3_21rocsparse_index_base_b
	.p2align	8
	.type	_ZN9rocsparseL27csrmvn_lrb_long_rows_kernelIliaaffEEvbT_PjPT0_S4_jNS_24const_host_device_scalarIT4_EEPKS1_PKS3_PKT1_PKT2_S7_PT3_21rocsparse_index_base_b,@function
_ZN9rocsparseL27csrmvn_lrb_long_rows_kernelIliaaffEEvbT_PjPT0_S4_jNS_24const_host_device_scalarIT4_EEPKS1_PKS3_PKT1_PKT2_S7_PT3_21rocsparse_index_base_b: ; @_ZN9rocsparseL27csrmvn_lrb_long_rows_kernelIliaaffEEvbT_PjPT0_S4_jNS_24const_host_device_scalarIT4_EEPKS1_PKS3_PKT1_PKT2_S7_PT3_21rocsparse_index_base_b
; %bb.0:
	s_clause 0x2
	s_load_b64 s[16:17], s[0:1], 0x68
	s_load_b64 s[18:19], s[0:1], 0x30
	;; [unrolled: 1-line block ×3, first 2 shown]
	s_mov_b32 s8, s15
	s_waitcnt lgkmcnt(0)
	s_bitcmp1_b32 s17, 0
	s_cselect_b32 s2, -1, 0
	s_delay_alu instid0(SALU_CYCLE_1)
	s_and_b32 vcc_lo, exec_lo, s2
	s_xor_b32 s2, s2, -1
	s_cbranch_vccnz .LBB109_2
; %bb.1:
	s_load_b32 s18, s[18:19], 0x0
.LBB109_2:
	s_and_not1_b32 vcc_lo, exec_lo, s2
	s_cbranch_vccnz .LBB109_4
; %bb.3:
	s_load_b32 s20, s[20:21], 0x0
.LBB109_4:
	s_waitcnt lgkmcnt(0)
	v_cmp_neq_f32_e64 s2, s18, 0
	v_cmp_neq_f32_e64 s3, s20, 1.0
	s_delay_alu instid0(VALU_DEP_1)
	s_or_b32 s2, s2, s3
	s_mov_b32 s3, 0
	s_and_not1_b32 vcc_lo, exec_lo, s2
	s_cbranch_vccnz .LBB109_39
; %bb.5:
	s_clause 0x1
	s_load_b32 s2, s[0:1], 0x28
	s_load_b64 s[4:5], s[0:1], 0x20
	v_mov_b32_e32 v5, 0
	s_mov_b32 s21, exec_lo
	s_waitcnt lgkmcnt(0)
	s_lshl_b64 s[6:7], s[2:3], 2
	s_delay_alu instid0(SALU_CYCLE_1)
	s_add_u32 s4, s4, s6
	s_addc_u32 s5, s5, s7
	s_lshl_b32 s2, -1, s2
	s_load_b32 s10, s[4:5], 0x0
	s_not_b32 s2, s2
	s_load_b128 s[4:7], s[0:1], 0x10
	s_mul_hi_u32 s2, s2, 0x2aaaaaab
	s_delay_alu instid0(SALU_CYCLE_1) | instskip(NEXT) | instid1(SALU_CYCLE_1)
	s_lshr_b32 s2, s2, 7
	s_add_i32 s9, s2, 1
	s_not_b32 s2, s2
	v_cvt_f32_u32_e32 v1, s9
	s_delay_alu instid0(VALU_DEP_1) | instskip(SKIP_2) | instid1(VALU_DEP_1)
	v_rcp_iflag_f32_e32 v1, v1
	s_waitcnt_depctr 0xfff
	v_mul_f32_e32 v1, 0x4f7ffffe, v1
	v_cvt_u32_f32_e32 v1, v1
	s_delay_alu instid0(VALU_DEP_1) | instskip(NEXT) | instid1(VALU_DEP_1)
	v_readfirstlane_b32 s3, v1
	s_mul_i32 s2, s2, s3
	s_delay_alu instid0(SALU_CYCLE_1) | instskip(NEXT) | instid1(SALU_CYCLE_1)
	s_mul_hi_u32 s2, s3, s2
	s_add_i32 s3, s3, s2
	s_delay_alu instid0(SALU_CYCLE_1) | instskip(NEXT) | instid1(SALU_CYCLE_1)
	s_mul_hi_u32 s2, s8, s3
	s_mul_i32 s3, s2, s9
	s_add_i32 s11, s2, 1
	s_sub_i32 s3, s8, s3
	s_delay_alu instid0(SALU_CYCLE_1)
	s_sub_i32 s12, s3, s9
	s_cmp_ge_u32 s3, s9
	s_cselect_b32 s2, s11, s2
	s_cselect_b32 s3, s12, s3
	s_add_i32 s11, s2, 1
	s_cmp_ge_u32 s3, s9
	s_cselect_b32 s11, s11, s2
	s_waitcnt lgkmcnt(0)
	s_add_i32 s2, s11, s10
	s_mul_i32 s14, s11, s9
	s_ashr_i32 s3, s2, 31
	s_sub_i32 s19, s8, s14
	s_lshl_b64 s[2:3], s[2:3], 2
	v_or_b32_e32 v1, s19, v0
	s_add_u32 s2, s6, s2
	s_addc_u32 s3, s7, s3
	s_load_b32 s2, s[2:3], 0x0
	s_load_b64 s[6:7], s[0:1], 0x38
	s_waitcnt lgkmcnt(0)
	s_ashr_i32 s3, s2, 31
	s_delay_alu instid0(SALU_CYCLE_1) | instskip(NEXT) | instid1(SALU_CYCLE_1)
	s_lshl_b64 s[10:11], s[2:3], 3
	s_add_u32 s10, s6, s10
	s_addc_u32 s11, s7, s11
	s_ashr_i32 s9, s8, 31
	s_load_b64 s[6:7], s[0:1], 0x60
	s_lshl_b64 s[8:9], s[8:9], 2
	s_delay_alu instid0(SALU_CYCLE_1)
	s_add_u32 s12, s4, s8
	s_addc_u32 s13, s5, s9
	s_load_b128 s[8:11], s[10:11], 0x0
	s_load_b32 s17, s[12:13], 0x0
	v_cmpx_eq_u32_e32 0, v1
	s_cbranch_execz .LBB109_9
; %bb.6:
	s_lshl_b64 s[24:25], s[2:3], 2
	s_mov_b32 s23, exec_lo
	s_waitcnt lgkmcnt(0)
	s_add_u32 s24, s6, s24
	s_addc_u32 s25, s7, s25
	v_mbcnt_lo_u32_b32 v2, s23, 0
	s_load_b32 s22, s[24:25], 0x0
	v_add_f32_e64 v1, s20, -1.0
	s_mov_b32 s20, exec_lo
	s_waitcnt vmcnt(0) expcnt(0) lgkmcnt(0)
	v_cmpx_eq_u32_e32 0, v2
	s_cbranch_execz .LBB109_8
; %bb.7:
	s_ashr_i32 s15, s14, 31
	s_delay_alu instid0(SALU_CYCLE_1) | instskip(NEXT) | instid1(SALU_CYCLE_1)
	s_lshl_b64 s[24:25], s[14:15], 2
	s_add_u32 s24, s4, s24
	s_addc_u32 s25, s5, s25
	s_bcnt1_i32_b32 s15, s23
	s_delay_alu instid0(SALU_CYCLE_1) | instskip(NEXT) | instid1(SALU_CYCLE_1)
	s_and_b32 s15, s15, 1
	v_dual_mov_b32 v2, 0 :: v_dual_mov_b32 v3, s15
	global_atomic_xor_b32 v2, v3, s[24:25]
.LBB109_8:
	s_or_b32 exec_lo, exec_lo, s20
	v_mul_f32_e32 v5, s22, v1
.LBB109_9:
	s_or_b32 exec_lo, exec_lo, s21
	s_mul_i32 s20, s19, 3
	s_mov_b32 s21, 0
	s_delay_alu instid0(SALU_CYCLE_1)
	s_lshl_b64 s[22:23], s[20:21], 8
	s_waitcnt lgkmcnt(0)
	s_sub_u32 s8, s8, s16
	s_subb_u32 s9, s9, 0
	s_add_u32 s15, s8, s22
	s_addc_u32 s20, s9, s23
	s_sub_u32 s8, s10, s16
	s_subb_u32 s9, s11, 0
	s_add_u32 s10, s15, 0x300
	s_addc_u32 s11, s20, 0
	v_add_co_u32 v1, s15, s15, v0
	v_cmp_lt_i64_e64 s22, s[10:11], s[8:9]
	v_add_co_ci_u32_e64 v2, null, s20, 0, s15
	s_delay_alu instid0(VALU_DEP_2)
	s_and_b32 s15, s22, exec_lo
	s_cselect_b32 s23, s11, s9
	s_cselect_b32 s22, s10, s8
	s_mov_b32 s15, exec_lo
	v_cmpx_gt_i64_e64 s[22:23], v[1:2]
	s_cbranch_execz .LBB109_13
; %bb.10:
	s_clause 0x1
	s_load_b128 s[8:11], s[0:1], 0x40
	s_load_b64 s[24:25], s[0:1], 0x50
	v_lshlrev_b64 v[3:4], 2, v[1:2]
	s_waitcnt lgkmcnt(0)
	s_delay_alu instid0(VALU_DEP_1) | instskip(NEXT) | instid1(VALU_DEP_2)
	v_add_co_u32 v3, vcc_lo, s8, v3
	v_add_co_ci_u32_e32 v4, vcc_lo, s9, v4, vcc_lo
	.p2align	6
.LBB109_11:                             ; =>This Inner Loop Header: Depth=1
	global_load_b32 v7, v[3:4], off
	v_add_co_u32 v6, vcc_lo, s10, v1
	v_add_co_u32 v3, s0, 0x400, v3
	s_delay_alu instid0(VALU_DEP_1) | instskip(SKIP_3) | instid1(VALU_DEP_2)
	v_add_co_ci_u32_e64 v4, s0, 0, v4, s0
	s_waitcnt vmcnt(0)
	v_subrev_nc_u32_e32 v8, s16, v7
	v_add_co_ci_u32_e32 v7, vcc_lo, s11, v2, vcc_lo
	v_ashrrev_i32_e32 v9, 31, v8
	global_load_i8 v10, v[6:7], off
	v_add_co_u32 v6, vcc_lo, s24, v8
	v_add_co_ci_u32_e32 v7, vcc_lo, s25, v9, vcc_lo
	v_add_co_u32 v1, vcc_lo, 0x100, v1
	v_add_co_ci_u32_e32 v2, vcc_lo, 0, v2, vcc_lo
	global_load_i8 v6, v[6:7], off
	v_cmp_le_i64_e32 vcc_lo, s[22:23], v[1:2]
	s_or_b32 s21, vcc_lo, s21
	s_waitcnt vmcnt(1)
	v_cvt_f32_i32_e32 v7, v10
	s_delay_alu instid0(VALU_DEP_1) | instskip(SKIP_2) | instid1(VALU_DEP_1)
	v_mul_f32_e32 v7, s18, v7
	s_waitcnt vmcnt(0)
	v_cvt_f32_i32_e32 v6, v6
	v_fmac_f32_e32 v5, v7, v6
	s_and_not1_b32 exec_lo, exec_lo, s21
	s_cbranch_execnz .LBB109_11
; %bb.12:
	s_or_b32 exec_lo, exec_lo, s21
.LBB109_13:
	s_delay_alu instid0(SALU_CYCLE_1)
	s_or_b32 exec_lo, exec_lo, s15
	v_lshlrev_b32_e32 v1, 2, v0
	s_mov_b32 s0, exec_lo
	ds_store_b32 v1, v5
	s_waitcnt lgkmcnt(0)
	s_waitcnt_vscnt null, 0x0
	s_barrier
	buffer_gl0_inv
	v_cmpx_gt_u32_e32 0x80, v0
	s_cbranch_execz .LBB109_15
; %bb.14:
	ds_load_2addr_stride64_b32 v[2:3], v1 offset1:2
	s_waitcnt lgkmcnt(0)
	v_add_f32_e32 v2, v2, v3
	ds_store_b32 v1, v2
.LBB109_15:
	s_or_b32 exec_lo, exec_lo, s0
	s_delay_alu instid0(SALU_CYCLE_1)
	s_mov_b32 s0, exec_lo
	s_waitcnt lgkmcnt(0)
	s_barrier
	buffer_gl0_inv
	v_cmpx_gt_u32_e32 64, v0
	s_cbranch_execz .LBB109_17
; %bb.16:
	ds_load_2addr_stride64_b32 v[2:3], v1 offset1:1
	s_waitcnt lgkmcnt(0)
	v_add_f32_e32 v2, v2, v3
	ds_store_b32 v1, v2
.LBB109_17:
	s_or_b32 exec_lo, exec_lo, s0
	s_delay_alu instid0(SALU_CYCLE_1)
	s_mov_b32 s0, exec_lo
	s_waitcnt lgkmcnt(0)
	s_barrier
	buffer_gl0_inv
	v_cmpx_gt_u32_e32 32, v0
	s_cbranch_execz .LBB109_19
; %bb.18:
	ds_load_2addr_b32 v[2:3], v1 offset1:32
	s_waitcnt lgkmcnt(0)
	v_add_f32_e32 v2, v2, v3
	ds_store_b32 v1, v2
.LBB109_19:
	s_or_b32 exec_lo, exec_lo, s0
	s_delay_alu instid0(SALU_CYCLE_1)
	s_mov_b32 s0, exec_lo
	s_waitcnt lgkmcnt(0)
	s_barrier
	buffer_gl0_inv
	v_cmpx_gt_u32_e32 16, v0
	s_cbranch_execz .LBB109_21
; %bb.20:
	ds_load_2addr_b32 v[2:3], v1 offset1:16
	s_waitcnt lgkmcnt(0)
	v_add_f32_e32 v2, v2, v3
	ds_store_b32 v1, v2
.LBB109_21:
	;; [unrolled: 14-line block ×5, first 2 shown]
	s_or_b32 exec_lo, exec_lo, s0
	v_cmp_eq_u32_e32 vcc_lo, 0, v0
	s_waitcnt lgkmcnt(0)
	s_barrier
	buffer_gl0_inv
	s_and_saveexec_b32 s0, vcc_lo
	s_cbranch_execz .LBB109_29
; %bb.28:
	v_mov_b32_e32 v2, 0
	ds_load_b64 v[0:1], v2
	s_waitcnt lgkmcnt(0)
	v_add_f32_e32 v0, v0, v1
	ds_store_b32 v2, v0
.LBB109_29:
	s_or_b32 exec_lo, exec_lo, s0
	s_waitcnt lgkmcnt(0)
	s_barrier
	buffer_gl0_inv
	s_and_saveexec_b32 s0, vcc_lo
	s_cbranch_execz .LBB109_39
; %bb.30:
	s_cmp_eq_u32 s19, 0
	s_cbranch_scc1 .LBB109_36
; %bb.31:
	s_ashr_i32 s15, s14, 31
	v_mov_b32_e32 v0, 0
	s_lshl_b64 s[0:1], s[14:15], 2
	s_delay_alu instid0(SALU_CYCLE_1)
	s_add_u32 s0, s4, s0
	s_addc_u32 s1, s5, s1
	s_branch .LBB109_33
.LBB109_32:                             ;   in Loop: Header=BB109_33 Depth=1
	s_or_b32 exec_lo, exec_lo, s4
	s_waitcnt vmcnt(0)
	v_readfirstlane_b32 s4, v1
	s_delay_alu instid0(VALU_DEP_1)
	s_cmp_eq_u32 s4, s17
	s_cbranch_scc0 .LBB109_35
.LBB109_33:                             ; =>This Inner Loop Header: Depth=1
	v_mbcnt_lo_u32_b32 v1, exec_lo, 0
	s_delay_alu instid0(VALU_DEP_1)
	v_cmp_eq_u32_e32 vcc_lo, 0, v1
                                        ; implicit-def: $vgpr1
	s_and_saveexec_b32 s4, vcc_lo
	s_cbranch_execz .LBB109_32
; %bb.34:                               ;   in Loop: Header=BB109_33 Depth=1
	global_load_b32 v1, v0, s[0:1] glc
	s_branch .LBB109_32
.LBB109_35:
	v_mov_b32_e32 v0, 0
	global_load_b32 v1, v0, s[12:13]
	s_waitcnt vmcnt(0)
	v_xor_b32_e32 v1, 1, v1
	global_store_b32 v0, v1, s[12:13]
.LBB109_36:
	s_mov_b32 s4, exec_lo
	s_delay_alu instid0(SALU_CYCLE_1) | instskip(NEXT) | instid1(VALU_DEP_1)
	v_mbcnt_lo_u32_b32 v0, s4, 0
	v_cmp_eq_u32_e32 vcc_lo, 0, v0
	s_and_b32 s0, exec_lo, vcc_lo
	s_delay_alu instid0(SALU_CYCLE_1)
	s_mov_b32 exec_lo, s0
	s_cbranch_execz .LBB109_39
; %bb.37:
	s_lshl_b64 s[0:1], s[2:3], 2
	s_delay_alu instid0(SALU_CYCLE_1) | instskip(SKIP_2) | instid1(SALU_CYCLE_1)
	s_add_u32 s0, s6, s0
	s_addc_u32 s1, s7, s1
	s_bcnt1_i32_b32 s2, s4
	v_cvt_f32_ubyte0_e32 v3, s2
	v_mov_b32_e32 v2, 0
	s_mov_b32 s2, 0
	global_load_b32 v1, v2, s[0:1]
	ds_load_b32 v0, v2
	s_waitcnt lgkmcnt(0)
	v_mul_f32_e32 v3, v0, v3
.LBB109_38:                             ; =>This Inner Loop Header: Depth=1
	s_waitcnt vmcnt(0)
	s_delay_alu instid0(VALU_DEP_1)
	v_add_f32_e32 v0, v1, v3
	global_atomic_cmpswap_b32 v0, v2, v[0:1], s[0:1] glc
	s_waitcnt vmcnt(0)
	v_cmp_eq_u32_e32 vcc_lo, v0, v1
	v_mov_b32_e32 v1, v0
	s_or_b32 s2, vcc_lo, s2
	s_delay_alu instid0(SALU_CYCLE_1)
	s_and_not1_b32 exec_lo, exec_lo, s2
	s_cbranch_execnz .LBB109_38
.LBB109_39:
	s_nop 0
	s_sendmsg sendmsg(MSG_DEALLOC_VGPRS)
	s_endpgm
	.section	.rodata,"a",@progbits
	.p2align	6, 0x0
	.amdhsa_kernel _ZN9rocsparseL27csrmvn_lrb_long_rows_kernelIliaaffEEvbT_PjPT0_S4_jNS_24const_host_device_scalarIT4_EEPKS1_PKS3_PKT1_PKT2_S7_PT3_21rocsparse_index_base_b
		.amdhsa_group_segment_fixed_size 1024
		.amdhsa_private_segment_fixed_size 0
		.amdhsa_kernarg_size 112
		.amdhsa_user_sgpr_count 15
		.amdhsa_user_sgpr_dispatch_ptr 0
		.amdhsa_user_sgpr_queue_ptr 0
		.amdhsa_user_sgpr_kernarg_segment_ptr 1
		.amdhsa_user_sgpr_dispatch_id 0
		.amdhsa_user_sgpr_private_segment_size 0
		.amdhsa_wavefront_size32 1
		.amdhsa_uses_dynamic_stack 0
		.amdhsa_enable_private_segment 0
		.amdhsa_system_sgpr_workgroup_id_x 1
		.amdhsa_system_sgpr_workgroup_id_y 0
		.amdhsa_system_sgpr_workgroup_id_z 0
		.amdhsa_system_sgpr_workgroup_info 0
		.amdhsa_system_vgpr_workitem_id 0
		.amdhsa_next_free_vgpr 11
		.amdhsa_next_free_sgpr 26
		.amdhsa_reserve_vcc 1
		.amdhsa_float_round_mode_32 0
		.amdhsa_float_round_mode_16_64 0
		.amdhsa_float_denorm_mode_32 3
		.amdhsa_float_denorm_mode_16_64 3
		.amdhsa_dx10_clamp 1
		.amdhsa_ieee_mode 1
		.amdhsa_fp16_overflow 0
		.amdhsa_workgroup_processor_mode 1
		.amdhsa_memory_ordered 1
		.amdhsa_forward_progress 0
		.amdhsa_shared_vgpr_count 0
		.amdhsa_exception_fp_ieee_invalid_op 0
		.amdhsa_exception_fp_denorm_src 0
		.amdhsa_exception_fp_ieee_div_zero 0
		.amdhsa_exception_fp_ieee_overflow 0
		.amdhsa_exception_fp_ieee_underflow 0
		.amdhsa_exception_fp_ieee_inexact 0
		.amdhsa_exception_int_div_zero 0
	.end_amdhsa_kernel
	.section	.text._ZN9rocsparseL27csrmvn_lrb_long_rows_kernelIliaaffEEvbT_PjPT0_S4_jNS_24const_host_device_scalarIT4_EEPKS1_PKS3_PKT1_PKT2_S7_PT3_21rocsparse_index_base_b,"axG",@progbits,_ZN9rocsparseL27csrmvn_lrb_long_rows_kernelIliaaffEEvbT_PjPT0_S4_jNS_24const_host_device_scalarIT4_EEPKS1_PKS3_PKT1_PKT2_S7_PT3_21rocsparse_index_base_b,comdat
.Lfunc_end109:
	.size	_ZN9rocsparseL27csrmvn_lrb_long_rows_kernelIliaaffEEvbT_PjPT0_S4_jNS_24const_host_device_scalarIT4_EEPKS1_PKS3_PKT1_PKT2_S7_PT3_21rocsparse_index_base_b, .Lfunc_end109-_ZN9rocsparseL27csrmvn_lrb_long_rows_kernelIliaaffEEvbT_PjPT0_S4_jNS_24const_host_device_scalarIT4_EEPKS1_PKS3_PKT1_PKT2_S7_PT3_21rocsparse_index_base_b
                                        ; -- End function
	.section	.AMDGPU.csdata,"",@progbits
; Kernel info:
; codeLenInByte = 1684
; NumSgprs: 28
; NumVgprs: 11
; ScratchSize: 0
; MemoryBound: 0
; FloatMode: 240
; IeeeMode: 1
; LDSByteSize: 1024 bytes/workgroup (compile time only)
; SGPRBlocks: 3
; VGPRBlocks: 1
; NumSGPRsForWavesPerEU: 28
; NumVGPRsForWavesPerEU: 11
; Occupancy: 16
; WaveLimiterHint : 1
; COMPUTE_PGM_RSRC2:SCRATCH_EN: 0
; COMPUTE_PGM_RSRC2:USER_SGPR: 15
; COMPUTE_PGM_RSRC2:TRAP_HANDLER: 0
; COMPUTE_PGM_RSRC2:TGID_X_EN: 1
; COMPUTE_PGM_RSRC2:TGID_Y_EN: 0
; COMPUTE_PGM_RSRC2:TGID_Z_EN: 0
; COMPUTE_PGM_RSRC2:TIDIG_COMP_CNT: 0
	.section	.text._ZN9rocsparseL28csrmvn_lrb_short_rows_kernelIllaaffEEvbT_PT0_S3_jNS_24const_host_device_scalarIT4_EEPKS1_PKS2_PKT1_PKT2_S6_PT3_21rocsparse_index_base_b,"axG",@progbits,_ZN9rocsparseL28csrmvn_lrb_short_rows_kernelIllaaffEEvbT_PT0_S3_jNS_24const_host_device_scalarIT4_EEPKS1_PKS2_PKT1_PKT2_S6_PT3_21rocsparse_index_base_b,comdat
	.globl	_ZN9rocsparseL28csrmvn_lrb_short_rows_kernelIllaaffEEvbT_PT0_S3_jNS_24const_host_device_scalarIT4_EEPKS1_PKS2_PKT1_PKT2_S6_PT3_21rocsparse_index_base_b ; -- Begin function _ZN9rocsparseL28csrmvn_lrb_short_rows_kernelIllaaffEEvbT_PT0_S3_jNS_24const_host_device_scalarIT4_EEPKS1_PKS2_PKT1_PKT2_S6_PT3_21rocsparse_index_base_b
	.p2align	8
	.type	_ZN9rocsparseL28csrmvn_lrb_short_rows_kernelIllaaffEEvbT_PT0_S3_jNS_24const_host_device_scalarIT4_EEPKS1_PKS2_PKT1_PKT2_S6_PT3_21rocsparse_index_base_b,@function
_ZN9rocsparseL28csrmvn_lrb_short_rows_kernelIllaaffEEvbT_PT0_S3_jNS_24const_host_device_scalarIT4_EEPKS1_PKS2_PKT1_PKT2_S6_PT3_21rocsparse_index_base_b: ; @_ZN9rocsparseL28csrmvn_lrb_short_rows_kernelIllaaffEEvbT_PT0_S3_jNS_24const_host_device_scalarIT4_EEPKS1_PKS2_PKT1_PKT2_S6_PT3_21rocsparse_index_base_b
; %bb.0:
	s_clause 0x2
	s_load_b64 s[20:21], s[0:1], 0x60
	s_load_b64 s[22:23], s[0:1], 0x28
	;; [unrolled: 1-line block ×3, first 2 shown]
	s_waitcnt lgkmcnt(0)
	s_bitcmp1_b32 s21, 0
	s_cselect_b32 s4, -1, 0
	s_delay_alu instid0(SALU_CYCLE_1)
	s_and_b32 vcc_lo, exec_lo, s4
	s_xor_b32 s4, s4, -1
	s_cbranch_vccnz .LBB110_2
; %bb.1:
	s_load_b32 s22, s[22:23], 0x0
.LBB110_2:
	s_and_not1_b32 vcc_lo, exec_lo, s4
	s_cbranch_vccnz .LBB110_4
; %bb.3:
	s_load_b32 s2, s[2:3], 0x0
.LBB110_4:
	s_waitcnt lgkmcnt(0)
	v_cmp_neq_f32_e64 s3, s22, 0
	v_cmp_neq_f32_e64 s4, s2, 1.0
	s_mov_b32 s13, 0
	s_delay_alu instid0(VALU_DEP_1) | instskip(NEXT) | instid1(SALU_CYCLE_1)
	s_or_b32 s3, s3, s4
	s_and_not1_b32 vcc_lo, exec_lo, s3
	s_cbranch_vccnz .LBB110_18
; %bb.5:
	s_clause 0x1
	s_load_b32 s12, s[0:1], 0x20
	s_load_b128 s[16:19], s[0:1], 0x10
	s_mov_b32 s7, s13
	s_waitcnt lgkmcnt(0)
	s_lshl_b64 s[4:5], s[12:13], 3
	s_delay_alu instid0(SALU_CYCLE_1) | instskip(SKIP_2) | instid1(SALU_CYCLE_1)
	s_add_u32 s4, s18, s4
	s_addc_u32 s5, s19, s5
	s_add_i32 s6, s12, 1
	s_lshl_b64 s[6:7], s[6:7], 3
	s_delay_alu instid0(SALU_CYCLE_1)
	s_add_u32 s6, s18, s6
	s_addc_u32 s7, s19, s7
	s_clause 0x1
	s_load_b64 s[18:19], s[4:5], 0x0
	s_load_b32 s3, s[6:7], 0x0
	s_lshl_b32 s14, s15, 8
	s_delay_alu instid0(SALU_CYCLE_1) | instskip(SKIP_2) | instid1(SALU_CYCLE_1)
	s_add_i32 s4, s14, 0x100
	s_waitcnt lgkmcnt(0)
	s_sub_i32 s3, s3, s18
	s_min_u32 s3, s3, s4
	s_cmp_gt_u32 s12, 23
	s_cbranch_scc1 .LBB110_12
; %bb.6:
	s_load_b256 s[4:11], s[0:1], 0x30
	v_mov_b32_e32 v5, 0
	s_lshl_b64 s[24:25], s[18:19], 3
	v_bfe_u32 v6, v0, 0, s12
	v_lshl_add_u32 v8, v0, 2, 0
	s_lshl_b32 s13, 0x100, s12
	v_mov_b32_e32 v7, v5
	s_add_u32 s15, s16, s24
	s_addc_u32 s21, s17, s25
	s_mov_b32 s23, 0
	s_branch .LBB110_9
.LBB110_7:                              ;   in Loop: Header=BB110_9 Depth=1
	s_or_b32 exec_lo, exec_lo, s25
	ds_store_b32 v8, v3
.LBB110_8:                              ;   in Loop: Header=BB110_9 Depth=1
	s_or_b32 exec_lo, exec_lo, s24
	v_add_nc_u32_e32 v8, 0x400, v8
	s_addk_i32 s23, 0x100
	s_delay_alu instid0(SALU_CYCLE_1)
	s_cmp_ge_u32 s23, s13
	s_cbranch_scc1 .LBB110_12
.LBB110_9:                              ; =>This Inner Loop Header: Depth=1
	v_add_nc_u32_e32 v1, s23, v0
	s_mov_b32 s24, exec_lo
	s_delay_alu instid0(VALU_DEP_1) | instskip(NEXT) | instid1(VALU_DEP_1)
	v_lshrrev_b32_e32 v1, s12, v1
	v_add_nc_u32_e32 v4, s14, v1
	s_delay_alu instid0(VALU_DEP_1)
	v_cmpx_gt_u32_e64 s3, v4
	s_cbranch_execz .LBB110_8
; %bb.10:                               ;   in Loop: Header=BB110_9 Depth=1
	v_lshlrev_b64 v[1:2], 3, v[4:5]
	s_delay_alu instid0(VALU_DEP_1) | instskip(NEXT) | instid1(VALU_DEP_2)
	v_add_co_u32 v1, vcc_lo, s15, v1
	v_add_co_ci_u32_e32 v2, vcc_lo, s21, v2, vcc_lo
	global_load_b64 v[1:2], v[1:2], off
	s_waitcnt vmcnt(0)
	v_lshlrev_b64 v[1:2], 3, v[1:2]
	s_waitcnt lgkmcnt(0)
	s_delay_alu instid0(VALU_DEP_1) | instskip(NEXT) | instid1(VALU_DEP_2)
	v_add_co_u32 v1, vcc_lo, s4, v1
	v_add_co_ci_u32_e32 v2, vcc_lo, s5, v2, vcc_lo
	global_load_b128 v[1:4], v[1:2], off
	s_waitcnt vmcnt(0)
	v_sub_co_u32 v3, vcc_lo, v3, v1
	v_sub_co_ci_u32_e32 v4, vcc_lo, v4, v2, vcc_lo
	s_delay_alu instid0(VALU_DEP_1)
	v_cmp_gt_i64_e32 vcc_lo, v[3:4], v[6:7]
	v_mov_b32_e32 v3, 0
	s_and_saveexec_b32 s25, vcc_lo
	s_cbranch_execz .LBB110_7
; %bb.11:                               ;   in Loop: Header=BB110_9 Depth=1
	v_sub_co_u32 v1, vcc_lo, v1, s20
	v_subrev_co_ci_u32_e32 v2, vcc_lo, 0, v2, vcc_lo
	s_delay_alu instid0(VALU_DEP_2) | instskip(NEXT) | instid1(VALU_DEP_2)
	v_add_co_u32 v1, vcc_lo, v1, v6
	v_add_co_ci_u32_e32 v2, vcc_lo, 0, v2, vcc_lo
	s_delay_alu instid0(VALU_DEP_1) | instskip(NEXT) | instid1(VALU_DEP_1)
	v_lshlrev_b64 v[3:4], 3, v[1:2]
	v_add_co_u32 v3, vcc_lo, s6, v3
	s_delay_alu instid0(VALU_DEP_2)
	v_add_co_ci_u32_e32 v4, vcc_lo, s7, v4, vcc_lo
	v_add_co_u32 v1, vcc_lo, s8, v1
	v_add_co_ci_u32_e32 v2, vcc_lo, s9, v2, vcc_lo
	global_load_b64 v[3:4], v[3:4], off
	global_load_i8 v9, v[1:2], off
	s_waitcnt vmcnt(1)
	v_sub_co_u32 v3, vcc_lo, v3, s20
	v_subrev_co_ci_u32_e32 v4, vcc_lo, 0, v4, vcc_lo
	s_delay_alu instid0(VALU_DEP_2) | instskip(NEXT) | instid1(VALU_DEP_2)
	v_add_co_u32 v1, vcc_lo, s10, v3
	v_add_co_ci_u32_e32 v2, vcc_lo, s11, v4, vcc_lo
	global_load_i8 v1, v[1:2], off
	s_waitcnt vmcnt(1)
	v_cvt_f32_i32_e32 v2, v9
	s_delay_alu instid0(VALU_DEP_1) | instskip(SKIP_2) | instid1(VALU_DEP_1)
	v_mul_f32_e32 v2, s22, v2
	s_waitcnt vmcnt(0)
	v_cvt_f32_i32_e32 v1, v1
	v_mul_f32_e32 v3, v2, v1
	s_branch .LBB110_7
.LBB110_12:
	s_sub_i32 s3, s3, s14
	s_waitcnt lgkmcnt(0)
	v_cmp_gt_u32_e32 vcc_lo, s3, v0
	s_barrier
	buffer_gl0_inv
	s_and_saveexec_b32 s3, vcc_lo
	s_cbranch_execz .LBB110_18
; %bb.13:
	s_lshl_b64 s[4:5], s[18:19], 3
	s_mov_b32 s15, 0
	s_add_u32 s3, s16, s4
	s_addc_u32 s6, s17, s5
	s_lshl_b64 s[4:5], s[14:15], 3
	v_lshlrev_b32_e32 v1, 3, v0
	s_add_u32 s4, s3, s4
	s_addc_u32 s5, s6, s5
	s_load_b64 s[0:1], s[0:1], 0x58
	v_dual_mov_b32 v3, 0 :: v_dual_lshlrev_b32 v0, s12, v0
	global_load_b64 v[1:2], v1, s[4:5]
	s_mov_b32 s3, 1
	v_lshl_add_u32 v0, v0, 2, 0
.LBB110_14:                             ; =>This Inner Loop Header: Depth=1
	ds_load_b32 v4, v0
	v_add_nc_u32_e32 v0, 4, v0
	s_lshr_b32 s4, s3, s12
	s_add_i32 s3, s3, 1
	s_cmp_lg_u32 s4, 0
	s_waitcnt lgkmcnt(0)
	v_add_f32_e32 v3, v3, v4
	s_cbranch_scc0 .LBB110_14
; %bb.15:
	v_cmp_neq_f32_e64 s3, s2, 0
	s_waitcnt vmcnt(0)
	v_lshlrev_b64 v[0:1], 2, v[1:2]
	s_delay_alu instid0(VALU_DEP_2)
	s_and_b32 vcc_lo, exec_lo, s3
	s_cbranch_vccz .LBB110_17
; %bb.16:
	s_delay_alu instid0(VALU_DEP_1) | instskip(NEXT) | instid1(VALU_DEP_2)
	v_add_co_u32 v4, vcc_lo, s0, v0
	v_add_co_ci_u32_e32 v5, vcc_lo, s1, v1, vcc_lo
	global_load_b32 v2, v[4:5], off
	s_waitcnt vmcnt(0)
	v_fmac_f32_e32 v3, s2, v2
.LBB110_17:
	s_delay_alu instid0(VALU_DEP_1) | instskip(NEXT) | instid1(VALU_DEP_2)
	v_add_co_u32 v0, vcc_lo, s0, v0
	v_add_co_ci_u32_e32 v1, vcc_lo, s1, v1, vcc_lo
	global_store_b32 v[0:1], v3, off
.LBB110_18:
	s_nop 0
	s_sendmsg sendmsg(MSG_DEALLOC_VGPRS)
	s_endpgm
	.section	.rodata,"a",@progbits
	.p2align	6, 0x0
	.amdhsa_kernel _ZN9rocsparseL28csrmvn_lrb_short_rows_kernelIllaaffEEvbT_PT0_S3_jNS_24const_host_device_scalarIT4_EEPKS1_PKS2_PKT1_PKT2_S6_PT3_21rocsparse_index_base_b
		.amdhsa_group_segment_fixed_size 0
		.amdhsa_private_segment_fixed_size 0
		.amdhsa_kernarg_size 104
		.amdhsa_user_sgpr_count 15
		.amdhsa_user_sgpr_dispatch_ptr 0
		.amdhsa_user_sgpr_queue_ptr 0
		.amdhsa_user_sgpr_kernarg_segment_ptr 1
		.amdhsa_user_sgpr_dispatch_id 0
		.amdhsa_user_sgpr_private_segment_size 0
		.amdhsa_wavefront_size32 1
		.amdhsa_uses_dynamic_stack 0
		.amdhsa_enable_private_segment 0
		.amdhsa_system_sgpr_workgroup_id_x 1
		.amdhsa_system_sgpr_workgroup_id_y 0
		.amdhsa_system_sgpr_workgroup_id_z 0
		.amdhsa_system_sgpr_workgroup_info 0
		.amdhsa_system_vgpr_workitem_id 0
		.amdhsa_next_free_vgpr 10
		.amdhsa_next_free_sgpr 26
		.amdhsa_reserve_vcc 1
		.amdhsa_float_round_mode_32 0
		.amdhsa_float_round_mode_16_64 0
		.amdhsa_float_denorm_mode_32 3
		.amdhsa_float_denorm_mode_16_64 3
		.amdhsa_dx10_clamp 1
		.amdhsa_ieee_mode 1
		.amdhsa_fp16_overflow 0
		.amdhsa_workgroup_processor_mode 1
		.amdhsa_memory_ordered 1
		.amdhsa_forward_progress 0
		.amdhsa_shared_vgpr_count 0
		.amdhsa_exception_fp_ieee_invalid_op 0
		.amdhsa_exception_fp_denorm_src 0
		.amdhsa_exception_fp_ieee_div_zero 0
		.amdhsa_exception_fp_ieee_overflow 0
		.amdhsa_exception_fp_ieee_underflow 0
		.amdhsa_exception_fp_ieee_inexact 0
		.amdhsa_exception_int_div_zero 0
	.end_amdhsa_kernel
	.section	.text._ZN9rocsparseL28csrmvn_lrb_short_rows_kernelIllaaffEEvbT_PT0_S3_jNS_24const_host_device_scalarIT4_EEPKS1_PKS2_PKT1_PKT2_S6_PT3_21rocsparse_index_base_b,"axG",@progbits,_ZN9rocsparseL28csrmvn_lrb_short_rows_kernelIllaaffEEvbT_PT0_S3_jNS_24const_host_device_scalarIT4_EEPKS1_PKS2_PKT1_PKT2_S6_PT3_21rocsparse_index_base_b,comdat
.Lfunc_end110:
	.size	_ZN9rocsparseL28csrmvn_lrb_short_rows_kernelIllaaffEEvbT_PT0_S3_jNS_24const_host_device_scalarIT4_EEPKS1_PKS2_PKT1_PKT2_S6_PT3_21rocsparse_index_base_b, .Lfunc_end110-_ZN9rocsparseL28csrmvn_lrb_short_rows_kernelIllaaffEEvbT_PT0_S3_jNS_24const_host_device_scalarIT4_EEPKS1_PKS2_PKT1_PKT2_S6_PT3_21rocsparse_index_base_b
                                        ; -- End function
	.section	.AMDGPU.csdata,"",@progbits
; Kernel info:
; codeLenInByte = 876
; NumSgprs: 28
; NumVgprs: 10
; ScratchSize: 0
; MemoryBound: 0
; FloatMode: 240
; IeeeMode: 1
; LDSByteSize: 0 bytes/workgroup (compile time only)
; SGPRBlocks: 3
; VGPRBlocks: 1
; NumSGPRsForWavesPerEU: 28
; NumVGPRsForWavesPerEU: 10
; Occupancy: 16
; WaveLimiterHint : 1
; COMPUTE_PGM_RSRC2:SCRATCH_EN: 0
; COMPUTE_PGM_RSRC2:USER_SGPR: 15
; COMPUTE_PGM_RSRC2:TRAP_HANDLER: 0
; COMPUTE_PGM_RSRC2:TGID_X_EN: 1
; COMPUTE_PGM_RSRC2:TGID_Y_EN: 0
; COMPUTE_PGM_RSRC2:TGID_Z_EN: 0
; COMPUTE_PGM_RSRC2:TIDIG_COMP_CNT: 0
	.section	.text._ZN9rocsparseL30csrmvn_lrb_short_rows_2_kernelIllaaffEEvbT_PT0_S3_jNS_24const_host_device_scalarIT4_EEPKS1_PKS2_PKT1_PKT2_S6_PT3_21rocsparse_index_base_b,"axG",@progbits,_ZN9rocsparseL30csrmvn_lrb_short_rows_2_kernelIllaaffEEvbT_PT0_S3_jNS_24const_host_device_scalarIT4_EEPKS1_PKS2_PKT1_PKT2_S6_PT3_21rocsparse_index_base_b,comdat
	.globl	_ZN9rocsparseL30csrmvn_lrb_short_rows_2_kernelIllaaffEEvbT_PT0_S3_jNS_24const_host_device_scalarIT4_EEPKS1_PKS2_PKT1_PKT2_S6_PT3_21rocsparse_index_base_b ; -- Begin function _ZN9rocsparseL30csrmvn_lrb_short_rows_2_kernelIllaaffEEvbT_PT0_S3_jNS_24const_host_device_scalarIT4_EEPKS1_PKS2_PKT1_PKT2_S6_PT3_21rocsparse_index_base_b
	.p2align	8
	.type	_ZN9rocsparseL30csrmvn_lrb_short_rows_2_kernelIllaaffEEvbT_PT0_S3_jNS_24const_host_device_scalarIT4_EEPKS1_PKS2_PKT1_PKT2_S6_PT3_21rocsparse_index_base_b,@function
_ZN9rocsparseL30csrmvn_lrb_short_rows_2_kernelIllaaffEEvbT_PT0_S3_jNS_24const_host_device_scalarIT4_EEPKS1_PKS2_PKT1_PKT2_S6_PT3_21rocsparse_index_base_b: ; @_ZN9rocsparseL30csrmvn_lrb_short_rows_2_kernelIllaaffEEvbT_PT0_S3_jNS_24const_host_device_scalarIT4_EEPKS1_PKS2_PKT1_PKT2_S6_PT3_21rocsparse_index_base_b
; %bb.0:
	s_clause 0x2
	s_load_b64 s[18:19], s[0:1], 0x60
	s_load_b64 s[16:17], s[0:1], 0x28
	;; [unrolled: 1-line block ×3, first 2 shown]
	s_waitcnt lgkmcnt(0)
	s_bitcmp1_b32 s19, 0
	s_cselect_b32 s2, -1, 0
	s_delay_alu instid0(SALU_CYCLE_1)
	s_and_b32 vcc_lo, exec_lo, s2
	s_xor_b32 s2, s2, -1
	s_cbranch_vccnz .LBB111_2
; %bb.1:
	s_load_b32 s16, s[16:17], 0x0
.LBB111_2:
	s_and_not1_b32 vcc_lo, exec_lo, s2
	s_cbranch_vccnz .LBB111_4
; %bb.3:
	s_load_b32 s8, s[8:9], 0x0
.LBB111_4:
	s_waitcnt lgkmcnt(0)
	v_cmp_neq_f32_e64 s2, s16, 0
	v_cmp_neq_f32_e64 s3, s8, 1.0
	s_mov_b32 s11, 0
	s_delay_alu instid0(VALU_DEP_1) | instskip(NEXT) | instid1(SALU_CYCLE_1)
	s_or_b32 s2, s2, s3
	s_and_not1_b32 vcc_lo, exec_lo, s2
	s_cbranch_vccnz .LBB111_30
; %bb.5:
	s_clause 0x1
	s_load_b32 s10, s[0:1], 0x20
	s_load_b128 s[20:23], s[0:1], 0x10
	s_mov_b32 s5, s11
	v_mov_b32_e32 v6, 0
	s_waitcnt lgkmcnt(0)
	s_lshl_b64 s[2:3], s[10:11], 3
	v_lshrrev_b32_e32 v1, s10, v0
	s_add_u32 s2, s22, s2
	s_addc_u32 s3, s23, s3
	s_add_i32 s4, s10, 1
	v_bfe_u32 v5, v0, 0, s10
	s_lshl_b64 s[4:5], s[4:5], 3
	s_delay_alu instid0(SALU_CYCLE_1)
	s_add_u32 s4, s22, s4
	s_addc_u32 s5, s23, s5
	s_clause 0x1
	s_load_b64 s[22:23], s[2:3], 0x0
	s_load_b32 s11, s[4:5], 0x0
	s_clause 0x1
	s_load_b64 s[12:13], s[0:1], 0x58
	s_load_b256 s[0:7], s[0:1], 0x30
	s_lshr_b32 s9, 0x400, s10
	s_delay_alu instid0(SALU_CYCLE_1) | instskip(NEXT) | instid1(SALU_CYCLE_1)
	s_mul_i32 s14, s9, s15
	s_add_i32 s15, s14, s9
	v_add_nc_u32_e32 v1, s14, v1
	s_waitcnt lgkmcnt(0)
	s_sub_i32 s11, s11, s22
	s_lshl_b64 s[22:23], s[22:23], 3
	s_min_u32 s11, s11, s15
	s_add_u32 s17, s20, s22
	s_addc_u32 s19, s21, s23
	s_mov_b32 s15, exec_lo
	v_cmpx_gt_u32_e64 s11, v1
	s_cbranch_execz .LBB111_9
; %bb.6:
	v_mov_b32_e32 v2, v6
	s_delay_alu instid0(VALU_DEP_1) | instskip(NEXT) | instid1(VALU_DEP_1)
	v_lshlrev_b64 v[1:2], 3, v[1:2]
	v_add_co_u32 v1, vcc_lo, s17, v1
	s_delay_alu instid0(VALU_DEP_2) | instskip(SKIP_3) | instid1(VALU_DEP_1)
	v_add_co_ci_u32_e32 v2, vcc_lo, s19, v2, vcc_lo
	global_load_b64 v[1:2], v[1:2], off
	s_waitcnt vmcnt(0)
	v_lshlrev_b64 v[1:2], 3, v[1:2]
	v_add_co_u32 v1, vcc_lo, s0, v1
	s_delay_alu instid0(VALU_DEP_2) | instskip(SKIP_4) | instid1(VALU_DEP_1)
	v_add_co_ci_u32_e32 v2, vcc_lo, s1, v2, vcc_lo
	global_load_b128 v[1:4], v[1:2], off
	s_waitcnt vmcnt(0)
	v_sub_co_u32 v3, vcc_lo, v3, v1
	v_sub_co_ci_u32_e32 v4, vcc_lo, v4, v2, vcc_lo
	v_cmp_gt_i64_e32 vcc_lo, v[3:4], v[5:6]
	v_mov_b32_e32 v3, v6
	s_and_saveexec_b32 s20, vcc_lo
	s_cbranch_execz .LBB111_8
; %bb.7:
	v_sub_co_u32 v1, vcc_lo, v1, s18
	v_subrev_co_ci_u32_e32 v2, vcc_lo, 0, v2, vcc_lo
	s_delay_alu instid0(VALU_DEP_2) | instskip(NEXT) | instid1(VALU_DEP_2)
	v_add_co_u32 v1, vcc_lo, v1, v5
	v_add_co_ci_u32_e32 v2, vcc_lo, 0, v2, vcc_lo
	s_delay_alu instid0(VALU_DEP_1) | instskip(NEXT) | instid1(VALU_DEP_1)
	v_lshlrev_b64 v[3:4], 3, v[1:2]
	v_add_co_u32 v3, vcc_lo, s2, v3
	s_delay_alu instid0(VALU_DEP_2)
	v_add_co_ci_u32_e32 v4, vcc_lo, s3, v4, vcc_lo
	v_add_co_u32 v1, vcc_lo, s4, v1
	v_add_co_ci_u32_e32 v2, vcc_lo, s5, v2, vcc_lo
	global_load_b64 v[3:4], v[3:4], off
	global_load_i8 v7, v[1:2], off
	s_waitcnt vmcnt(1)
	v_sub_co_u32 v3, vcc_lo, v3, s18
	v_subrev_co_ci_u32_e32 v4, vcc_lo, 0, v4, vcc_lo
	s_delay_alu instid0(VALU_DEP_2) | instskip(NEXT) | instid1(VALU_DEP_2)
	v_add_co_u32 v1, vcc_lo, s6, v3
	v_add_co_ci_u32_e32 v2, vcc_lo, s7, v4, vcc_lo
	global_load_i8 v1, v[1:2], off
	s_waitcnt vmcnt(1)
	v_cvt_f32_i32_e32 v2, v7
	s_delay_alu instid0(VALU_DEP_1) | instskip(SKIP_2) | instid1(VALU_DEP_1)
	v_mul_f32_e32 v2, s16, v2
	s_waitcnt vmcnt(0)
	v_cvt_f32_i32_e32 v1, v1
	v_mul_f32_e32 v3, v2, v1
.LBB111_8:
	s_or_b32 exec_lo, exec_lo, s20
	v_lshlrev_b32_e32 v1, 2, v0
	ds_store_b32 v1, v3
.LBB111_9:
	s_or_b32 exec_lo, exec_lo, s15
	v_or_b32_e32 v1, 0x100, v0
	s_mov_b32 s15, exec_lo
	s_delay_alu instid0(VALU_DEP_1) | instskip(NEXT) | instid1(VALU_DEP_1)
	v_lshrrev_b32_e32 v1, s10, v1
	v_add_nc_u32_e32 v7, s14, v1
	s_delay_alu instid0(VALU_DEP_1)
	v_cmpx_gt_u32_e64 s11, v7
	s_cbranch_execz .LBB111_13
; %bb.10:
	v_mov_b32_e32 v8, 0
	s_mov_b32 s20, exec_lo
	s_delay_alu instid0(VALU_DEP_1) | instskip(NEXT) | instid1(VALU_DEP_1)
	v_lshlrev_b64 v[1:2], 3, v[7:8]
	v_add_co_u32 v1, vcc_lo, s17, v1
	s_delay_alu instid0(VALU_DEP_2) | instskip(SKIP_3) | instid1(VALU_DEP_1)
	v_add_co_ci_u32_e32 v2, vcc_lo, s19, v2, vcc_lo
	global_load_b64 v[1:2], v[1:2], off
	s_waitcnt vmcnt(0)
	v_lshlrev_b64 v[1:2], 3, v[1:2]
	v_add_co_u32 v1, vcc_lo, s0, v1
	s_delay_alu instid0(VALU_DEP_2) | instskip(SKIP_4) | instid1(VALU_DEP_1)
	v_add_co_ci_u32_e32 v2, vcc_lo, s1, v2, vcc_lo
	global_load_b128 v[1:4], v[1:2], off
	s_waitcnt vmcnt(0)
	v_sub_co_u32 v3, vcc_lo, v3, v1
	v_sub_co_ci_u32_e32 v4, vcc_lo, v4, v2, vcc_lo
	v_cmpx_gt_i64_e64 v[3:4], v[5:6]
	s_cbranch_execz .LBB111_12
; %bb.11:
	v_sub_co_u32 v1, vcc_lo, v1, s18
	v_subrev_co_ci_u32_e32 v2, vcc_lo, 0, v2, vcc_lo
	s_delay_alu instid0(VALU_DEP_2) | instskip(NEXT) | instid1(VALU_DEP_2)
	v_add_co_u32 v1, vcc_lo, v1, v5
	v_add_co_ci_u32_e32 v2, vcc_lo, 0, v2, vcc_lo
	s_delay_alu instid0(VALU_DEP_1) | instskip(NEXT) | instid1(VALU_DEP_1)
	v_lshlrev_b64 v[3:4], 3, v[1:2]
	v_add_co_u32 v3, vcc_lo, s2, v3
	s_delay_alu instid0(VALU_DEP_2)
	v_add_co_ci_u32_e32 v4, vcc_lo, s3, v4, vcc_lo
	v_add_co_u32 v1, vcc_lo, s4, v1
	v_add_co_ci_u32_e32 v2, vcc_lo, s5, v2, vcc_lo
	global_load_b64 v[3:4], v[3:4], off
	global_load_i8 v7, v[1:2], off
	s_waitcnt vmcnt(1)
	v_sub_co_u32 v3, vcc_lo, v3, s18
	v_subrev_co_ci_u32_e32 v4, vcc_lo, 0, v4, vcc_lo
	s_delay_alu instid0(VALU_DEP_2) | instskip(NEXT) | instid1(VALU_DEP_2)
	v_add_co_u32 v1, vcc_lo, s6, v3
	v_add_co_ci_u32_e32 v2, vcc_lo, s7, v4, vcc_lo
	global_load_i8 v1, v[1:2], off
	s_waitcnt vmcnt(1)
	v_cvt_f32_i32_e32 v2, v7
	s_delay_alu instid0(VALU_DEP_1) | instskip(SKIP_2) | instid1(VALU_DEP_1)
	v_mul_f32_e32 v2, s16, v2
	s_waitcnt vmcnt(0)
	v_cvt_f32_i32_e32 v1, v1
	v_mul_f32_e32 v8, v2, v1
.LBB111_12:
	s_or_b32 exec_lo, exec_lo, s20
	v_lshlrev_b32_e32 v1, 2, v0
	ds_store_b32 v1, v8 offset:1024
.LBB111_13:
	s_or_b32 exec_lo, exec_lo, s15
	v_or_b32_e32 v1, 0x200, v0
	s_mov_b32 s15, exec_lo
	s_delay_alu instid0(VALU_DEP_1) | instskip(NEXT) | instid1(VALU_DEP_1)
	v_lshrrev_b32_e32 v1, s10, v1
	v_add_nc_u32_e32 v7, s14, v1
	s_delay_alu instid0(VALU_DEP_1)
	v_cmpx_gt_u32_e64 s11, v7
	s_cbranch_execz .LBB111_17
; %bb.14:
	v_mov_b32_e32 v8, 0
	s_mov_b32 s20, exec_lo
	s_delay_alu instid0(VALU_DEP_1) | instskip(NEXT) | instid1(VALU_DEP_1)
	v_lshlrev_b64 v[1:2], 3, v[7:8]
	v_add_co_u32 v1, vcc_lo, s17, v1
	s_delay_alu instid0(VALU_DEP_2) | instskip(SKIP_3) | instid1(VALU_DEP_1)
	v_add_co_ci_u32_e32 v2, vcc_lo, s19, v2, vcc_lo
	global_load_b64 v[1:2], v[1:2], off
	s_waitcnt vmcnt(0)
	v_lshlrev_b64 v[1:2], 3, v[1:2]
	v_add_co_u32 v1, vcc_lo, s0, v1
	s_delay_alu instid0(VALU_DEP_2) | instskip(SKIP_4) | instid1(VALU_DEP_1)
	v_add_co_ci_u32_e32 v2, vcc_lo, s1, v2, vcc_lo
	global_load_b128 v[1:4], v[1:2], off
	s_waitcnt vmcnt(0)
	v_sub_co_u32 v3, vcc_lo, v3, v1
	v_sub_co_ci_u32_e32 v4, vcc_lo, v4, v2, vcc_lo
	v_cmpx_gt_i64_e64 v[3:4], v[5:6]
	s_cbranch_execz .LBB111_16
; %bb.15:
	v_sub_co_u32 v1, vcc_lo, v1, s18
	v_subrev_co_ci_u32_e32 v2, vcc_lo, 0, v2, vcc_lo
	s_delay_alu instid0(VALU_DEP_2) | instskip(NEXT) | instid1(VALU_DEP_2)
	v_add_co_u32 v1, vcc_lo, v1, v5
	v_add_co_ci_u32_e32 v2, vcc_lo, 0, v2, vcc_lo
	s_delay_alu instid0(VALU_DEP_1) | instskip(NEXT) | instid1(VALU_DEP_1)
	v_lshlrev_b64 v[3:4], 3, v[1:2]
	v_add_co_u32 v3, vcc_lo, s2, v3
	s_delay_alu instid0(VALU_DEP_2)
	v_add_co_ci_u32_e32 v4, vcc_lo, s3, v4, vcc_lo
	v_add_co_u32 v1, vcc_lo, s4, v1
	v_add_co_ci_u32_e32 v2, vcc_lo, s5, v2, vcc_lo
	global_load_b64 v[3:4], v[3:4], off
	global_load_i8 v7, v[1:2], off
	s_waitcnt vmcnt(1)
	v_sub_co_u32 v3, vcc_lo, v3, s18
	v_subrev_co_ci_u32_e32 v4, vcc_lo, 0, v4, vcc_lo
	s_delay_alu instid0(VALU_DEP_2) | instskip(NEXT) | instid1(VALU_DEP_2)
	v_add_co_u32 v1, vcc_lo, s6, v3
	v_add_co_ci_u32_e32 v2, vcc_lo, s7, v4, vcc_lo
	global_load_i8 v1, v[1:2], off
	s_waitcnt vmcnt(1)
	v_cvt_f32_i32_e32 v2, v7
	s_delay_alu instid0(VALU_DEP_1) | instskip(SKIP_2) | instid1(VALU_DEP_1)
	v_mul_f32_e32 v2, s16, v2
	s_waitcnt vmcnt(0)
	v_cvt_f32_i32_e32 v1, v1
	v_mul_f32_e32 v8, v2, v1
.LBB111_16:
	s_or_b32 exec_lo, exec_lo, s20
	v_lshlrev_b32_e32 v1, 2, v0
	ds_store_b32 v1, v8 offset:2048
.LBB111_17:
	s_or_b32 exec_lo, exec_lo, s15
	v_or_b32_e32 v1, 0x300, v0
	s_mov_b32 s15, exec_lo
	s_delay_alu instid0(VALU_DEP_1) | instskip(NEXT) | instid1(VALU_DEP_1)
	v_lshrrev_b32_e32 v1, s10, v1
	v_add_nc_u32_e32 v7, s14, v1
	s_delay_alu instid0(VALU_DEP_1)
	v_cmpx_gt_u32_e64 s11, v7
	s_cbranch_execz .LBB111_21
; %bb.18:
	v_mov_b32_e32 v8, 0
	s_delay_alu instid0(VALU_DEP_1) | instskip(NEXT) | instid1(VALU_DEP_1)
	v_lshlrev_b64 v[1:2], 3, v[7:8]
	v_add_co_u32 v1, vcc_lo, s17, v1
	s_delay_alu instid0(VALU_DEP_2) | instskip(SKIP_3) | instid1(VALU_DEP_1)
	v_add_co_ci_u32_e32 v2, vcc_lo, s19, v2, vcc_lo
	global_load_b64 v[1:2], v[1:2], off
	s_waitcnt vmcnt(0)
	v_lshlrev_b64 v[1:2], 3, v[1:2]
	v_add_co_u32 v1, vcc_lo, s0, v1
	s_delay_alu instid0(VALU_DEP_2)
	v_add_co_ci_u32_e32 v2, vcc_lo, s1, v2, vcc_lo
	s_mov_b32 s0, exec_lo
	global_load_b128 v[1:4], v[1:2], off
	s_waitcnt vmcnt(0)
	v_sub_co_u32 v3, vcc_lo, v3, v1
	v_sub_co_ci_u32_e32 v4, vcc_lo, v4, v2, vcc_lo
	s_delay_alu instid0(VALU_DEP_1)
	v_cmpx_gt_i64_e64 v[3:4], v[5:6]
	s_cbranch_execz .LBB111_20
; %bb.19:
	v_sub_co_u32 v1, vcc_lo, v1, s18
	v_subrev_co_ci_u32_e32 v2, vcc_lo, 0, v2, vcc_lo
	s_delay_alu instid0(VALU_DEP_2) | instskip(NEXT) | instid1(VALU_DEP_2)
	v_add_co_u32 v1, vcc_lo, v1, v5
	v_add_co_ci_u32_e32 v2, vcc_lo, 0, v2, vcc_lo
	s_delay_alu instid0(VALU_DEP_1) | instskip(NEXT) | instid1(VALU_DEP_1)
	v_lshlrev_b64 v[3:4], 3, v[1:2]
	v_add_co_u32 v3, vcc_lo, s2, v3
	s_delay_alu instid0(VALU_DEP_2)
	v_add_co_ci_u32_e32 v4, vcc_lo, s3, v4, vcc_lo
	v_add_co_u32 v1, vcc_lo, s4, v1
	v_add_co_ci_u32_e32 v2, vcc_lo, s5, v2, vcc_lo
	global_load_b64 v[3:4], v[3:4], off
	global_load_i8 v5, v[1:2], off
	s_waitcnt vmcnt(1)
	v_sub_co_u32 v3, vcc_lo, v3, s18
	v_subrev_co_ci_u32_e32 v4, vcc_lo, 0, v4, vcc_lo
	s_delay_alu instid0(VALU_DEP_2) | instskip(NEXT) | instid1(VALU_DEP_2)
	v_add_co_u32 v1, vcc_lo, s6, v3
	v_add_co_ci_u32_e32 v2, vcc_lo, s7, v4, vcc_lo
	global_load_i8 v1, v[1:2], off
	s_waitcnt vmcnt(1)
	v_cvt_f32_i32_e32 v2, v5
	s_delay_alu instid0(VALU_DEP_1) | instskip(SKIP_2) | instid1(VALU_DEP_1)
	v_mul_f32_e32 v2, s16, v2
	s_waitcnt vmcnt(0)
	v_cvt_f32_i32_e32 v1, v1
	v_mul_f32_e32 v8, v2, v1
.LBB111_20:
	s_or_b32 exec_lo, exec_lo, s0
	v_lshlrev_b32_e32 v1, 2, v0
	ds_store_b32 v1, v8 offset:3072
.LBB111_21:
	s_or_b32 exec_lo, exec_lo, s15
	s_cmp_lt_u32 s10, 11
	s_waitcnt lgkmcnt(0)
	s_barrier
	buffer_gl0_inv
	s_cbranch_scc0 .LBB111_30
; %bb.22:
	s_mov_b32 s15, 0
	v_cmp_neq_f32_e64 s0, s8, 0
	s_lshl_b64 s[2:3], s[14:15], 3
	v_mov_b32_e32 v2, 0
	s_sub_i32 s1, s11, s14
	s_add_u32 s2, s17, s2
	s_addc_u32 s3, s19, s3
	s_set_inst_prefetch_distance 0x1
	s_branch .LBB111_25
	.p2align	6
.LBB111_23:                             ;   in Loop: Header=BB111_25 Depth=1
	s_delay_alu instid0(VALU_DEP_1) | instskip(NEXT) | instid1(VALU_DEP_2)
	v_add_co_u32 v3, vcc_lo, s12, v3
	v_add_co_ci_u32_e32 v4, vcc_lo, s13, v4, vcc_lo
	global_store_b32 v[3:4], v1, off
.LBB111_24:                             ;   in Loop: Header=BB111_25 Depth=1
	s_or_b32 exec_lo, exec_lo, s4
	s_addk_i32 s15, 0x100
	s_delay_alu instid0(SALU_CYCLE_1)
	s_cmp_lt_u32 s15, s9
	s_cbranch_scc0 .LBB111_30
.LBB111_25:                             ; =>This Loop Header: Depth=1
                                        ;     Child Loop BB111_27 Depth 2
	v_add_nc_u32_e32 v1, s15, v0
	s_mov_b32 s4, exec_lo
	s_delay_alu instid0(VALU_DEP_1)
	v_cmpx_gt_u32_e64 s1, v1
	s_cbranch_execz .LBB111_24
; %bb.26:                               ;   in Loop: Header=BB111_25 Depth=1
	v_lshlrev_b64 v[3:4], 3, v[1:2]
	v_lshlrev_b32_e32 v1, s10, v1
	s_mov_b32 s5, 1
	s_delay_alu instid0(VALU_DEP_1) | instskip(NEXT) | instid1(VALU_DEP_3)
	v_lshlrev_b32_e32 v5, 2, v1
	v_add_co_u32 v3, vcc_lo, s2, v3
	s_delay_alu instid0(VALU_DEP_4)
	v_add_co_ci_u32_e32 v4, vcc_lo, s3, v4, vcc_lo
	v_mov_b32_e32 v1, 0
	global_load_b64 v[3:4], v[3:4], off
.LBB111_27:                             ;   Parent Loop BB111_25 Depth=1
                                        ; =>  This Inner Loop Header: Depth=2
	ds_load_b32 v6, v5
	v_add_nc_u32_e32 v5, 4, v5
	s_lshr_b32 s6, s5, s10
	s_add_i32 s5, s5, 1
	s_cmp_lg_u32 s6, 0
	s_waitcnt lgkmcnt(0)
	v_add_f32_e32 v1, v1, v6
	s_cbranch_scc0 .LBB111_27
; %bb.28:                               ;   in Loop: Header=BB111_25 Depth=1
	s_waitcnt vmcnt(0)
	v_lshlrev_b64 v[3:4], 2, v[3:4]
	s_and_b32 vcc_lo, exec_lo, s0
	s_cbranch_vccz .LBB111_23
; %bb.29:                               ;   in Loop: Header=BB111_25 Depth=1
	s_delay_alu instid0(VALU_DEP_1) | instskip(NEXT) | instid1(VALU_DEP_2)
	v_add_co_u32 v5, vcc_lo, s12, v3
	v_add_co_ci_u32_e32 v6, vcc_lo, s13, v4, vcc_lo
	global_load_b32 v5, v[5:6], off
	s_waitcnt vmcnt(0)
	v_fmac_f32_e32 v1, s8, v5
	s_branch .LBB111_23
.LBB111_30:
	s_set_inst_prefetch_distance 0x2
	s_nop 0
	s_sendmsg sendmsg(MSG_DEALLOC_VGPRS)
	s_endpgm
	.section	.rodata,"a",@progbits
	.p2align	6, 0x0
	.amdhsa_kernel _ZN9rocsparseL30csrmvn_lrb_short_rows_2_kernelIllaaffEEvbT_PT0_S3_jNS_24const_host_device_scalarIT4_EEPKS1_PKS2_PKT1_PKT2_S6_PT3_21rocsparse_index_base_b
		.amdhsa_group_segment_fixed_size 4096
		.amdhsa_private_segment_fixed_size 0
		.amdhsa_kernarg_size 104
		.amdhsa_user_sgpr_count 15
		.amdhsa_user_sgpr_dispatch_ptr 0
		.amdhsa_user_sgpr_queue_ptr 0
		.amdhsa_user_sgpr_kernarg_segment_ptr 1
		.amdhsa_user_sgpr_dispatch_id 0
		.amdhsa_user_sgpr_private_segment_size 0
		.amdhsa_wavefront_size32 1
		.amdhsa_uses_dynamic_stack 0
		.amdhsa_enable_private_segment 0
		.amdhsa_system_sgpr_workgroup_id_x 1
		.amdhsa_system_sgpr_workgroup_id_y 0
		.amdhsa_system_sgpr_workgroup_id_z 0
		.amdhsa_system_sgpr_workgroup_info 0
		.amdhsa_system_vgpr_workitem_id 0
		.amdhsa_next_free_vgpr 9
		.amdhsa_next_free_sgpr 24
		.amdhsa_reserve_vcc 1
		.amdhsa_float_round_mode_32 0
		.amdhsa_float_round_mode_16_64 0
		.amdhsa_float_denorm_mode_32 3
		.amdhsa_float_denorm_mode_16_64 3
		.amdhsa_dx10_clamp 1
		.amdhsa_ieee_mode 1
		.amdhsa_fp16_overflow 0
		.amdhsa_workgroup_processor_mode 1
		.amdhsa_memory_ordered 1
		.amdhsa_forward_progress 0
		.amdhsa_shared_vgpr_count 0
		.amdhsa_exception_fp_ieee_invalid_op 0
		.amdhsa_exception_fp_denorm_src 0
		.amdhsa_exception_fp_ieee_div_zero 0
		.amdhsa_exception_fp_ieee_overflow 0
		.amdhsa_exception_fp_ieee_underflow 0
		.amdhsa_exception_fp_ieee_inexact 0
		.amdhsa_exception_int_div_zero 0
	.end_amdhsa_kernel
	.section	.text._ZN9rocsparseL30csrmvn_lrb_short_rows_2_kernelIllaaffEEvbT_PT0_S3_jNS_24const_host_device_scalarIT4_EEPKS1_PKS2_PKT1_PKT2_S6_PT3_21rocsparse_index_base_b,"axG",@progbits,_ZN9rocsparseL30csrmvn_lrb_short_rows_2_kernelIllaaffEEvbT_PT0_S3_jNS_24const_host_device_scalarIT4_EEPKS1_PKS2_PKT1_PKT2_S6_PT3_21rocsparse_index_base_b,comdat
.Lfunc_end111:
	.size	_ZN9rocsparseL30csrmvn_lrb_short_rows_2_kernelIllaaffEEvbT_PT0_S3_jNS_24const_host_device_scalarIT4_EEPKS1_PKS2_PKT1_PKT2_S6_PT3_21rocsparse_index_base_b, .Lfunc_end111-_ZN9rocsparseL30csrmvn_lrb_short_rows_2_kernelIllaaffEEvbT_PT0_S3_jNS_24const_host_device_scalarIT4_EEPKS1_PKS2_PKT1_PKT2_S6_PT3_21rocsparse_index_base_b
                                        ; -- End function
	.section	.AMDGPU.csdata,"",@progbits
; Kernel info:
; codeLenInByte = 1836
; NumSgprs: 26
; NumVgprs: 9
; ScratchSize: 0
; MemoryBound: 0
; FloatMode: 240
; IeeeMode: 1
; LDSByteSize: 4096 bytes/workgroup (compile time only)
; SGPRBlocks: 3
; VGPRBlocks: 1
; NumSGPRsForWavesPerEU: 26
; NumVGPRsForWavesPerEU: 9
; Occupancy: 16
; WaveLimiterHint : 1
; COMPUTE_PGM_RSRC2:SCRATCH_EN: 0
; COMPUTE_PGM_RSRC2:USER_SGPR: 15
; COMPUTE_PGM_RSRC2:TRAP_HANDLER: 0
; COMPUTE_PGM_RSRC2:TGID_X_EN: 1
; COMPUTE_PGM_RSRC2:TGID_Y_EN: 0
; COMPUTE_PGM_RSRC2:TGID_Z_EN: 0
; COMPUTE_PGM_RSRC2:TIDIG_COMP_CNT: 0
	.section	.text._ZN9rocsparseL41csrmvn_lrb_medium_rows_warp_reduce_kernelILj256ELj32EllaaffEEvbT1_lPT2_S3_jNS_24const_host_device_scalarIT6_EEPKS1_PKS2_PKT3_PKT4_S6_PT5_21rocsparse_index_base_b,"axG",@progbits,_ZN9rocsparseL41csrmvn_lrb_medium_rows_warp_reduce_kernelILj256ELj32EllaaffEEvbT1_lPT2_S3_jNS_24const_host_device_scalarIT6_EEPKS1_PKS2_PKT3_PKT4_S6_PT5_21rocsparse_index_base_b,comdat
	.globl	_ZN9rocsparseL41csrmvn_lrb_medium_rows_warp_reduce_kernelILj256ELj32EllaaffEEvbT1_lPT2_S3_jNS_24const_host_device_scalarIT6_EEPKS1_PKS2_PKT3_PKT4_S6_PT5_21rocsparse_index_base_b ; -- Begin function _ZN9rocsparseL41csrmvn_lrb_medium_rows_warp_reduce_kernelILj256ELj32EllaaffEEvbT1_lPT2_S3_jNS_24const_host_device_scalarIT6_EEPKS1_PKS2_PKT3_PKT4_S6_PT5_21rocsparse_index_base_b
	.p2align	8
	.type	_ZN9rocsparseL41csrmvn_lrb_medium_rows_warp_reduce_kernelILj256ELj32EllaaffEEvbT1_lPT2_S3_jNS_24const_host_device_scalarIT6_EEPKS1_PKS2_PKT3_PKT4_S6_PT5_21rocsparse_index_base_b,@function
_ZN9rocsparseL41csrmvn_lrb_medium_rows_warp_reduce_kernelILj256ELj32EllaaffEEvbT1_lPT2_S3_jNS_24const_host_device_scalarIT6_EEPKS1_PKS2_PKT3_PKT4_S6_PT5_21rocsparse_index_base_b: ; @_ZN9rocsparseL41csrmvn_lrb_medium_rows_warp_reduce_kernelILj256ELj32EllaaffEEvbT1_lPT2_S3_jNS_24const_host_device_scalarIT6_EEPKS1_PKS2_PKT3_PKT4_S6_PT5_21rocsparse_index_base_b
; %bb.0:
	s_clause 0x2
	s_load_b64 s[8:9], s[0:1], 0x68
	s_load_b64 s[10:11], s[0:1], 0x30
	;; [unrolled: 1-line block ×3, first 2 shown]
	s_waitcnt lgkmcnt(0)
	s_bitcmp1_b32 s9, 0
	s_cselect_b32 s4, -1, 0
	s_delay_alu instid0(SALU_CYCLE_1)
	s_and_b32 vcc_lo, exec_lo, s4
	s_xor_b32 s4, s4, -1
	s_cbranch_vccnz .LBB112_2
; %bb.1:
	s_load_b32 s10, s[10:11], 0x0
.LBB112_2:
	s_and_not1_b32 vcc_lo, exec_lo, s4
	s_cbranch_vccnz .LBB112_4
; %bb.3:
	s_load_b32 s2, s[2:3], 0x0
.LBB112_4:
	s_waitcnt lgkmcnt(0)
	v_cmp_neq_f32_e64 s3, s10, 0
	v_cmp_neq_f32_e64 s4, s2, 1.0
	s_delay_alu instid0(VALU_DEP_1) | instskip(NEXT) | instid1(SALU_CYCLE_1)
	s_or_b32 s3, s3, s4
	s_and_not1_b32 vcc_lo, exec_lo, s3
	s_cbranch_vccnz .LBB112_14
; %bb.5:
	s_load_b64 s[4:5], s[0:1], 0x10
	v_lshrrev_b32_e32 v1, 5, v0
	s_mov_b32 s3, exec_lo
	s_delay_alu instid0(VALU_DEP_1) | instskip(NEXT) | instid1(VALU_DEP_1)
	v_lshl_or_b32 v1, s15, 3, v1
	v_ashrrev_i32_e32 v2, 31, v1
	s_waitcnt lgkmcnt(0)
	s_delay_alu instid0(VALU_DEP_1)
	v_cmpx_gt_i64_e64 s[4:5], v[1:2]
	s_cbranch_execz .LBB112_14
; %bb.6:
	s_clause 0x1
	s_load_b32 s14, s[0:1], 0x28
	s_load_b128 s[4:7], s[0:1], 0x18
	s_mov_b32 s15, 0
	v_lshlrev_b64 v[1:2], 3, v[1:2]
	v_and_b32_e32 v0, 31, v0
	s_waitcnt lgkmcnt(0)
	s_lshl_b64 s[12:13], s[14:15], 3
	s_delay_alu instid0(SALU_CYCLE_1)
	s_add_u32 s6, s6, s12
	s_addc_u32 s7, s7, s13
	s_load_b64 s[12:13], s[0:1], 0x60
	s_load_b64 s[6:7], s[6:7], 0x0
	s_waitcnt lgkmcnt(0)
	s_lshl_b64 s[6:7], s[6:7], 3
	s_delay_alu instid0(SALU_CYCLE_1)
	s_add_u32 s3, s4, s6
	s_addc_u32 s4, s5, s7
	v_add_co_u32 v1, vcc_lo, s3, v1
	v_add_co_ci_u32_e32 v2, vcc_lo, s4, v2, vcc_lo
	s_load_b64 s[4:5], s[0:1], 0x38
	v_sub_co_u32 v9, s3, v0, s8
	global_load_b64 v[1:2], v[1:2], off
	v_sub_co_ci_u32_e64 v10, null, 0, 0, s3
	s_mov_b32 s3, exec_lo
	s_waitcnt vmcnt(0)
	v_lshlrev_b64 v[3:4], 3, v[1:2]
	s_waitcnt lgkmcnt(0)
	s_delay_alu instid0(VALU_DEP_1) | instskip(NEXT) | instid1(VALU_DEP_2)
	v_add_co_u32 v3, vcc_lo, s4, v3
	v_add_co_ci_u32_e32 v4, vcc_lo, s5, v4, vcc_lo
	global_load_b128 v[5:8], v[3:4], off
	s_waitcnt vmcnt(0)
	v_sub_co_u32 v3, vcc_lo, v7, s8
	v_subrev_co_ci_u32_e32 v4, vcc_lo, 0, v8, vcc_lo
	v_add_co_u32 v5, vcc_lo, v5, v9
	v_add_co_ci_u32_e32 v6, vcc_lo, v6, v10, vcc_lo
	v_mov_b32_e32 v9, 0
	s_delay_alu instid0(VALU_DEP_2)
	v_cmpx_lt_i64_e64 v[5:6], v[3:4]
	s_cbranch_execz .LBB112_10
; %bb.7:
	s_clause 0x1
	s_load_b128 s[4:7], s[0:1], 0x40
	s_load_b64 s[16:17], s[0:1], 0x50
	v_lshlrev_b64 v[7:8], 3, v[5:6]
	v_mov_b32_e32 v9, 0
	s_waitcnt lgkmcnt(0)
	s_delay_alu instid0(VALU_DEP_2) | instskip(NEXT) | instid1(VALU_DEP_3)
	v_add_co_u32 v7, vcc_lo, s4, v7
	v_add_co_ci_u32_e32 v8, vcc_lo, s5, v8, vcc_lo
	.p2align	6
.LBB112_8:                              ; =>This Inner Loop Header: Depth=1
	global_load_b64 v[10:11], v[7:8], off
	v_add_co_u32 v12, vcc_lo, s6, v5
	v_add_co_ci_u32_e32 v13, vcc_lo, s7, v6, vcc_lo
	v_add_co_u32 v7, s0, 0x100, v7
	s_delay_alu instid0(VALU_DEP_1) | instskip(SKIP_4) | instid1(VALU_DEP_2)
	v_add_co_ci_u32_e64 v8, s0, 0, v8, s0
	global_load_i8 v12, v[12:13], off
	s_waitcnt vmcnt(1)
	v_sub_co_u32 v10, vcc_lo, v10, s8
	v_subrev_co_ci_u32_e32 v11, vcc_lo, 0, v11, vcc_lo
	v_add_co_u32 v10, vcc_lo, s16, v10
	s_delay_alu instid0(VALU_DEP_2)
	v_add_co_ci_u32_e32 v11, vcc_lo, s17, v11, vcc_lo
	v_add_co_u32 v5, vcc_lo, v5, 32
	v_add_co_ci_u32_e32 v6, vcc_lo, 0, v6, vcc_lo
	global_load_i8 v10, v[10:11], off
	s_waitcnt vmcnt(1)
	v_cvt_f32_i32_e32 v11, v12
	v_cmp_ge_i64_e32 vcc_lo, v[5:6], v[3:4]
	s_delay_alu instid0(VALU_DEP_2) | instskip(SKIP_3) | instid1(VALU_DEP_1)
	v_mul_f32_e32 v11, s10, v11
	s_or_b32 s15, vcc_lo, s15
	s_waitcnt vmcnt(0)
	v_cvt_f32_i32_e32 v10, v10
	v_fmac_f32_e32 v9, v11, v10
	s_and_not1_b32 exec_lo, exec_lo, s15
	s_cbranch_execnz .LBB112_8
; %bb.9:
	s_or_b32 exec_lo, exec_lo, s15
.LBB112_10:
	s_delay_alu instid0(SALU_CYCLE_1) | instskip(SKIP_1) | instid1(VALU_DEP_1)
	s_or_b32 exec_lo, exec_lo, s3
	v_mbcnt_lo_u32_b32 v3, -1, 0
	v_xor_b32_e32 v4, 16, v3
	v_xor_b32_e32 v5, 8, v3
	;; [unrolled: 1-line block ×3, first 2 shown]
	s_delay_alu instid0(VALU_DEP_3) | instskip(SKIP_1) | instid1(VALU_DEP_4)
	v_cmp_gt_i32_e32 vcc_lo, 32, v4
	v_cndmask_b32_e32 v4, v3, v4, vcc_lo
	v_cmp_gt_i32_e32 vcc_lo, 32, v5
	v_cndmask_b32_e32 v5, v3, v5, vcc_lo
	v_cmp_gt_i32_e32 vcc_lo, 32, v6
	s_delay_alu instid0(VALU_DEP_2)
	v_lshlrev_b32_e32 v5, 2, v5
	v_lshlrev_b32_e32 v4, 2, v4
	v_cndmask_b32_e32 v6, v3, v6, vcc_lo
	ds_bpermute_b32 v4, v4, v9
	v_lshlrev_b32_e32 v6, 2, v6
	s_waitcnt lgkmcnt(0)
	v_add_f32_e32 v4, v9, v4
	ds_bpermute_b32 v5, v5, v4
	s_waitcnt lgkmcnt(0)
	v_add_f32_e32 v4, v4, v5
	ds_bpermute_b32 v5, v6, v4
	v_xor_b32_e32 v6, 2, v3
	s_delay_alu instid0(VALU_DEP_1) | instskip(SKIP_1) | instid1(VALU_DEP_1)
	v_cmp_gt_i32_e32 vcc_lo, 32, v6
	v_cndmask_b32_e32 v6, v3, v6, vcc_lo
	v_lshlrev_b32_e32 v6, 2, v6
	s_waitcnt lgkmcnt(0)
	v_add_f32_e32 v4, v4, v5
	ds_bpermute_b32 v5, v6, v4
	v_xor_b32_e32 v6, 1, v3
	s_delay_alu instid0(VALU_DEP_1) | instskip(SKIP_3) | instid1(VALU_DEP_2)
	v_cmp_gt_i32_e32 vcc_lo, 32, v6
	v_cndmask_b32_e32 v6, v3, v6, vcc_lo
	v_cmp_eq_u32_e32 vcc_lo, 31, v0
	s_waitcnt lgkmcnt(0)
	v_dual_add_f32 v3, v4, v5 :: v_dual_lshlrev_b32 v4, 2, v6
	ds_bpermute_b32 v4, v4, v3
	s_and_b32 exec_lo, exec_lo, vcc_lo
	s_cbranch_execz .LBB112_14
; %bb.11:
	v_cmp_eq_f32_e64 s0, s2, 0
	v_lshlrev_b64 v[0:1], 2, v[1:2]
	s_waitcnt lgkmcnt(0)
	v_add_f32_e32 v3, v3, v4
	s_delay_alu instid0(VALU_DEP_3)
	s_and_b32 vcc_lo, exec_lo, s0
	s_cbranch_vccnz .LBB112_13
; %bb.12:
	s_delay_alu instid0(VALU_DEP_2)
	v_add_co_u32 v4, vcc_lo, s12, v0
	v_add_co_ci_u32_e32 v5, vcc_lo, s13, v1, vcc_lo
	global_load_b32 v2, v[4:5], off
	s_waitcnt vmcnt(0)
	v_fmac_f32_e32 v3, s2, v2
.LBB112_13:
	s_delay_alu instid0(VALU_DEP_2)
	v_add_co_u32 v0, vcc_lo, s12, v0
	v_add_co_ci_u32_e32 v1, vcc_lo, s13, v1, vcc_lo
	global_store_b32 v[0:1], v3, off
.LBB112_14:
	s_nop 0
	s_sendmsg sendmsg(MSG_DEALLOC_VGPRS)
	s_endpgm
	.section	.rodata,"a",@progbits
	.p2align	6, 0x0
	.amdhsa_kernel _ZN9rocsparseL41csrmvn_lrb_medium_rows_warp_reduce_kernelILj256ELj32EllaaffEEvbT1_lPT2_S3_jNS_24const_host_device_scalarIT6_EEPKS1_PKS2_PKT3_PKT4_S6_PT5_21rocsparse_index_base_b
		.amdhsa_group_segment_fixed_size 0
		.amdhsa_private_segment_fixed_size 0
		.amdhsa_kernarg_size 112
		.amdhsa_user_sgpr_count 15
		.amdhsa_user_sgpr_dispatch_ptr 0
		.amdhsa_user_sgpr_queue_ptr 0
		.amdhsa_user_sgpr_kernarg_segment_ptr 1
		.amdhsa_user_sgpr_dispatch_id 0
		.amdhsa_user_sgpr_private_segment_size 0
		.amdhsa_wavefront_size32 1
		.amdhsa_uses_dynamic_stack 0
		.amdhsa_enable_private_segment 0
		.amdhsa_system_sgpr_workgroup_id_x 1
		.amdhsa_system_sgpr_workgroup_id_y 0
		.amdhsa_system_sgpr_workgroup_id_z 0
		.amdhsa_system_sgpr_workgroup_info 0
		.amdhsa_system_vgpr_workitem_id 0
		.amdhsa_next_free_vgpr 14
		.amdhsa_next_free_sgpr 18
		.amdhsa_reserve_vcc 1
		.amdhsa_float_round_mode_32 0
		.amdhsa_float_round_mode_16_64 0
		.amdhsa_float_denorm_mode_32 3
		.amdhsa_float_denorm_mode_16_64 3
		.amdhsa_dx10_clamp 1
		.amdhsa_ieee_mode 1
		.amdhsa_fp16_overflow 0
		.amdhsa_workgroup_processor_mode 1
		.amdhsa_memory_ordered 1
		.amdhsa_forward_progress 0
		.amdhsa_shared_vgpr_count 0
		.amdhsa_exception_fp_ieee_invalid_op 0
		.amdhsa_exception_fp_denorm_src 0
		.amdhsa_exception_fp_ieee_div_zero 0
		.amdhsa_exception_fp_ieee_overflow 0
		.amdhsa_exception_fp_ieee_underflow 0
		.amdhsa_exception_fp_ieee_inexact 0
		.amdhsa_exception_int_div_zero 0
	.end_amdhsa_kernel
	.section	.text._ZN9rocsparseL41csrmvn_lrb_medium_rows_warp_reduce_kernelILj256ELj32EllaaffEEvbT1_lPT2_S3_jNS_24const_host_device_scalarIT6_EEPKS1_PKS2_PKT3_PKT4_S6_PT5_21rocsparse_index_base_b,"axG",@progbits,_ZN9rocsparseL41csrmvn_lrb_medium_rows_warp_reduce_kernelILj256ELj32EllaaffEEvbT1_lPT2_S3_jNS_24const_host_device_scalarIT6_EEPKS1_PKS2_PKT3_PKT4_S6_PT5_21rocsparse_index_base_b,comdat
.Lfunc_end112:
	.size	_ZN9rocsparseL41csrmvn_lrb_medium_rows_warp_reduce_kernelILj256ELj32EllaaffEEvbT1_lPT2_S3_jNS_24const_host_device_scalarIT6_EEPKS1_PKS2_PKT3_PKT4_S6_PT5_21rocsparse_index_base_b, .Lfunc_end112-_ZN9rocsparseL41csrmvn_lrb_medium_rows_warp_reduce_kernelILj256ELj32EllaaffEEvbT1_lPT2_S3_jNS_24const_host_device_scalarIT6_EEPKS1_PKS2_PKT3_PKT4_S6_PT5_21rocsparse_index_base_b
                                        ; -- End function
	.section	.AMDGPU.csdata,"",@progbits
; Kernel info:
; codeLenInByte = 900
; NumSgprs: 20
; NumVgprs: 14
; ScratchSize: 0
; MemoryBound: 0
; FloatMode: 240
; IeeeMode: 1
; LDSByteSize: 0 bytes/workgroup (compile time only)
; SGPRBlocks: 2
; VGPRBlocks: 1
; NumSGPRsForWavesPerEU: 20
; NumVGPRsForWavesPerEU: 14
; Occupancy: 16
; WaveLimiterHint : 1
; COMPUTE_PGM_RSRC2:SCRATCH_EN: 0
; COMPUTE_PGM_RSRC2:USER_SGPR: 15
; COMPUTE_PGM_RSRC2:TRAP_HANDLER: 0
; COMPUTE_PGM_RSRC2:TGID_X_EN: 1
; COMPUTE_PGM_RSRC2:TGID_Y_EN: 0
; COMPUTE_PGM_RSRC2:TGID_Z_EN: 0
; COMPUTE_PGM_RSRC2:TIDIG_COMP_CNT: 0
	.section	.text._ZN9rocsparseL41csrmvn_lrb_medium_rows_warp_reduce_kernelILj256ELj64EllaaffEEvbT1_lPT2_S3_jNS_24const_host_device_scalarIT6_EEPKS1_PKS2_PKT3_PKT4_S6_PT5_21rocsparse_index_base_b,"axG",@progbits,_ZN9rocsparseL41csrmvn_lrb_medium_rows_warp_reduce_kernelILj256ELj64EllaaffEEvbT1_lPT2_S3_jNS_24const_host_device_scalarIT6_EEPKS1_PKS2_PKT3_PKT4_S6_PT5_21rocsparse_index_base_b,comdat
	.globl	_ZN9rocsparseL41csrmvn_lrb_medium_rows_warp_reduce_kernelILj256ELj64EllaaffEEvbT1_lPT2_S3_jNS_24const_host_device_scalarIT6_EEPKS1_PKS2_PKT3_PKT4_S6_PT5_21rocsparse_index_base_b ; -- Begin function _ZN9rocsparseL41csrmvn_lrb_medium_rows_warp_reduce_kernelILj256ELj64EllaaffEEvbT1_lPT2_S3_jNS_24const_host_device_scalarIT6_EEPKS1_PKS2_PKT3_PKT4_S6_PT5_21rocsparse_index_base_b
	.p2align	8
	.type	_ZN9rocsparseL41csrmvn_lrb_medium_rows_warp_reduce_kernelILj256ELj64EllaaffEEvbT1_lPT2_S3_jNS_24const_host_device_scalarIT6_EEPKS1_PKS2_PKT3_PKT4_S6_PT5_21rocsparse_index_base_b,@function
_ZN9rocsparseL41csrmvn_lrb_medium_rows_warp_reduce_kernelILj256ELj64EllaaffEEvbT1_lPT2_S3_jNS_24const_host_device_scalarIT6_EEPKS1_PKS2_PKT3_PKT4_S6_PT5_21rocsparse_index_base_b: ; @_ZN9rocsparseL41csrmvn_lrb_medium_rows_warp_reduce_kernelILj256ELj64EllaaffEEvbT1_lPT2_S3_jNS_24const_host_device_scalarIT6_EEPKS1_PKS2_PKT3_PKT4_S6_PT5_21rocsparse_index_base_b
; %bb.0:
	s_clause 0x2
	s_load_b64 s[8:9], s[0:1], 0x68
	s_load_b64 s[10:11], s[0:1], 0x30
	;; [unrolled: 1-line block ×3, first 2 shown]
	s_waitcnt lgkmcnt(0)
	s_bitcmp1_b32 s9, 0
	s_cselect_b32 s4, -1, 0
	s_delay_alu instid0(SALU_CYCLE_1)
	s_and_b32 vcc_lo, exec_lo, s4
	s_xor_b32 s4, s4, -1
	s_cbranch_vccnz .LBB113_2
; %bb.1:
	s_load_b32 s10, s[10:11], 0x0
.LBB113_2:
	s_and_not1_b32 vcc_lo, exec_lo, s4
	s_cbranch_vccnz .LBB113_4
; %bb.3:
	s_load_b32 s2, s[2:3], 0x0
.LBB113_4:
	s_waitcnt lgkmcnt(0)
	v_cmp_neq_f32_e64 s3, s10, 0
	v_cmp_neq_f32_e64 s4, s2, 1.0
	s_delay_alu instid0(VALU_DEP_1) | instskip(NEXT) | instid1(SALU_CYCLE_1)
	s_or_b32 s3, s3, s4
	s_and_not1_b32 vcc_lo, exec_lo, s3
	s_cbranch_vccnz .LBB113_14
; %bb.5:
	s_load_b64 s[4:5], s[0:1], 0x10
	v_lshrrev_b32_e32 v1, 6, v0
	s_mov_b32 s3, exec_lo
	s_delay_alu instid0(VALU_DEP_1) | instskip(NEXT) | instid1(VALU_DEP_1)
	v_lshl_or_b32 v1, s15, 2, v1
	v_ashrrev_i32_e32 v2, 31, v1
	s_waitcnt lgkmcnt(0)
	s_delay_alu instid0(VALU_DEP_1)
	v_cmpx_gt_i64_e64 s[4:5], v[1:2]
	s_cbranch_execz .LBB113_14
; %bb.6:
	s_clause 0x1
	s_load_b32 s14, s[0:1], 0x28
	s_load_b128 s[4:7], s[0:1], 0x18
	s_mov_b32 s15, 0
	v_lshlrev_b64 v[1:2], 3, v[1:2]
	v_and_b32_e32 v0, 63, v0
	s_waitcnt lgkmcnt(0)
	s_lshl_b64 s[12:13], s[14:15], 3
	s_delay_alu instid0(SALU_CYCLE_1)
	s_add_u32 s6, s6, s12
	s_addc_u32 s7, s7, s13
	s_load_b64 s[12:13], s[0:1], 0x60
	s_load_b64 s[6:7], s[6:7], 0x0
	s_waitcnt lgkmcnt(0)
	s_lshl_b64 s[6:7], s[6:7], 3
	s_delay_alu instid0(SALU_CYCLE_1)
	s_add_u32 s3, s4, s6
	s_addc_u32 s4, s5, s7
	v_add_co_u32 v1, vcc_lo, s3, v1
	v_add_co_ci_u32_e32 v2, vcc_lo, s4, v2, vcc_lo
	s_load_b64 s[4:5], s[0:1], 0x38
	v_sub_co_u32 v9, s3, v0, s8
	global_load_b64 v[1:2], v[1:2], off
	v_sub_co_ci_u32_e64 v10, null, 0, 0, s3
	s_mov_b32 s3, exec_lo
	s_waitcnt vmcnt(0)
	v_lshlrev_b64 v[3:4], 3, v[1:2]
	s_waitcnt lgkmcnt(0)
	s_delay_alu instid0(VALU_DEP_1) | instskip(NEXT) | instid1(VALU_DEP_2)
	v_add_co_u32 v3, vcc_lo, s4, v3
	v_add_co_ci_u32_e32 v4, vcc_lo, s5, v4, vcc_lo
	global_load_b128 v[5:8], v[3:4], off
	s_waitcnt vmcnt(0)
	v_sub_co_u32 v3, vcc_lo, v7, s8
	v_subrev_co_ci_u32_e32 v4, vcc_lo, 0, v8, vcc_lo
	v_add_co_u32 v5, vcc_lo, v5, v9
	v_add_co_ci_u32_e32 v6, vcc_lo, v6, v10, vcc_lo
	v_mov_b32_e32 v9, 0
	s_delay_alu instid0(VALU_DEP_2)
	v_cmpx_lt_i64_e64 v[5:6], v[3:4]
	s_cbranch_execz .LBB113_10
; %bb.7:
	s_clause 0x1
	s_load_b128 s[4:7], s[0:1], 0x40
	s_load_b64 s[16:17], s[0:1], 0x50
	v_lshlrev_b64 v[7:8], 3, v[5:6]
	v_mov_b32_e32 v9, 0
	s_waitcnt lgkmcnt(0)
	s_delay_alu instid0(VALU_DEP_2) | instskip(NEXT) | instid1(VALU_DEP_3)
	v_add_co_u32 v7, vcc_lo, s4, v7
	v_add_co_ci_u32_e32 v8, vcc_lo, s5, v8, vcc_lo
	.p2align	6
.LBB113_8:                              ; =>This Inner Loop Header: Depth=1
	global_load_b64 v[10:11], v[7:8], off
	v_add_co_u32 v12, vcc_lo, s6, v5
	v_add_co_ci_u32_e32 v13, vcc_lo, s7, v6, vcc_lo
	v_add_co_u32 v7, s0, 0x200, v7
	s_delay_alu instid0(VALU_DEP_1) | instskip(SKIP_4) | instid1(VALU_DEP_2)
	v_add_co_ci_u32_e64 v8, s0, 0, v8, s0
	global_load_i8 v12, v[12:13], off
	s_waitcnt vmcnt(1)
	v_sub_co_u32 v10, vcc_lo, v10, s8
	v_subrev_co_ci_u32_e32 v11, vcc_lo, 0, v11, vcc_lo
	v_add_co_u32 v10, vcc_lo, s16, v10
	s_delay_alu instid0(VALU_DEP_2)
	v_add_co_ci_u32_e32 v11, vcc_lo, s17, v11, vcc_lo
	v_add_co_u32 v5, vcc_lo, v5, 64
	v_add_co_ci_u32_e32 v6, vcc_lo, 0, v6, vcc_lo
	global_load_i8 v10, v[10:11], off
	s_waitcnt vmcnt(1)
	v_cvt_f32_i32_e32 v11, v12
	v_cmp_ge_i64_e32 vcc_lo, v[5:6], v[3:4]
	s_delay_alu instid0(VALU_DEP_2) | instskip(SKIP_3) | instid1(VALU_DEP_1)
	v_mul_f32_e32 v11, s10, v11
	s_or_b32 s15, vcc_lo, s15
	s_waitcnt vmcnt(0)
	v_cvt_f32_i32_e32 v10, v10
	v_fmac_f32_e32 v9, v11, v10
	s_and_not1_b32 exec_lo, exec_lo, s15
	s_cbranch_execnz .LBB113_8
; %bb.9:
	s_or_b32 exec_lo, exec_lo, s15
.LBB113_10:
	s_delay_alu instid0(SALU_CYCLE_1) | instskip(SKIP_1) | instid1(VALU_DEP_1)
	s_or_b32 exec_lo, exec_lo, s3
	v_mbcnt_lo_u32_b32 v3, -1, 0
	v_or_b32_e32 v4, 32, v3
	v_xor_b32_e32 v5, 16, v3
	v_xor_b32_e32 v6, 8, v3
	s_delay_alu instid0(VALU_DEP_3) | instskip(SKIP_1) | instid1(VALU_DEP_4)
	v_cmp_gt_i32_e32 vcc_lo, 32, v4
	v_cndmask_b32_e32 v4, v3, v4, vcc_lo
	v_cmp_gt_i32_e32 vcc_lo, 32, v5
	v_cndmask_b32_e32 v5, v3, v5, vcc_lo
	v_cmp_gt_i32_e32 vcc_lo, 32, v6
	s_delay_alu instid0(VALU_DEP_2)
	v_lshlrev_b32_e32 v5, 2, v5
	v_lshlrev_b32_e32 v4, 2, v4
	v_cndmask_b32_e32 v6, v3, v6, vcc_lo
	ds_bpermute_b32 v4, v4, v9
	v_lshlrev_b32_e32 v6, 2, v6
	s_waitcnt lgkmcnt(0)
	v_add_f32_e32 v4, v9, v4
	ds_bpermute_b32 v5, v5, v4
	s_waitcnt lgkmcnt(0)
	v_add_f32_e32 v4, v4, v5
	ds_bpermute_b32 v5, v6, v4
	v_xor_b32_e32 v6, 4, v3
	s_delay_alu instid0(VALU_DEP_1) | instskip(SKIP_1) | instid1(VALU_DEP_1)
	v_cmp_gt_i32_e32 vcc_lo, 32, v6
	v_cndmask_b32_e32 v6, v3, v6, vcc_lo
	v_lshlrev_b32_e32 v6, 2, v6
	s_waitcnt lgkmcnt(0)
	v_add_f32_e32 v4, v4, v5
	ds_bpermute_b32 v5, v6, v4
	v_xor_b32_e32 v6, 2, v3
	s_delay_alu instid0(VALU_DEP_1) | instskip(SKIP_1) | instid1(VALU_DEP_1)
	v_cmp_gt_i32_e32 vcc_lo, 32, v6
	v_cndmask_b32_e32 v6, v3, v6, vcc_lo
	v_lshlrev_b32_e32 v6, 2, v6
	s_waitcnt lgkmcnt(0)
	v_add_f32_e32 v4, v4, v5
	ds_bpermute_b32 v5, v6, v4
	v_xor_b32_e32 v6, 1, v3
	s_delay_alu instid0(VALU_DEP_1) | instskip(SKIP_3) | instid1(VALU_DEP_2)
	v_cmp_gt_i32_e32 vcc_lo, 32, v6
	v_cndmask_b32_e32 v6, v3, v6, vcc_lo
	v_cmp_eq_u32_e32 vcc_lo, 63, v0
	s_waitcnt lgkmcnt(0)
	v_dual_add_f32 v3, v4, v5 :: v_dual_lshlrev_b32 v4, 2, v6
	ds_bpermute_b32 v4, v4, v3
	s_and_b32 exec_lo, exec_lo, vcc_lo
	s_cbranch_execz .LBB113_14
; %bb.11:
	v_cmp_eq_f32_e64 s0, s2, 0
	v_lshlrev_b64 v[0:1], 2, v[1:2]
	s_waitcnt lgkmcnt(0)
	v_add_f32_e32 v3, v3, v4
	s_delay_alu instid0(VALU_DEP_3)
	s_and_b32 vcc_lo, exec_lo, s0
	s_cbranch_vccnz .LBB113_13
; %bb.12:
	s_delay_alu instid0(VALU_DEP_2)
	v_add_co_u32 v4, vcc_lo, s12, v0
	v_add_co_ci_u32_e32 v5, vcc_lo, s13, v1, vcc_lo
	global_load_b32 v2, v[4:5], off
	s_waitcnt vmcnt(0)
	v_fmac_f32_e32 v3, s2, v2
.LBB113_13:
	s_delay_alu instid0(VALU_DEP_2)
	v_add_co_u32 v0, vcc_lo, s12, v0
	v_add_co_ci_u32_e32 v1, vcc_lo, s13, v1, vcc_lo
	global_store_b32 v[0:1], v3, off
.LBB113_14:
	s_nop 0
	s_sendmsg sendmsg(MSG_DEALLOC_VGPRS)
	s_endpgm
	.section	.rodata,"a",@progbits
	.p2align	6, 0x0
	.amdhsa_kernel _ZN9rocsparseL41csrmvn_lrb_medium_rows_warp_reduce_kernelILj256ELj64EllaaffEEvbT1_lPT2_S3_jNS_24const_host_device_scalarIT6_EEPKS1_PKS2_PKT3_PKT4_S6_PT5_21rocsparse_index_base_b
		.amdhsa_group_segment_fixed_size 0
		.amdhsa_private_segment_fixed_size 0
		.amdhsa_kernarg_size 112
		.amdhsa_user_sgpr_count 15
		.amdhsa_user_sgpr_dispatch_ptr 0
		.amdhsa_user_sgpr_queue_ptr 0
		.amdhsa_user_sgpr_kernarg_segment_ptr 1
		.amdhsa_user_sgpr_dispatch_id 0
		.amdhsa_user_sgpr_private_segment_size 0
		.amdhsa_wavefront_size32 1
		.amdhsa_uses_dynamic_stack 0
		.amdhsa_enable_private_segment 0
		.amdhsa_system_sgpr_workgroup_id_x 1
		.amdhsa_system_sgpr_workgroup_id_y 0
		.amdhsa_system_sgpr_workgroup_id_z 0
		.amdhsa_system_sgpr_workgroup_info 0
		.amdhsa_system_vgpr_workitem_id 0
		.amdhsa_next_free_vgpr 14
		.amdhsa_next_free_sgpr 18
		.amdhsa_reserve_vcc 1
		.amdhsa_float_round_mode_32 0
		.amdhsa_float_round_mode_16_64 0
		.amdhsa_float_denorm_mode_32 3
		.amdhsa_float_denorm_mode_16_64 3
		.amdhsa_dx10_clamp 1
		.amdhsa_ieee_mode 1
		.amdhsa_fp16_overflow 0
		.amdhsa_workgroup_processor_mode 1
		.amdhsa_memory_ordered 1
		.amdhsa_forward_progress 0
		.amdhsa_shared_vgpr_count 0
		.amdhsa_exception_fp_ieee_invalid_op 0
		.amdhsa_exception_fp_denorm_src 0
		.amdhsa_exception_fp_ieee_div_zero 0
		.amdhsa_exception_fp_ieee_overflow 0
		.amdhsa_exception_fp_ieee_underflow 0
		.amdhsa_exception_fp_ieee_inexact 0
		.amdhsa_exception_int_div_zero 0
	.end_amdhsa_kernel
	.section	.text._ZN9rocsparseL41csrmvn_lrb_medium_rows_warp_reduce_kernelILj256ELj64EllaaffEEvbT1_lPT2_S3_jNS_24const_host_device_scalarIT6_EEPKS1_PKS2_PKT3_PKT4_S6_PT5_21rocsparse_index_base_b,"axG",@progbits,_ZN9rocsparseL41csrmvn_lrb_medium_rows_warp_reduce_kernelILj256ELj64EllaaffEEvbT1_lPT2_S3_jNS_24const_host_device_scalarIT6_EEPKS1_PKS2_PKT3_PKT4_S6_PT5_21rocsparse_index_base_b,comdat
.Lfunc_end113:
	.size	_ZN9rocsparseL41csrmvn_lrb_medium_rows_warp_reduce_kernelILj256ELj64EllaaffEEvbT1_lPT2_S3_jNS_24const_host_device_scalarIT6_EEPKS1_PKS2_PKT3_PKT4_S6_PT5_21rocsparse_index_base_b, .Lfunc_end113-_ZN9rocsparseL41csrmvn_lrb_medium_rows_warp_reduce_kernelILj256ELj64EllaaffEEvbT1_lPT2_S3_jNS_24const_host_device_scalarIT6_EEPKS1_PKS2_PKT3_PKT4_S6_PT5_21rocsparse_index_base_b
                                        ; -- End function
	.section	.AMDGPU.csdata,"",@progbits
; Kernel info:
; codeLenInByte = 936
; NumSgprs: 20
; NumVgprs: 14
; ScratchSize: 0
; MemoryBound: 0
; FloatMode: 240
; IeeeMode: 1
; LDSByteSize: 0 bytes/workgroup (compile time only)
; SGPRBlocks: 2
; VGPRBlocks: 1
; NumSGPRsForWavesPerEU: 20
; NumVGPRsForWavesPerEU: 14
; Occupancy: 16
; WaveLimiterHint : 1
; COMPUTE_PGM_RSRC2:SCRATCH_EN: 0
; COMPUTE_PGM_RSRC2:USER_SGPR: 15
; COMPUTE_PGM_RSRC2:TRAP_HANDLER: 0
; COMPUTE_PGM_RSRC2:TGID_X_EN: 1
; COMPUTE_PGM_RSRC2:TGID_Y_EN: 0
; COMPUTE_PGM_RSRC2:TGID_Z_EN: 0
; COMPUTE_PGM_RSRC2:TIDIG_COMP_CNT: 0
	.section	.text._ZN9rocsparseL29csrmvn_lrb_medium_rows_kernelILj256EllaaffEEvbT0_PT1_S3_jNS_24const_host_device_scalarIT5_EEPKS1_PKS2_PKT2_PKT3_S6_PT4_21rocsparse_index_base_b,"axG",@progbits,_ZN9rocsparseL29csrmvn_lrb_medium_rows_kernelILj256EllaaffEEvbT0_PT1_S3_jNS_24const_host_device_scalarIT5_EEPKS1_PKS2_PKT2_PKT3_S6_PT4_21rocsparse_index_base_b,comdat
	.globl	_ZN9rocsparseL29csrmvn_lrb_medium_rows_kernelILj256EllaaffEEvbT0_PT1_S3_jNS_24const_host_device_scalarIT5_EEPKS1_PKS2_PKT2_PKT3_S6_PT4_21rocsparse_index_base_b ; -- Begin function _ZN9rocsparseL29csrmvn_lrb_medium_rows_kernelILj256EllaaffEEvbT0_PT1_S3_jNS_24const_host_device_scalarIT5_EEPKS1_PKS2_PKT2_PKT3_S6_PT4_21rocsparse_index_base_b
	.p2align	8
	.type	_ZN9rocsparseL29csrmvn_lrb_medium_rows_kernelILj256EllaaffEEvbT0_PT1_S3_jNS_24const_host_device_scalarIT5_EEPKS1_PKS2_PKT2_PKT3_S6_PT4_21rocsparse_index_base_b,@function
_ZN9rocsparseL29csrmvn_lrb_medium_rows_kernelILj256EllaaffEEvbT0_PT1_S3_jNS_24const_host_device_scalarIT5_EEPKS1_PKS2_PKT2_PKT3_S6_PT4_21rocsparse_index_base_b: ; @_ZN9rocsparseL29csrmvn_lrb_medium_rows_kernelILj256EllaaffEEvbT0_PT1_S3_jNS_24const_host_device_scalarIT5_EEPKS1_PKS2_PKT2_PKT3_S6_PT4_21rocsparse_index_base_b
; %bb.0:
	s_mov_b32 s4, s15
	s_clause 0x2
	s_load_b64 s[12:13], s[0:1], 0x60
	s_load_b64 s[14:15], s[0:1], 0x28
	;; [unrolled: 1-line block ×3, first 2 shown]
	s_waitcnt lgkmcnt(0)
	s_bitcmp1_b32 s13, 0
	s_cselect_b32 s5, -1, 0
	s_delay_alu instid0(SALU_CYCLE_1)
	s_and_b32 vcc_lo, exec_lo, s5
	s_xor_b32 s5, s5, -1
	s_cbranch_vccnz .LBB114_2
; %bb.1:
	s_load_b32 s14, s[14:15], 0x0
.LBB114_2:
	s_and_not1_b32 vcc_lo, exec_lo, s5
	s_cbranch_vccnz .LBB114_4
; %bb.3:
	s_load_b32 s2, s[2:3], 0x0
.LBB114_4:
	s_waitcnt lgkmcnt(0)
	v_cmp_neq_f32_e64 s3, s14, 0
	v_cmp_neq_f32_e64 s5, s2, 1.0
	s_mov_b32 s7, 0
	s_delay_alu instid0(VALU_DEP_1) | instskip(NEXT) | instid1(SALU_CYCLE_1)
	s_or_b32 s3, s3, s5
	s_and_not1_b32 vcc_lo, exec_lo, s3
	s_cbranch_vccnz .LBB114_29
; %bb.5:
	s_clause 0x1
	s_load_b32 s6, s[0:1], 0x20
	s_load_b128 s[8:11], s[0:1], 0x10
	v_mov_b32_e32 v5, 0
	s_waitcnt lgkmcnt(0)
	s_lshl_b64 s[6:7], s[6:7], 3
	s_delay_alu instid0(SALU_CYCLE_1)
	s_add_u32 s6, s10, s6
	s_addc_u32 s7, s11, s7
	s_ashr_i32 s5, s4, 31
	s_load_b64 s[6:7], s[6:7], 0x0
	s_waitcnt lgkmcnt(0)
	s_lshl_b64 s[6:7], s[6:7], 3
	s_delay_alu instid0(SALU_CYCLE_1) | instskip(SKIP_2) | instid1(SALU_CYCLE_1)
	s_add_u32 s3, s8, s6
	s_addc_u32 s6, s9, s7
	s_lshl_b64 s[4:5], s[4:5], 3
	s_add_u32 s4, s3, s4
	s_addc_u32 s5, s6, s5
	s_load_b64 s[8:9], s[4:5], 0x0
	s_load_b64 s[4:5], s[0:1], 0x30
	v_sub_co_u32 v1, s3, v0, s12
	s_delay_alu instid0(VALU_DEP_1) | instskip(SKIP_3) | instid1(SALU_CYCLE_1)
	v_sub_co_ci_u32_e64 v2, null, 0, 0, s3
	s_mov_b32 s3, exec_lo
	s_waitcnt lgkmcnt(0)
	s_lshl_b64 s[6:7], s[8:9], 3
	s_add_u32 s4, s4, s6
	s_addc_u32 s5, s5, s7
	s_load_b128 s[4:7], s[4:5], 0x0
	s_load_b64 s[10:11], s[0:1], 0x58
	s_waitcnt lgkmcnt(0)
	v_add_co_u32 v1, vcc_lo, s4, v1
	v_add_co_ci_u32_e32 v2, vcc_lo, s5, v2, vcc_lo
	s_sub_u32 s16, s6, s12
	s_subb_u32 s17, s7, 0
	s_delay_alu instid0(VALU_DEP_1) | instid1(SALU_CYCLE_1)
	v_cmpx_gt_i64_e64 s[16:17], v[1:2]
	s_cbranch_execz .LBB114_9
; %bb.6:
	s_clause 0x1
	s_load_b128 s[4:7], s[0:1], 0x38
	s_load_b64 s[18:19], s[0:1], 0x48
	v_lshlrev_b64 v[3:4], 3, v[1:2]
	v_mov_b32_e32 v5, 0
	s_mov_b32 s1, 0
	s_waitcnt lgkmcnt(0)
	s_delay_alu instid0(VALU_DEP_2) | instskip(NEXT) | instid1(VALU_DEP_3)
	v_add_co_u32 v3, vcc_lo, s4, v3
	v_add_co_ci_u32_e32 v4, vcc_lo, s5, v4, vcc_lo
	.p2align	6
.LBB114_7:                              ; =>This Inner Loop Header: Depth=1
	global_load_b64 v[6:7], v[3:4], off
	v_add_co_u32 v8, vcc_lo, s6, v1
	v_add_co_ci_u32_e32 v9, vcc_lo, s7, v2, vcc_lo
	v_add_co_u32 v3, s0, 0x800, v3
	s_delay_alu instid0(VALU_DEP_1) | instskip(SKIP_4) | instid1(VALU_DEP_2)
	v_add_co_ci_u32_e64 v4, s0, 0, v4, s0
	global_load_i8 v8, v[8:9], off
	s_waitcnt vmcnt(1)
	v_sub_co_u32 v6, vcc_lo, v6, s12
	v_subrev_co_ci_u32_e32 v7, vcc_lo, 0, v7, vcc_lo
	v_add_co_u32 v6, vcc_lo, s18, v6
	s_delay_alu instid0(VALU_DEP_2)
	v_add_co_ci_u32_e32 v7, vcc_lo, s19, v7, vcc_lo
	v_add_co_u32 v1, vcc_lo, 0x100, v1
	v_add_co_ci_u32_e32 v2, vcc_lo, 0, v2, vcc_lo
	global_load_i8 v6, v[6:7], off
	s_waitcnt vmcnt(1)
	v_cvt_f32_i32_e32 v7, v8
	v_cmp_le_i64_e32 vcc_lo, s[16:17], v[1:2]
	s_delay_alu instid0(VALU_DEP_2) | instskip(SKIP_3) | instid1(VALU_DEP_1)
	v_mul_f32_e32 v7, s14, v7
	s_or_b32 s1, vcc_lo, s1
	s_waitcnt vmcnt(0)
	v_cvt_f32_i32_e32 v6, v6
	v_fmac_f32_e32 v5, v7, v6
	s_and_not1_b32 exec_lo, exec_lo, s1
	s_cbranch_execnz .LBB114_7
; %bb.8:
	s_or_b32 exec_lo, exec_lo, s1
.LBB114_9:
	s_delay_alu instid0(SALU_CYCLE_1)
	s_or_b32 exec_lo, exec_lo, s3
	v_lshlrev_b32_e32 v1, 2, v0
	s_mov_b32 s0, exec_lo
	ds_store_b32 v1, v5
	s_waitcnt lgkmcnt(0)
	s_barrier
	buffer_gl0_inv
	v_cmpx_gt_u32_e32 0x80, v0
	s_cbranch_execz .LBB114_11
; %bb.10:
	ds_load_2addr_stride64_b32 v[2:3], v1 offset1:2
	s_waitcnt lgkmcnt(0)
	v_add_f32_e32 v2, v2, v3
	ds_store_b32 v1, v2
.LBB114_11:
	s_or_b32 exec_lo, exec_lo, s0
	s_delay_alu instid0(SALU_CYCLE_1)
	s_mov_b32 s0, exec_lo
	s_waitcnt lgkmcnt(0)
	s_barrier
	buffer_gl0_inv
	v_cmpx_gt_u32_e32 64, v0
	s_cbranch_execz .LBB114_13
; %bb.12:
	ds_load_2addr_stride64_b32 v[2:3], v1 offset1:1
	s_waitcnt lgkmcnt(0)
	v_add_f32_e32 v2, v2, v3
	ds_store_b32 v1, v2
.LBB114_13:
	s_or_b32 exec_lo, exec_lo, s0
	s_delay_alu instid0(SALU_CYCLE_1)
	s_mov_b32 s0, exec_lo
	s_waitcnt lgkmcnt(0)
	s_barrier
	buffer_gl0_inv
	v_cmpx_gt_u32_e32 32, v0
	s_cbranch_execz .LBB114_15
; %bb.14:
	ds_load_2addr_b32 v[2:3], v1 offset1:32
	s_waitcnt lgkmcnt(0)
	v_add_f32_e32 v2, v2, v3
	ds_store_b32 v1, v2
.LBB114_15:
	s_or_b32 exec_lo, exec_lo, s0
	s_delay_alu instid0(SALU_CYCLE_1)
	s_mov_b32 s0, exec_lo
	s_waitcnt lgkmcnt(0)
	s_barrier
	buffer_gl0_inv
	v_cmpx_gt_u32_e32 16, v0
	s_cbranch_execz .LBB114_17
; %bb.16:
	ds_load_2addr_b32 v[2:3], v1 offset1:16
	s_waitcnt lgkmcnt(0)
	v_add_f32_e32 v2, v2, v3
	ds_store_b32 v1, v2
.LBB114_17:
	;; [unrolled: 14-line block ×5, first 2 shown]
	s_or_b32 exec_lo, exec_lo, s0
	v_cmp_eq_u32_e32 vcc_lo, 0, v0
	s_waitcnt lgkmcnt(0)
	s_barrier
	buffer_gl0_inv
	s_and_saveexec_b32 s0, vcc_lo
	s_cbranch_execz .LBB114_25
; %bb.24:
	v_mov_b32_e32 v2, 0
	ds_load_b64 v[0:1], v2
	s_waitcnt lgkmcnt(0)
	v_add_f32_e32 v0, v0, v1
	ds_store_b32 v2, v0
.LBB114_25:
	s_or_b32 exec_lo, exec_lo, s0
	s_waitcnt lgkmcnt(0)
	s_barrier
	buffer_gl0_inv
	s_and_saveexec_b32 s0, vcc_lo
	s_cbranch_execz .LBB114_29
; %bb.26:
	v_mov_b32_e32 v0, 0
	v_cmp_eq_f32_e64 s0, s2, 0
	ds_load_b32 v1, v0
	s_and_b32 vcc_lo, exec_lo, s0
	s_cbranch_vccnz .LBB114_28
; %bb.27:
	s_lshl_b64 s[0:1], s[8:9], 2
	s_delay_alu instid0(SALU_CYCLE_1)
	s_add_u32 s0, s10, s0
	s_addc_u32 s1, s11, s1
	s_load_b32 s0, s[0:1], 0x0
	s_waitcnt lgkmcnt(0)
	v_fmac_f32_e64 v1, s2, s0
.LBB114_28:
	s_lshl_b64 s[0:1], s[8:9], 2
	s_delay_alu instid0(SALU_CYCLE_1)
	s_add_u32 s0, s10, s0
	s_addc_u32 s1, s11, s1
	s_waitcnt lgkmcnt(0)
	global_store_b32 v0, v1, s[0:1]
.LBB114_29:
	s_nop 0
	s_sendmsg sendmsg(MSG_DEALLOC_VGPRS)
	s_endpgm
	.section	.rodata,"a",@progbits
	.p2align	6, 0x0
	.amdhsa_kernel _ZN9rocsparseL29csrmvn_lrb_medium_rows_kernelILj256EllaaffEEvbT0_PT1_S3_jNS_24const_host_device_scalarIT5_EEPKS1_PKS2_PKT2_PKT3_S6_PT4_21rocsparse_index_base_b
		.amdhsa_group_segment_fixed_size 1024
		.amdhsa_private_segment_fixed_size 0
		.amdhsa_kernarg_size 104
		.amdhsa_user_sgpr_count 15
		.amdhsa_user_sgpr_dispatch_ptr 0
		.amdhsa_user_sgpr_queue_ptr 0
		.amdhsa_user_sgpr_kernarg_segment_ptr 1
		.amdhsa_user_sgpr_dispatch_id 0
		.amdhsa_user_sgpr_private_segment_size 0
		.amdhsa_wavefront_size32 1
		.amdhsa_uses_dynamic_stack 0
		.amdhsa_enable_private_segment 0
		.amdhsa_system_sgpr_workgroup_id_x 1
		.amdhsa_system_sgpr_workgroup_id_y 0
		.amdhsa_system_sgpr_workgroup_id_z 0
		.amdhsa_system_sgpr_workgroup_info 0
		.amdhsa_system_vgpr_workitem_id 0
		.amdhsa_next_free_vgpr 10
		.amdhsa_next_free_sgpr 20
		.amdhsa_reserve_vcc 1
		.amdhsa_float_round_mode_32 0
		.amdhsa_float_round_mode_16_64 0
		.amdhsa_float_denorm_mode_32 3
		.amdhsa_float_denorm_mode_16_64 3
		.amdhsa_dx10_clamp 1
		.amdhsa_ieee_mode 1
		.amdhsa_fp16_overflow 0
		.amdhsa_workgroup_processor_mode 1
		.amdhsa_memory_ordered 1
		.amdhsa_forward_progress 0
		.amdhsa_shared_vgpr_count 0
		.amdhsa_exception_fp_ieee_invalid_op 0
		.amdhsa_exception_fp_denorm_src 0
		.amdhsa_exception_fp_ieee_div_zero 0
		.amdhsa_exception_fp_ieee_overflow 0
		.amdhsa_exception_fp_ieee_underflow 0
		.amdhsa_exception_fp_ieee_inexact 0
		.amdhsa_exception_int_div_zero 0
	.end_amdhsa_kernel
	.section	.text._ZN9rocsparseL29csrmvn_lrb_medium_rows_kernelILj256EllaaffEEvbT0_PT1_S3_jNS_24const_host_device_scalarIT5_EEPKS1_PKS2_PKT2_PKT3_S6_PT4_21rocsparse_index_base_b,"axG",@progbits,_ZN9rocsparseL29csrmvn_lrb_medium_rows_kernelILj256EllaaffEEvbT0_PT1_S3_jNS_24const_host_device_scalarIT5_EEPKS1_PKS2_PKT2_PKT3_S6_PT4_21rocsparse_index_base_b,comdat
.Lfunc_end114:
	.size	_ZN9rocsparseL29csrmvn_lrb_medium_rows_kernelILj256EllaaffEEvbT0_PT1_S3_jNS_24const_host_device_scalarIT5_EEPKS1_PKS2_PKT2_PKT3_S6_PT4_21rocsparse_index_base_b, .Lfunc_end114-_ZN9rocsparseL29csrmvn_lrb_medium_rows_kernelILj256EllaaffEEvbT0_PT1_S3_jNS_24const_host_device_scalarIT5_EEPKS1_PKS2_PKT2_PKT3_S6_PT4_21rocsparse_index_base_b
                                        ; -- End function
	.section	.AMDGPU.csdata,"",@progbits
; Kernel info:
; codeLenInByte = 1164
; NumSgprs: 22
; NumVgprs: 10
; ScratchSize: 0
; MemoryBound: 0
; FloatMode: 240
; IeeeMode: 1
; LDSByteSize: 1024 bytes/workgroup (compile time only)
; SGPRBlocks: 2
; VGPRBlocks: 1
; NumSGPRsForWavesPerEU: 22
; NumVGPRsForWavesPerEU: 10
; Occupancy: 16
; WaveLimiterHint : 1
; COMPUTE_PGM_RSRC2:SCRATCH_EN: 0
; COMPUTE_PGM_RSRC2:USER_SGPR: 15
; COMPUTE_PGM_RSRC2:TRAP_HANDLER: 0
; COMPUTE_PGM_RSRC2:TGID_X_EN: 1
; COMPUTE_PGM_RSRC2:TGID_Y_EN: 0
; COMPUTE_PGM_RSRC2:TGID_Z_EN: 0
; COMPUTE_PGM_RSRC2:TIDIG_COMP_CNT: 0
	.section	.text._ZN9rocsparseL27csrmvn_lrb_long_rows_kernelIllaaffEEvbT_PjPT0_S4_jNS_24const_host_device_scalarIT4_EEPKS1_PKS3_PKT1_PKT2_S7_PT3_21rocsparse_index_base_b,"axG",@progbits,_ZN9rocsparseL27csrmvn_lrb_long_rows_kernelIllaaffEEvbT_PjPT0_S4_jNS_24const_host_device_scalarIT4_EEPKS1_PKS3_PKT1_PKT2_S7_PT3_21rocsparse_index_base_b,comdat
	.globl	_ZN9rocsparseL27csrmvn_lrb_long_rows_kernelIllaaffEEvbT_PjPT0_S4_jNS_24const_host_device_scalarIT4_EEPKS1_PKS3_PKT1_PKT2_S7_PT3_21rocsparse_index_base_b ; -- Begin function _ZN9rocsparseL27csrmvn_lrb_long_rows_kernelIllaaffEEvbT_PjPT0_S4_jNS_24const_host_device_scalarIT4_EEPKS1_PKS3_PKT1_PKT2_S7_PT3_21rocsparse_index_base_b
	.p2align	8
	.type	_ZN9rocsparseL27csrmvn_lrb_long_rows_kernelIllaaffEEvbT_PjPT0_S4_jNS_24const_host_device_scalarIT4_EEPKS1_PKS3_PKT1_PKT2_S7_PT3_21rocsparse_index_base_b,@function
_ZN9rocsparseL27csrmvn_lrb_long_rows_kernelIllaaffEEvbT_PjPT0_S4_jNS_24const_host_device_scalarIT4_EEPKS1_PKS3_PKT1_PKT2_S7_PT3_21rocsparse_index_base_b: ; @_ZN9rocsparseL27csrmvn_lrb_long_rows_kernelIllaaffEEvbT_PjPT0_S4_jNS_24const_host_device_scalarIT4_EEPKS1_PKS3_PKT1_PKT2_S7_PT3_21rocsparse_index_base_b
; %bb.0:
	s_clause 0x2
	s_load_b64 s[16:17], s[0:1], 0x68
	s_load_b64 s[18:19], s[0:1], 0x30
	;; [unrolled: 1-line block ×3, first 2 shown]
	s_mov_b32 s8, s15
	s_waitcnt lgkmcnt(0)
	s_bitcmp1_b32 s17, 0
	s_cselect_b32 s2, -1, 0
	s_delay_alu instid0(SALU_CYCLE_1)
	s_and_b32 vcc_lo, exec_lo, s2
	s_xor_b32 s2, s2, -1
	s_cbranch_vccnz .LBB115_2
; %bb.1:
	s_load_b32 s18, s[18:19], 0x0
.LBB115_2:
	s_and_not1_b32 vcc_lo, exec_lo, s2
	s_cbranch_vccnz .LBB115_4
; %bb.3:
	s_load_b32 s20, s[20:21], 0x0
.LBB115_4:
	s_waitcnt lgkmcnt(0)
	v_cmp_neq_f32_e64 s2, s18, 0
	v_cmp_neq_f32_e64 s3, s20, 1.0
	s_delay_alu instid0(VALU_DEP_1)
	s_or_b32 s2, s2, s3
	s_mov_b32 s3, 0
	s_and_not1_b32 vcc_lo, exec_lo, s2
	s_cbranch_vccnz .LBB115_39
; %bb.5:
	s_clause 0x1
	s_load_b32 s2, s[0:1], 0x28
	s_load_b64 s[4:5], s[0:1], 0x20
	v_mov_b32_e32 v5, 0
	s_mov_b32 s21, exec_lo
	s_waitcnt lgkmcnt(0)
	s_lshl_b64 s[6:7], s[2:3], 3
	s_delay_alu instid0(SALU_CYCLE_1) | instskip(SKIP_4) | instid1(SALU_CYCLE_1)
	s_add_u32 s4, s4, s6
	s_addc_u32 s5, s5, s7
	s_lshl_b32 s2, -1, s2
	s_load_b64 s[10:11], s[4:5], 0x0
	s_not_b32 s2, s2
	s_mul_hi_u32 s2, s2, 0x2aaaaaab
	s_delay_alu instid0(SALU_CYCLE_1) | instskip(NEXT) | instid1(SALU_CYCLE_1)
	s_lshr_b32 s2, s2, 7
	s_add_i32 s9, s2, 1
	s_not_b32 s2, s2
	v_cvt_f32_u32_e32 v1, s9
	s_delay_alu instid0(VALU_DEP_1) | instskip(SKIP_2) | instid1(VALU_DEP_1)
	v_rcp_iflag_f32_e32 v1, v1
	s_waitcnt_depctr 0xfff
	v_mul_f32_e32 v1, 0x4f7ffffe, v1
	v_cvt_u32_f32_e32 v1, v1
	s_delay_alu instid0(VALU_DEP_1) | instskip(NEXT) | instid1(VALU_DEP_1)
	v_readfirstlane_b32 s6, v1
	s_mul_i32 s2, s2, s6
	s_delay_alu instid0(SALU_CYCLE_1) | instskip(NEXT) | instid1(SALU_CYCLE_1)
	s_mul_hi_u32 s2, s6, s2
	s_add_i32 s2, s6, s2
	s_load_b128 s[4:7], s[0:1], 0x10
	s_mul_hi_u32 s2, s8, s2
	s_delay_alu instid0(SALU_CYCLE_1) | instskip(SKIP_2) | instid1(SALU_CYCLE_1)
	s_mul_i32 s12, s2, s9
	s_add_i32 s13, s2, 1
	s_sub_i32 s12, s8, s12
	s_sub_i32 s14, s12, s9
	s_cmp_ge_u32 s12, s9
	s_cselect_b32 s2, s13, s2
	s_cselect_b32 s12, s14, s12
	s_add_i32 s13, s2, 1
	s_cmp_ge_u32 s12, s9
	s_cselect_b32 s2, s13, s2
	s_waitcnt lgkmcnt(0)
	s_lshl_b64 s[10:11], s[10:11], 3
	s_mul_i32 s9, s2, s9
	s_delay_alu instid0(SALU_CYCLE_1)
	s_sub_i32 s19, s8, s9
	s_add_u32 s6, s6, s10
	s_addc_u32 s7, s7, s11
	s_lshl_b64 s[2:3], s[2:3], 3
	v_or_b32_e32 v1, s19, v0
	s_add_u32 s2, s6, s2
	s_addc_u32 s3, s7, s3
	s_load_b64 s[2:3], s[2:3], 0x0
	s_load_b64 s[6:7], s[0:1], 0x38
	s_waitcnt lgkmcnt(0)
	s_lshl_b64 s[10:11], s[2:3], 3
	s_delay_alu instid0(SALU_CYCLE_1)
	s_add_u32 s10, s6, s10
	s_addc_u32 s11, s7, s11
	s_ashr_i32 s9, s8, 31
	s_sub_u32 s14, s8, s19
	s_subb_u32 s15, s9, 0
	s_lshl_b64 s[8:9], s[8:9], 2
	s_load_b64 s[6:7], s[0:1], 0x60
	s_add_u32 s12, s4, s8
	s_addc_u32 s13, s5, s9
	s_load_b128 s[8:11], s[10:11], 0x0
	s_load_b32 s17, s[12:13], 0x0
	v_cmpx_eq_u32_e32 0, v1
	s_cbranch_execz .LBB115_9
; %bb.6:
	s_lshl_b64 s[24:25], s[2:3], 2
	s_mov_b32 s23, exec_lo
	s_waitcnt lgkmcnt(0)
	s_add_u32 s24, s6, s24
	s_addc_u32 s25, s7, s25
	v_mbcnt_lo_u32_b32 v2, s23, 0
	s_load_b32 s22, s[24:25], 0x0
	v_add_f32_e64 v1, s20, -1.0
	s_mov_b32 s20, exec_lo
	s_waitcnt vmcnt(0) expcnt(0) lgkmcnt(0)
	v_cmpx_eq_u32_e32 0, v2
	s_cbranch_execz .LBB115_8
; %bb.7:
	s_lshl_b64 s[24:25], s[14:15], 2
	s_delay_alu instid0(SALU_CYCLE_1) | instskip(SKIP_2) | instid1(SALU_CYCLE_1)
	s_add_u32 s24, s4, s24
	s_addc_u32 s25, s5, s25
	s_bcnt1_i32_b32 s23, s23
	s_and_b32 s23, s23, 1
	s_delay_alu instid0(SALU_CYCLE_1)
	v_dual_mov_b32 v2, 0 :: v_dual_mov_b32 v3, s23
	global_atomic_xor_b32 v2, v3, s[24:25]
.LBB115_8:
	s_or_b32 exec_lo, exec_lo, s20
	v_mul_f32_e32 v5, s22, v1
.LBB115_9:
	s_or_b32 exec_lo, exec_lo, s21
	s_mul_i32 s21, s19, 0x300
	s_waitcnt lgkmcnt(0)
	s_sub_u32 s8, s8, s16
	s_mul_hi_u32 s20, s19, 0x300
	s_subb_u32 s9, s9, 0
	s_add_u32 s21, s8, s21
	s_addc_u32 s20, s9, s20
	s_sub_u32 s8, s10, s16
	s_subb_u32 s9, s11, 0
	s_add_u32 s10, s21, 0x300
	s_addc_u32 s11, s20, 0
	v_add_co_u32 v1, s21, s21, v0
	v_cmp_lt_i64_e64 s22, s[10:11], s[8:9]
	v_add_co_ci_u32_e64 v2, null, s20, 0, s21
	s_mov_b32 s25, 0
	s_mov_b32 s24, exec_lo
	s_delay_alu instid0(VALU_DEP_2) | instskip(SKIP_2) | instid1(SALU_CYCLE_1)
	s_and_b32 s20, s22, exec_lo
	s_cselect_b32 s21, s11, s9
	s_cselect_b32 s20, s10, s8
	v_cmpx_gt_i64_e64 s[20:21], v[1:2]
	s_cbranch_execz .LBB115_13
; %bb.10:
	s_clause 0x1
	s_load_b128 s[8:11], s[0:1], 0x40
	s_load_b64 s[22:23], s[0:1], 0x50
	v_lshlrev_b64 v[3:4], 3, v[1:2]
	s_waitcnt lgkmcnt(0)
	s_delay_alu instid0(VALU_DEP_1) | instskip(NEXT) | instid1(VALU_DEP_2)
	v_add_co_u32 v3, vcc_lo, s8, v3
	v_add_co_ci_u32_e32 v4, vcc_lo, s9, v4, vcc_lo
	.p2align	6
.LBB115_11:                             ; =>This Inner Loop Header: Depth=1
	global_load_b64 v[6:7], v[3:4], off
	v_add_co_u32 v8, vcc_lo, s10, v1
	v_add_co_ci_u32_e32 v9, vcc_lo, s11, v2, vcc_lo
	v_add_co_u32 v3, s0, 0x800, v3
	s_delay_alu instid0(VALU_DEP_1) | instskip(SKIP_4) | instid1(VALU_DEP_2)
	v_add_co_ci_u32_e64 v4, s0, 0, v4, s0
	global_load_i8 v8, v[8:9], off
	s_waitcnt vmcnt(1)
	v_sub_co_u32 v6, vcc_lo, v6, s16
	v_subrev_co_ci_u32_e32 v7, vcc_lo, 0, v7, vcc_lo
	v_add_co_u32 v6, vcc_lo, s22, v6
	s_delay_alu instid0(VALU_DEP_2)
	v_add_co_ci_u32_e32 v7, vcc_lo, s23, v7, vcc_lo
	v_add_co_u32 v1, vcc_lo, 0x100, v1
	v_add_co_ci_u32_e32 v2, vcc_lo, 0, v2, vcc_lo
	global_load_i8 v6, v[6:7], off
	s_waitcnt vmcnt(1)
	v_cvt_f32_i32_e32 v7, v8
	v_cmp_le_i64_e32 vcc_lo, s[20:21], v[1:2]
	s_delay_alu instid0(VALU_DEP_2) | instskip(SKIP_3) | instid1(VALU_DEP_1)
	v_mul_f32_e32 v7, s18, v7
	s_or_b32 s25, vcc_lo, s25
	s_waitcnt vmcnt(0)
	v_cvt_f32_i32_e32 v6, v6
	v_fmac_f32_e32 v5, v7, v6
	s_and_not1_b32 exec_lo, exec_lo, s25
	s_cbranch_execnz .LBB115_11
; %bb.12:
	s_or_b32 exec_lo, exec_lo, s25
.LBB115_13:
	s_delay_alu instid0(SALU_CYCLE_1)
	s_or_b32 exec_lo, exec_lo, s24
	v_lshlrev_b32_e32 v1, 2, v0
	s_mov_b32 s0, exec_lo
	ds_store_b32 v1, v5
	s_waitcnt lgkmcnt(0)
	s_waitcnt_vscnt null, 0x0
	s_barrier
	buffer_gl0_inv
	v_cmpx_gt_u32_e32 0x80, v0
	s_cbranch_execz .LBB115_15
; %bb.14:
	ds_load_2addr_stride64_b32 v[2:3], v1 offset1:2
	s_waitcnt lgkmcnt(0)
	v_add_f32_e32 v2, v2, v3
	ds_store_b32 v1, v2
.LBB115_15:
	s_or_b32 exec_lo, exec_lo, s0
	s_delay_alu instid0(SALU_CYCLE_1)
	s_mov_b32 s0, exec_lo
	s_waitcnt lgkmcnt(0)
	s_barrier
	buffer_gl0_inv
	v_cmpx_gt_u32_e32 64, v0
	s_cbranch_execz .LBB115_17
; %bb.16:
	ds_load_2addr_stride64_b32 v[2:3], v1 offset1:1
	s_waitcnt lgkmcnt(0)
	v_add_f32_e32 v2, v2, v3
	ds_store_b32 v1, v2
.LBB115_17:
	s_or_b32 exec_lo, exec_lo, s0
	s_delay_alu instid0(SALU_CYCLE_1)
	s_mov_b32 s0, exec_lo
	s_waitcnt lgkmcnt(0)
	s_barrier
	buffer_gl0_inv
	v_cmpx_gt_u32_e32 32, v0
	s_cbranch_execz .LBB115_19
; %bb.18:
	ds_load_2addr_b32 v[2:3], v1 offset1:32
	s_waitcnt lgkmcnt(0)
	v_add_f32_e32 v2, v2, v3
	ds_store_b32 v1, v2
.LBB115_19:
	s_or_b32 exec_lo, exec_lo, s0
	s_delay_alu instid0(SALU_CYCLE_1)
	s_mov_b32 s0, exec_lo
	s_waitcnt lgkmcnt(0)
	s_barrier
	buffer_gl0_inv
	v_cmpx_gt_u32_e32 16, v0
	s_cbranch_execz .LBB115_21
; %bb.20:
	ds_load_2addr_b32 v[2:3], v1 offset1:16
	s_waitcnt lgkmcnt(0)
	v_add_f32_e32 v2, v2, v3
	ds_store_b32 v1, v2
.LBB115_21:
	;; [unrolled: 14-line block ×5, first 2 shown]
	s_or_b32 exec_lo, exec_lo, s0
	v_cmp_eq_u32_e32 vcc_lo, 0, v0
	s_waitcnt lgkmcnt(0)
	s_barrier
	buffer_gl0_inv
	s_and_saveexec_b32 s0, vcc_lo
	s_cbranch_execz .LBB115_29
; %bb.28:
	v_mov_b32_e32 v2, 0
	ds_load_b64 v[0:1], v2
	s_waitcnt lgkmcnt(0)
	v_add_f32_e32 v0, v0, v1
	ds_store_b32 v2, v0
.LBB115_29:
	s_or_b32 exec_lo, exec_lo, s0
	s_waitcnt lgkmcnt(0)
	s_barrier
	buffer_gl0_inv
	s_and_saveexec_b32 s0, vcc_lo
	s_cbranch_execz .LBB115_39
; %bb.30:
	s_cmp_eq_u32 s19, 0
	s_cbranch_scc1 .LBB115_36
; %bb.31:
	s_lshl_b64 s[0:1], s[14:15], 2
	v_mov_b32_e32 v0, 0
	s_add_u32 s0, s4, s0
	s_addc_u32 s1, s5, s1
	s_branch .LBB115_33
.LBB115_32:                             ;   in Loop: Header=BB115_33 Depth=1
	s_or_b32 exec_lo, exec_lo, s4
	s_waitcnt vmcnt(0)
	v_readfirstlane_b32 s4, v1
	s_delay_alu instid0(VALU_DEP_1)
	s_cmp_eq_u32 s4, s17
	s_cbranch_scc0 .LBB115_35
.LBB115_33:                             ; =>This Inner Loop Header: Depth=1
	v_mbcnt_lo_u32_b32 v1, exec_lo, 0
	s_delay_alu instid0(VALU_DEP_1)
	v_cmp_eq_u32_e32 vcc_lo, 0, v1
                                        ; implicit-def: $vgpr1
	s_and_saveexec_b32 s4, vcc_lo
	s_cbranch_execz .LBB115_32
; %bb.34:                               ;   in Loop: Header=BB115_33 Depth=1
	global_load_b32 v1, v0, s[0:1] glc
	s_branch .LBB115_32
.LBB115_35:
	v_mov_b32_e32 v0, 0
	global_load_b32 v1, v0, s[12:13]
	s_waitcnt vmcnt(0)
	v_xor_b32_e32 v1, 1, v1
	global_store_b32 v0, v1, s[12:13]
.LBB115_36:
	s_mov_b32 s4, exec_lo
	s_delay_alu instid0(SALU_CYCLE_1) | instskip(NEXT) | instid1(VALU_DEP_1)
	v_mbcnt_lo_u32_b32 v0, s4, 0
	v_cmp_eq_u32_e32 vcc_lo, 0, v0
	s_and_b32 s0, exec_lo, vcc_lo
	s_delay_alu instid0(SALU_CYCLE_1)
	s_mov_b32 exec_lo, s0
	s_cbranch_execz .LBB115_39
; %bb.37:
	s_lshl_b64 s[0:1], s[2:3], 2
	s_delay_alu instid0(SALU_CYCLE_1) | instskip(SKIP_2) | instid1(SALU_CYCLE_1)
	s_add_u32 s0, s6, s0
	s_addc_u32 s1, s7, s1
	s_bcnt1_i32_b32 s2, s4
	v_cvt_f32_ubyte0_e32 v3, s2
	v_mov_b32_e32 v2, 0
	s_mov_b32 s2, 0
	global_load_b32 v1, v2, s[0:1]
	ds_load_b32 v0, v2
	s_waitcnt lgkmcnt(0)
	v_mul_f32_e32 v3, v0, v3
.LBB115_38:                             ; =>This Inner Loop Header: Depth=1
	s_waitcnt vmcnt(0)
	s_delay_alu instid0(VALU_DEP_1)
	v_add_f32_e32 v0, v1, v3
	global_atomic_cmpswap_b32 v0, v2, v[0:1], s[0:1] glc
	s_waitcnt vmcnt(0)
	v_cmp_eq_u32_e32 vcc_lo, v0, v1
	v_mov_b32_e32 v1, v0
	s_or_b32 s2, vcc_lo, s2
	s_delay_alu instid0(SALU_CYCLE_1)
	s_and_not1_b32 exec_lo, exec_lo, s2
	s_cbranch_execnz .LBB115_38
.LBB115_39:
	s_nop 0
	s_sendmsg sendmsg(MSG_DEALLOC_VGPRS)
	s_endpgm
	.section	.rodata,"a",@progbits
	.p2align	6, 0x0
	.amdhsa_kernel _ZN9rocsparseL27csrmvn_lrb_long_rows_kernelIllaaffEEvbT_PjPT0_S4_jNS_24const_host_device_scalarIT4_EEPKS1_PKS3_PKT1_PKT2_S7_PT3_21rocsparse_index_base_b
		.amdhsa_group_segment_fixed_size 1024
		.amdhsa_private_segment_fixed_size 0
		.amdhsa_kernarg_size 112
		.amdhsa_user_sgpr_count 15
		.amdhsa_user_sgpr_dispatch_ptr 0
		.amdhsa_user_sgpr_queue_ptr 0
		.amdhsa_user_sgpr_kernarg_segment_ptr 1
		.amdhsa_user_sgpr_dispatch_id 0
		.amdhsa_user_sgpr_private_segment_size 0
		.amdhsa_wavefront_size32 1
		.amdhsa_uses_dynamic_stack 0
		.amdhsa_enable_private_segment 0
		.amdhsa_system_sgpr_workgroup_id_x 1
		.amdhsa_system_sgpr_workgroup_id_y 0
		.amdhsa_system_sgpr_workgroup_id_z 0
		.amdhsa_system_sgpr_workgroup_info 0
		.amdhsa_system_vgpr_workitem_id 0
		.amdhsa_next_free_vgpr 10
		.amdhsa_next_free_sgpr 26
		.amdhsa_reserve_vcc 1
		.amdhsa_float_round_mode_32 0
		.amdhsa_float_round_mode_16_64 0
		.amdhsa_float_denorm_mode_32 3
		.amdhsa_float_denorm_mode_16_64 3
		.amdhsa_dx10_clamp 1
		.amdhsa_ieee_mode 1
		.amdhsa_fp16_overflow 0
		.amdhsa_workgroup_processor_mode 1
		.amdhsa_memory_ordered 1
		.amdhsa_forward_progress 0
		.amdhsa_shared_vgpr_count 0
		.amdhsa_exception_fp_ieee_invalid_op 0
		.amdhsa_exception_fp_denorm_src 0
		.amdhsa_exception_fp_ieee_div_zero 0
		.amdhsa_exception_fp_ieee_overflow 0
		.amdhsa_exception_fp_ieee_underflow 0
		.amdhsa_exception_fp_ieee_inexact 0
		.amdhsa_exception_int_div_zero 0
	.end_amdhsa_kernel
	.section	.text._ZN9rocsparseL27csrmvn_lrb_long_rows_kernelIllaaffEEvbT_PjPT0_S4_jNS_24const_host_device_scalarIT4_EEPKS1_PKS3_PKT1_PKT2_S7_PT3_21rocsparse_index_base_b,"axG",@progbits,_ZN9rocsparseL27csrmvn_lrb_long_rows_kernelIllaaffEEvbT_PjPT0_S4_jNS_24const_host_device_scalarIT4_EEPKS1_PKS3_PKT1_PKT2_S7_PT3_21rocsparse_index_base_b,comdat
.Lfunc_end115:
	.size	_ZN9rocsparseL27csrmvn_lrb_long_rows_kernelIllaaffEEvbT_PjPT0_S4_jNS_24const_host_device_scalarIT4_EEPKS1_PKS3_PKT1_PKT2_S7_PT3_21rocsparse_index_base_b, .Lfunc_end115-_ZN9rocsparseL27csrmvn_lrb_long_rows_kernelIllaaffEEvbT_PjPT0_S4_jNS_24const_host_device_scalarIT4_EEPKS1_PKS3_PKT1_PKT2_S7_PT3_21rocsparse_index_base_b
                                        ; -- End function
	.section	.AMDGPU.csdata,"",@progbits
; Kernel info:
; codeLenInByte = 1688
; NumSgprs: 28
; NumVgprs: 10
; ScratchSize: 0
; MemoryBound: 0
; FloatMode: 240
; IeeeMode: 1
; LDSByteSize: 1024 bytes/workgroup (compile time only)
; SGPRBlocks: 3
; VGPRBlocks: 1
; NumSGPRsForWavesPerEU: 28
; NumVGPRsForWavesPerEU: 10
; Occupancy: 16
; WaveLimiterHint : 1
; COMPUTE_PGM_RSRC2:SCRATCH_EN: 0
; COMPUTE_PGM_RSRC2:USER_SGPR: 15
; COMPUTE_PGM_RSRC2:TRAP_HANDLER: 0
; COMPUTE_PGM_RSRC2:TGID_X_EN: 1
; COMPUTE_PGM_RSRC2:TGID_Y_EN: 0
; COMPUTE_PGM_RSRC2:TGID_Z_EN: 0
; COMPUTE_PGM_RSRC2:TIDIG_COMP_CNT: 0
	.section	.text._ZN9rocsparseL28csrmvn_lrb_short_rows_kernelIiiDF16_DF16_ffEEvbT_PT0_S3_jNS_24const_host_device_scalarIT4_EEPKS1_PKS2_PKT1_PKT2_S6_PT3_21rocsparse_index_base_b,"axG",@progbits,_ZN9rocsparseL28csrmvn_lrb_short_rows_kernelIiiDF16_DF16_ffEEvbT_PT0_S3_jNS_24const_host_device_scalarIT4_EEPKS1_PKS2_PKT1_PKT2_S6_PT3_21rocsparse_index_base_b,comdat
	.globl	_ZN9rocsparseL28csrmvn_lrb_short_rows_kernelIiiDF16_DF16_ffEEvbT_PT0_S3_jNS_24const_host_device_scalarIT4_EEPKS1_PKS2_PKT1_PKT2_S6_PT3_21rocsparse_index_base_b ; -- Begin function _ZN9rocsparseL28csrmvn_lrb_short_rows_kernelIiiDF16_DF16_ffEEvbT_PT0_S3_jNS_24const_host_device_scalarIT4_EEPKS1_PKS2_PKT1_PKT2_S6_PT3_21rocsparse_index_base_b
	.p2align	8
	.type	_ZN9rocsparseL28csrmvn_lrb_short_rows_kernelIiiDF16_DF16_ffEEvbT_PT0_S3_jNS_24const_host_device_scalarIT4_EEPKS1_PKS2_PKT1_PKT2_S6_PT3_21rocsparse_index_base_b,@function
_ZN9rocsparseL28csrmvn_lrb_short_rows_kernelIiiDF16_DF16_ffEEvbT_PT0_S3_jNS_24const_host_device_scalarIT4_EEPKS1_PKS2_PKT1_PKT2_S6_PT3_21rocsparse_index_base_b: ; @_ZN9rocsparseL28csrmvn_lrb_short_rows_kernelIiiDF16_DF16_ffEEvbT_PT0_S3_jNS_24const_host_device_scalarIT4_EEPKS1_PKS2_PKT1_PKT2_S6_PT3_21rocsparse_index_base_b
; %bb.0:
	s_clause 0x2
	s_load_b64 s[20:21], s[0:1], 0x58
	s_load_b64 s[22:23], s[0:1], 0x20
	;; [unrolled: 1-line block ×3, first 2 shown]
	s_waitcnt lgkmcnt(0)
	s_bitcmp1_b32 s21, 0
	s_cselect_b32 s4, -1, 0
	s_delay_alu instid0(SALU_CYCLE_1)
	s_and_b32 vcc_lo, exec_lo, s4
	s_xor_b32 s4, s4, -1
	s_cbranch_vccnz .LBB116_2
; %bb.1:
	s_load_b32 s22, s[22:23], 0x0
.LBB116_2:
	s_and_not1_b32 vcc_lo, exec_lo, s4
	s_cbranch_vccnz .LBB116_4
; %bb.3:
	s_load_b32 s2, s[2:3], 0x0
.LBB116_4:
	s_waitcnt lgkmcnt(0)
	v_cmp_neq_f32_e64 s3, s22, 0
	v_cmp_neq_f32_e64 s4, s2, 1.0
	s_mov_b32 s13, 0
	s_delay_alu instid0(VALU_DEP_1) | instskip(NEXT) | instid1(SALU_CYCLE_1)
	s_or_b32 s3, s3, s4
	s_and_not1_b32 vcc_lo, exec_lo, s3
	s_cbranch_vccnz .LBB116_18
; %bb.5:
	s_clause 0x1
	s_load_b32 s12, s[0:1], 0x18
	s_load_b128 s[16:19], s[0:1], 0x8
	s_mov_b32 s7, s13
	s_waitcnt lgkmcnt(0)
	s_lshl_b64 s[4:5], s[12:13], 2
	s_delay_alu instid0(SALU_CYCLE_1) | instskip(SKIP_2) | instid1(SALU_CYCLE_1)
	s_add_u32 s4, s18, s4
	s_addc_u32 s5, s19, s5
	s_add_i32 s6, s12, 1
	s_lshl_b64 s[6:7], s[6:7], 2
	s_delay_alu instid0(SALU_CYCLE_1)
	s_add_u32 s6, s18, s6
	s_addc_u32 s7, s19, s7
	s_clause 0x1
	s_load_b32 s3, s[4:5], 0x0
	s_load_b32 s4, s[6:7], 0x0
	s_lshl_b32 s13, s15, 8
	s_delay_alu instid0(SALU_CYCLE_1) | instskip(SKIP_2) | instid1(SALU_CYCLE_1)
	s_add_i32 s5, s13, 0x100
	s_waitcnt lgkmcnt(0)
	s_sub_i32 s4, s4, s3
	s_min_u32 s14, s4, s5
	s_cmp_gt_u32 s12, 23
	s_cbranch_scc1 .LBB116_12
; %bb.6:
	s_load_b256 s[4:11], s[0:1], 0x28
	v_bfe_u32 v5, v0, 0, s12
	v_lshl_add_u32 v7, v0, 2, 0
	v_mov_b32_e32 v2, 0
	s_lshl_b32 s15, 0x100, s12
	s_mov_b32 s18, 0
	v_subrev_nc_u32_e32 v6, s20, v5
	s_branch .LBB116_9
.LBB116_7:                              ;   in Loop: Header=BB116_9 Depth=1
	s_or_b32 exec_lo, exec_lo, s21
	ds_store_b32 v7, v1
.LBB116_8:                              ;   in Loop: Header=BB116_9 Depth=1
	s_or_b32 exec_lo, exec_lo, s19
	v_add_nc_u32_e32 v7, 0x400, v7
	s_addk_i32 s18, 0x100
	s_delay_alu instid0(SALU_CYCLE_1)
	s_cmp_ge_u32 s18, s15
	s_cbranch_scc1 .LBB116_12
.LBB116_9:                              ; =>This Inner Loop Header: Depth=1
	v_add_nc_u32_e32 v1, s18, v0
	s_mov_b32 s19, exec_lo
	s_delay_alu instid0(VALU_DEP_1) | instskip(NEXT) | instid1(VALU_DEP_1)
	v_lshrrev_b32_e32 v1, s12, v1
	v_add_nc_u32_e32 v1, s13, v1
	s_delay_alu instid0(VALU_DEP_1)
	v_cmpx_gt_u32_e64 s14, v1
	s_cbranch_execz .LBB116_8
; %bb.10:                               ;   in Loop: Header=BB116_9 Depth=1
	v_add_nc_u32_e32 v1, s3, v1
	s_delay_alu instid0(VALU_DEP_1) | instskip(NEXT) | instid1(VALU_DEP_1)
	v_lshlrev_b64 v[3:4], 2, v[1:2]
	v_add_co_u32 v3, vcc_lo, s16, v3
	s_delay_alu instid0(VALU_DEP_2) | instskip(SKIP_3) | instid1(VALU_DEP_1)
	v_add_co_ci_u32_e32 v4, vcc_lo, s17, v4, vcc_lo
	global_load_b32 v3, v[3:4], off
	s_waitcnt vmcnt(0)
	v_ashrrev_i32_e32 v4, 31, v3
	v_lshlrev_b64 v[3:4], 2, v[3:4]
	s_waitcnt lgkmcnt(0)
	s_delay_alu instid0(VALU_DEP_1) | instskip(NEXT) | instid1(VALU_DEP_2)
	v_add_co_u32 v3, vcc_lo, s4, v3
	v_add_co_ci_u32_e32 v4, vcc_lo, s5, v4, vcc_lo
	global_load_b64 v[3:4], v[3:4], off
	s_waitcnt vmcnt(0)
	v_sub_nc_u32_e32 v1, v4, v3
	s_delay_alu instid0(VALU_DEP_1)
	v_cmp_lt_u32_e32 vcc_lo, v5, v1
	v_mov_b32_e32 v1, 0
	s_and_saveexec_b32 s21, vcc_lo
	s_cbranch_execz .LBB116_7
; %bb.11:                               ;   in Loop: Header=BB116_9 Depth=1
	v_add_nc_u32_e32 v1, v6, v3
	s_delay_alu instid0(VALU_DEP_1) | instskip(SKIP_1) | instid1(VALU_DEP_2)
	v_lshlrev_b64 v[3:4], 2, v[1:2]
	v_lshlrev_b64 v[8:9], 1, v[1:2]
	v_add_co_u32 v3, vcc_lo, s6, v3
	s_delay_alu instid0(VALU_DEP_3) | instskip(NEXT) | instid1(VALU_DEP_3)
	v_add_co_ci_u32_e32 v4, vcc_lo, s7, v4, vcc_lo
	v_add_co_u32 v8, vcc_lo, s8, v8
	s_delay_alu instid0(VALU_DEP_4)
	v_add_co_ci_u32_e32 v9, vcc_lo, s9, v9, vcc_lo
	global_load_b32 v3, v[3:4], off
	global_load_u16 v1, v[8:9], off
	s_waitcnt vmcnt(1)
	v_subrev_nc_u32_e32 v3, s20, v3
	s_waitcnt vmcnt(0)
	v_cvt_f32_f16_e32 v1, v1
	s_delay_alu instid0(VALU_DEP_2) | instskip(NEXT) | instid1(VALU_DEP_2)
	v_ashrrev_i32_e32 v4, 31, v3
	v_mul_f32_e32 v1, s22, v1
	s_delay_alu instid0(VALU_DEP_2) | instskip(NEXT) | instid1(VALU_DEP_1)
	v_lshlrev_b64 v[3:4], 1, v[3:4]
	v_add_co_u32 v3, vcc_lo, s10, v3
	s_delay_alu instid0(VALU_DEP_2) | instskip(SKIP_3) | instid1(VALU_DEP_1)
	v_add_co_ci_u32_e32 v4, vcc_lo, s11, v4, vcc_lo
	global_load_u16 v3, v[3:4], off
	s_waitcnt vmcnt(0)
	v_cvt_f32_f16_e32 v3, v3
	v_mul_f32_e32 v1, v1, v3
	s_branch .LBB116_7
.LBB116_12:
	s_waitcnt lgkmcnt(0)
	s_sub_i32 s4, s14, s13
	s_delay_alu instid0(SALU_CYCLE_1)
	v_cmp_gt_u32_e32 vcc_lo, s4, v0
	s_barrier
	buffer_gl0_inv
	s_and_saveexec_b32 s4, vcc_lo
	s_cbranch_execz .LBB116_18
; %bb.13:
	v_add3_u32 v1, s3, s13, v0
	v_mov_b32_e32 v2, 0
	s_load_b64 s[0:1], s[0:1], 0x50
	v_lshlrev_b32_e32 v0, s12, v0
	s_mov_b32 s3, 1
	s_delay_alu instid0(VALU_DEP_2) | instskip(NEXT) | instid1(VALU_DEP_2)
	v_lshlrev_b64 v[3:4], 2, v[1:2]
	v_lshl_add_u32 v0, v0, 2, 0
	s_delay_alu instid0(VALU_DEP_2) | instskip(NEXT) | instid1(VALU_DEP_3)
	v_add_co_u32 v3, vcc_lo, s16, v3
	v_add_co_ci_u32_e32 v4, vcc_lo, s17, v4, vcc_lo
	global_load_b32 v3, v[3:4], off
.LBB116_14:                             ; =>This Inner Loop Header: Depth=1
	ds_load_b32 v1, v0
	v_add_nc_u32_e32 v0, 4, v0
	s_lshr_b32 s4, s3, s12
	s_add_i32 s3, s3, 1
	s_cmp_lg_u32 s4, 0
	s_waitcnt lgkmcnt(0)
	v_add_f32_e32 v2, v2, v1
	s_cbranch_scc0 .LBB116_14
; %bb.15:
	s_waitcnt vmcnt(0)
	v_ashrrev_i32_e32 v4, 31, v3
	v_cmp_neq_f32_e64 s3, s2, 0
	s_delay_alu instid0(VALU_DEP_2) | instskip(NEXT) | instid1(VALU_DEP_2)
	v_lshlrev_b64 v[0:1], 2, v[3:4]
	s_and_b32 vcc_lo, exec_lo, s3
	s_cbranch_vccz .LBB116_17
; %bb.16:
	s_delay_alu instid0(VALU_DEP_1) | instskip(NEXT) | instid1(VALU_DEP_2)
	v_add_co_u32 v3, vcc_lo, s0, v0
	v_add_co_ci_u32_e32 v4, vcc_lo, s1, v1, vcc_lo
	global_load_b32 v3, v[3:4], off
	s_waitcnt vmcnt(0)
	v_fmac_f32_e32 v2, s2, v3
.LBB116_17:
	s_delay_alu instid0(VALU_DEP_1) | instskip(NEXT) | instid1(VALU_DEP_2)
	v_add_co_u32 v0, vcc_lo, s0, v0
	v_add_co_ci_u32_e32 v1, vcc_lo, s1, v1, vcc_lo
	global_store_b32 v[0:1], v2, off
.LBB116_18:
	s_nop 0
	s_sendmsg sendmsg(MSG_DEALLOC_VGPRS)
	s_endpgm
	.section	.rodata,"a",@progbits
	.p2align	6, 0x0
	.amdhsa_kernel _ZN9rocsparseL28csrmvn_lrb_short_rows_kernelIiiDF16_DF16_ffEEvbT_PT0_S3_jNS_24const_host_device_scalarIT4_EEPKS1_PKS2_PKT1_PKT2_S6_PT3_21rocsparse_index_base_b
		.amdhsa_group_segment_fixed_size 0
		.amdhsa_private_segment_fixed_size 0
		.amdhsa_kernarg_size 96
		.amdhsa_user_sgpr_count 15
		.amdhsa_user_sgpr_dispatch_ptr 0
		.amdhsa_user_sgpr_queue_ptr 0
		.amdhsa_user_sgpr_kernarg_segment_ptr 1
		.amdhsa_user_sgpr_dispatch_id 0
		.amdhsa_user_sgpr_private_segment_size 0
		.amdhsa_wavefront_size32 1
		.amdhsa_uses_dynamic_stack 0
		.amdhsa_enable_private_segment 0
		.amdhsa_system_sgpr_workgroup_id_x 1
		.amdhsa_system_sgpr_workgroup_id_y 0
		.amdhsa_system_sgpr_workgroup_id_z 0
		.amdhsa_system_sgpr_workgroup_info 0
		.amdhsa_system_vgpr_workitem_id 0
		.amdhsa_next_free_vgpr 10
		.amdhsa_next_free_sgpr 24
		.amdhsa_reserve_vcc 1
		.amdhsa_float_round_mode_32 0
		.amdhsa_float_round_mode_16_64 0
		.amdhsa_float_denorm_mode_32 3
		.amdhsa_float_denorm_mode_16_64 3
		.amdhsa_dx10_clamp 1
		.amdhsa_ieee_mode 1
		.amdhsa_fp16_overflow 0
		.amdhsa_workgroup_processor_mode 1
		.amdhsa_memory_ordered 1
		.amdhsa_forward_progress 0
		.amdhsa_shared_vgpr_count 0
		.amdhsa_exception_fp_ieee_invalid_op 0
		.amdhsa_exception_fp_denorm_src 0
		.amdhsa_exception_fp_ieee_div_zero 0
		.amdhsa_exception_fp_ieee_overflow 0
		.amdhsa_exception_fp_ieee_underflow 0
		.amdhsa_exception_fp_ieee_inexact 0
		.amdhsa_exception_int_div_zero 0
	.end_amdhsa_kernel
	.section	.text._ZN9rocsparseL28csrmvn_lrb_short_rows_kernelIiiDF16_DF16_ffEEvbT_PT0_S3_jNS_24const_host_device_scalarIT4_EEPKS1_PKS2_PKT1_PKT2_S6_PT3_21rocsparse_index_base_b,"axG",@progbits,_ZN9rocsparseL28csrmvn_lrb_short_rows_kernelIiiDF16_DF16_ffEEvbT_PT0_S3_jNS_24const_host_device_scalarIT4_EEPKS1_PKS2_PKT1_PKT2_S6_PT3_21rocsparse_index_base_b,comdat
.Lfunc_end116:
	.size	_ZN9rocsparseL28csrmvn_lrb_short_rows_kernelIiiDF16_DF16_ffEEvbT_PT0_S3_jNS_24const_host_device_scalarIT4_EEPKS1_PKS2_PKT1_PKT2_S6_PT3_21rocsparse_index_base_b, .Lfunc_end116-_ZN9rocsparseL28csrmvn_lrb_short_rows_kernelIiiDF16_DF16_ffEEvbT_PT0_S3_jNS_24const_host_device_scalarIT4_EEPKS1_PKS2_PKT1_PKT2_S6_PT3_21rocsparse_index_base_b
                                        ; -- End function
	.section	.AMDGPU.csdata,"",@progbits
; Kernel info:
; codeLenInByte = 876
; NumSgprs: 26
; NumVgprs: 10
; ScratchSize: 0
; MemoryBound: 0
; FloatMode: 240
; IeeeMode: 1
; LDSByteSize: 0 bytes/workgroup (compile time only)
; SGPRBlocks: 3
; VGPRBlocks: 1
; NumSGPRsForWavesPerEU: 26
; NumVGPRsForWavesPerEU: 10
; Occupancy: 16
; WaveLimiterHint : 1
; COMPUTE_PGM_RSRC2:SCRATCH_EN: 0
; COMPUTE_PGM_RSRC2:USER_SGPR: 15
; COMPUTE_PGM_RSRC2:TRAP_HANDLER: 0
; COMPUTE_PGM_RSRC2:TGID_X_EN: 1
; COMPUTE_PGM_RSRC2:TGID_Y_EN: 0
; COMPUTE_PGM_RSRC2:TGID_Z_EN: 0
; COMPUTE_PGM_RSRC2:TIDIG_COMP_CNT: 0
	.section	.text._ZN9rocsparseL30csrmvn_lrb_short_rows_2_kernelIiiDF16_DF16_ffEEvbT_PT0_S3_jNS_24const_host_device_scalarIT4_EEPKS1_PKS2_PKT1_PKT2_S6_PT3_21rocsparse_index_base_b,"axG",@progbits,_ZN9rocsparseL30csrmvn_lrb_short_rows_2_kernelIiiDF16_DF16_ffEEvbT_PT0_S3_jNS_24const_host_device_scalarIT4_EEPKS1_PKS2_PKT1_PKT2_S6_PT3_21rocsparse_index_base_b,comdat
	.globl	_ZN9rocsparseL30csrmvn_lrb_short_rows_2_kernelIiiDF16_DF16_ffEEvbT_PT0_S3_jNS_24const_host_device_scalarIT4_EEPKS1_PKS2_PKT1_PKT2_S6_PT3_21rocsparse_index_base_b ; -- Begin function _ZN9rocsparseL30csrmvn_lrb_short_rows_2_kernelIiiDF16_DF16_ffEEvbT_PT0_S3_jNS_24const_host_device_scalarIT4_EEPKS1_PKS2_PKT1_PKT2_S6_PT3_21rocsparse_index_base_b
	.p2align	8
	.type	_ZN9rocsparseL30csrmvn_lrb_short_rows_2_kernelIiiDF16_DF16_ffEEvbT_PT0_S3_jNS_24const_host_device_scalarIT4_EEPKS1_PKS2_PKT1_PKT2_S6_PT3_21rocsparse_index_base_b,@function
_ZN9rocsparseL30csrmvn_lrb_short_rows_2_kernelIiiDF16_DF16_ffEEvbT_PT0_S3_jNS_24const_host_device_scalarIT4_EEPKS1_PKS2_PKT1_PKT2_S6_PT3_21rocsparse_index_base_b: ; @_ZN9rocsparseL30csrmvn_lrb_short_rows_2_kernelIiiDF16_DF16_ffEEvbT_PT0_S3_jNS_24const_host_device_scalarIT4_EEPKS1_PKS2_PKT1_PKT2_S6_PT3_21rocsparse_index_base_b
; %bb.0:
	s_clause 0x2
	s_load_b64 s[20:21], s[0:1], 0x58
	s_load_b64 s[18:19], s[0:1], 0x20
	;; [unrolled: 1-line block ×3, first 2 shown]
	s_waitcnt lgkmcnt(0)
	s_bitcmp1_b32 s21, 0
	s_cselect_b32 s2, -1, 0
	s_delay_alu instid0(SALU_CYCLE_1)
	s_and_b32 vcc_lo, exec_lo, s2
	s_xor_b32 s2, s2, -1
	s_cbranch_vccnz .LBB117_2
; %bb.1:
	s_load_b32 s18, s[18:19], 0x0
.LBB117_2:
	s_and_not1_b32 vcc_lo, exec_lo, s2
	s_cbranch_vccnz .LBB117_4
; %bb.3:
	s_load_b32 s12, s[12:13], 0x0
.LBB117_4:
	s_waitcnt lgkmcnt(0)
	v_cmp_neq_f32_e64 s2, s18, 0
	v_cmp_neq_f32_e64 s3, s12, 1.0
	s_mov_b32 s17, 0
	s_delay_alu instid0(VALU_DEP_1) | instskip(NEXT) | instid1(SALU_CYCLE_1)
	s_or_b32 s2, s2, s3
	s_and_not1_b32 vcc_lo, exec_lo, s2
	s_cbranch_vccnz .LBB117_30
; %bb.5:
	s_clause 0x1
	s_load_b32 s16, s[0:1], 0x18
	s_load_b128 s[8:11], s[0:1], 0x8
	s_mov_b32 s5, s17
	s_waitcnt lgkmcnt(0)
	s_lshl_b64 s[2:3], s[16:17], 2
	v_lshrrev_b32_e32 v1, s16, v0
	s_add_u32 s2, s10, s2
	s_addc_u32 s3, s11, s3
	s_add_i32 s4, s16, 1
	v_bfe_u32 v6, v0, 0, s16
	s_lshl_b64 s[4:5], s[4:5], 2
	s_delay_alu instid0(SALU_CYCLE_1)
	s_add_u32 s4, s10, s4
	s_addc_u32 s5, s11, s5
	s_clause 0x1
	s_load_b32 s14, s[2:3], 0x0
	s_load_b32 s17, s[4:5], 0x0
	s_clause 0x1
	s_load_b64 s[10:11], s[0:1], 0x50
	s_load_b256 s[0:7], s[0:1], 0x28
	s_lshr_b32 s13, 0x400, s16
	v_subrev_nc_u32_e32 v5, s20, v6
	s_mul_i32 s15, s13, s15
	s_delay_alu instid0(SALU_CYCLE_1) | instskip(SKIP_3) | instid1(SALU_CYCLE_1)
	v_add_nc_u32_e32 v1, s15, v1
	s_add_i32 s19, s15, s13
	s_waitcnt lgkmcnt(0)
	s_sub_i32 s17, s17, s14
	s_min_u32 s17, s17, s19
	s_mov_b32 s19, exec_lo
	v_cmpx_gt_u32_e64 s17, v1
	s_cbranch_execz .LBB117_9
; %bb.6:
	v_dual_mov_b32 v2, 0 :: v_dual_add_nc_u32 v1, s14, v1
	s_mov_b32 s21, exec_lo
	s_delay_alu instid0(VALU_DEP_1) | instskip(NEXT) | instid1(VALU_DEP_1)
	v_lshlrev_b64 v[3:4], 2, v[1:2]
	v_add_co_u32 v3, vcc_lo, s8, v3
	s_delay_alu instid0(VALU_DEP_2) | instskip(SKIP_3) | instid1(VALU_DEP_1)
	v_add_co_ci_u32_e32 v4, vcc_lo, s9, v4, vcc_lo
	global_load_b32 v3, v[3:4], off
	s_waitcnt vmcnt(0)
	v_ashrrev_i32_e32 v4, 31, v3
	v_lshlrev_b64 v[3:4], 2, v[3:4]
	s_delay_alu instid0(VALU_DEP_1) | instskip(NEXT) | instid1(VALU_DEP_2)
	v_add_co_u32 v3, vcc_lo, s0, v3
	v_add_co_ci_u32_e32 v4, vcc_lo, s1, v4, vcc_lo
	global_load_b64 v[3:4], v[3:4], off
	s_waitcnt vmcnt(0)
	v_sub_nc_u32_e32 v1, v4, v3
	s_delay_alu instid0(VALU_DEP_1)
	v_cmpx_lt_u32_e64 v6, v1
	s_cbranch_execz .LBB117_8
; %bb.7:
	v_dual_mov_b32 v2, 0 :: v_dual_add_nc_u32 v1, v3, v5
	s_delay_alu instid0(VALU_DEP_1) | instskip(SKIP_1) | instid1(VALU_DEP_2)
	v_lshlrev_b64 v[3:4], 2, v[1:2]
	v_lshlrev_b64 v[1:2], 1, v[1:2]
	v_add_co_u32 v3, vcc_lo, s2, v3
	s_delay_alu instid0(VALU_DEP_3) | instskip(NEXT) | instid1(VALU_DEP_3)
	v_add_co_ci_u32_e32 v4, vcc_lo, s3, v4, vcc_lo
	v_add_co_u32 v1, vcc_lo, s4, v1
	s_delay_alu instid0(VALU_DEP_4) | instskip(SKIP_4) | instid1(VALU_DEP_1)
	v_add_co_ci_u32_e32 v2, vcc_lo, s5, v2, vcc_lo
	global_load_b32 v3, v[3:4], off
	global_load_u16 v7, v[1:2], off
	s_waitcnt vmcnt(1)
	v_subrev_nc_u32_e32 v3, s20, v3
	v_ashrrev_i32_e32 v4, 31, v3
	s_delay_alu instid0(VALU_DEP_1) | instskip(NEXT) | instid1(VALU_DEP_1)
	v_lshlrev_b64 v[3:4], 1, v[3:4]
	v_add_co_u32 v1, vcc_lo, s6, v3
	s_delay_alu instid0(VALU_DEP_2) | instskip(SKIP_3) | instid1(VALU_DEP_1)
	v_add_co_ci_u32_e32 v2, vcc_lo, s7, v4, vcc_lo
	global_load_u16 v1, v[1:2], off
	s_waitcnt vmcnt(1)
	v_cvt_f32_f16_e32 v2, v7
	v_mul_f32_e32 v2, s18, v2
	s_waitcnt vmcnt(0)
	v_cvt_f32_f16_e32 v1, v1
	s_delay_alu instid0(VALU_DEP_1)
	v_mul_f32_e32 v2, v2, v1
.LBB117_8:
	s_or_b32 exec_lo, exec_lo, s21
	v_lshlrev_b32_e32 v1, 2, v0
	ds_store_b32 v1, v2
.LBB117_9:
	s_or_b32 exec_lo, exec_lo, s19
	v_or_b32_e32 v1, 0x100, v0
	s_mov_b32 s19, exec_lo
	s_delay_alu instid0(VALU_DEP_1) | instskip(NEXT) | instid1(VALU_DEP_1)
	v_lshrrev_b32_e32 v1, s16, v1
	v_add_nc_u32_e32 v1, s15, v1
	s_delay_alu instid0(VALU_DEP_1)
	v_cmpx_gt_u32_e64 s17, v1
	s_cbranch_execz .LBB117_13
; %bb.10:
	v_dual_mov_b32 v2, 0 :: v_dual_add_nc_u32 v1, s14, v1
	s_mov_b32 s21, exec_lo
	s_delay_alu instid0(VALU_DEP_1) | instskip(NEXT) | instid1(VALU_DEP_1)
	v_lshlrev_b64 v[3:4], 2, v[1:2]
	v_add_co_u32 v3, vcc_lo, s8, v3
	s_delay_alu instid0(VALU_DEP_2) | instskip(SKIP_3) | instid1(VALU_DEP_1)
	v_add_co_ci_u32_e32 v4, vcc_lo, s9, v4, vcc_lo
	global_load_b32 v3, v[3:4], off
	s_waitcnt vmcnt(0)
	v_ashrrev_i32_e32 v4, 31, v3
	v_lshlrev_b64 v[3:4], 2, v[3:4]
	s_delay_alu instid0(VALU_DEP_1) | instskip(NEXT) | instid1(VALU_DEP_2)
	v_add_co_u32 v3, vcc_lo, s0, v3
	v_add_co_ci_u32_e32 v4, vcc_lo, s1, v4, vcc_lo
	global_load_b64 v[3:4], v[3:4], off
	s_waitcnt vmcnt(0)
	v_sub_nc_u32_e32 v1, v4, v3
	s_delay_alu instid0(VALU_DEP_1)
	v_cmpx_lt_u32_e64 v6, v1
	s_cbranch_execz .LBB117_12
; %bb.11:
	v_dual_mov_b32 v2, 0 :: v_dual_add_nc_u32 v1, v3, v5
	s_delay_alu instid0(VALU_DEP_1) | instskip(SKIP_1) | instid1(VALU_DEP_2)
	v_lshlrev_b64 v[3:4], 2, v[1:2]
	v_lshlrev_b64 v[1:2], 1, v[1:2]
	v_add_co_u32 v3, vcc_lo, s2, v3
	s_delay_alu instid0(VALU_DEP_3) | instskip(NEXT) | instid1(VALU_DEP_3)
	v_add_co_ci_u32_e32 v4, vcc_lo, s3, v4, vcc_lo
	v_add_co_u32 v1, vcc_lo, s4, v1
	s_delay_alu instid0(VALU_DEP_4) | instskip(SKIP_4) | instid1(VALU_DEP_1)
	v_add_co_ci_u32_e32 v2, vcc_lo, s5, v2, vcc_lo
	global_load_b32 v3, v[3:4], off
	global_load_u16 v7, v[1:2], off
	s_waitcnt vmcnt(1)
	v_subrev_nc_u32_e32 v3, s20, v3
	v_ashrrev_i32_e32 v4, 31, v3
	s_delay_alu instid0(VALU_DEP_1) | instskip(NEXT) | instid1(VALU_DEP_1)
	v_lshlrev_b64 v[3:4], 1, v[3:4]
	v_add_co_u32 v1, vcc_lo, s6, v3
	s_delay_alu instid0(VALU_DEP_2) | instskip(SKIP_3) | instid1(VALU_DEP_1)
	v_add_co_ci_u32_e32 v2, vcc_lo, s7, v4, vcc_lo
	global_load_u16 v1, v[1:2], off
	s_waitcnt vmcnt(1)
	v_cvt_f32_f16_e32 v2, v7
	v_mul_f32_e32 v2, s18, v2
	s_waitcnt vmcnt(0)
	v_cvt_f32_f16_e32 v1, v1
	s_delay_alu instid0(VALU_DEP_1)
	v_mul_f32_e32 v2, v2, v1
.LBB117_12:
	s_or_b32 exec_lo, exec_lo, s21
	v_lshlrev_b32_e32 v1, 2, v0
	ds_store_b32 v1, v2 offset:1024
.LBB117_13:
	s_or_b32 exec_lo, exec_lo, s19
	v_or_b32_e32 v1, 0x200, v0
	s_mov_b32 s19, exec_lo
	s_delay_alu instid0(VALU_DEP_1) | instskip(NEXT) | instid1(VALU_DEP_1)
	v_lshrrev_b32_e32 v1, s16, v1
	v_add_nc_u32_e32 v1, s15, v1
	s_delay_alu instid0(VALU_DEP_1)
	v_cmpx_gt_u32_e64 s17, v1
	s_cbranch_execz .LBB117_17
; %bb.14:
	v_dual_mov_b32 v2, 0 :: v_dual_add_nc_u32 v1, s14, v1
	s_mov_b32 s21, exec_lo
	s_delay_alu instid0(VALU_DEP_1) | instskip(NEXT) | instid1(VALU_DEP_1)
	v_lshlrev_b64 v[3:4], 2, v[1:2]
	v_add_co_u32 v3, vcc_lo, s8, v3
	s_delay_alu instid0(VALU_DEP_2) | instskip(SKIP_3) | instid1(VALU_DEP_1)
	v_add_co_ci_u32_e32 v4, vcc_lo, s9, v4, vcc_lo
	global_load_b32 v3, v[3:4], off
	s_waitcnt vmcnt(0)
	v_ashrrev_i32_e32 v4, 31, v3
	v_lshlrev_b64 v[3:4], 2, v[3:4]
	s_delay_alu instid0(VALU_DEP_1) | instskip(NEXT) | instid1(VALU_DEP_2)
	v_add_co_u32 v3, vcc_lo, s0, v3
	v_add_co_ci_u32_e32 v4, vcc_lo, s1, v4, vcc_lo
	global_load_b64 v[3:4], v[3:4], off
	s_waitcnt vmcnt(0)
	v_sub_nc_u32_e32 v1, v4, v3
	s_delay_alu instid0(VALU_DEP_1)
	v_cmpx_lt_u32_e64 v6, v1
	s_cbranch_execz .LBB117_16
; %bb.15:
	v_dual_mov_b32 v2, 0 :: v_dual_add_nc_u32 v1, v3, v5
	s_delay_alu instid0(VALU_DEP_1) | instskip(SKIP_1) | instid1(VALU_DEP_2)
	v_lshlrev_b64 v[3:4], 2, v[1:2]
	v_lshlrev_b64 v[1:2], 1, v[1:2]
	v_add_co_u32 v3, vcc_lo, s2, v3
	s_delay_alu instid0(VALU_DEP_3) | instskip(NEXT) | instid1(VALU_DEP_3)
	v_add_co_ci_u32_e32 v4, vcc_lo, s3, v4, vcc_lo
	v_add_co_u32 v1, vcc_lo, s4, v1
	s_delay_alu instid0(VALU_DEP_4) | instskip(SKIP_4) | instid1(VALU_DEP_1)
	v_add_co_ci_u32_e32 v2, vcc_lo, s5, v2, vcc_lo
	global_load_b32 v3, v[3:4], off
	global_load_u16 v7, v[1:2], off
	s_waitcnt vmcnt(1)
	v_subrev_nc_u32_e32 v3, s20, v3
	v_ashrrev_i32_e32 v4, 31, v3
	s_delay_alu instid0(VALU_DEP_1) | instskip(NEXT) | instid1(VALU_DEP_1)
	v_lshlrev_b64 v[3:4], 1, v[3:4]
	v_add_co_u32 v1, vcc_lo, s6, v3
	s_delay_alu instid0(VALU_DEP_2) | instskip(SKIP_3) | instid1(VALU_DEP_1)
	v_add_co_ci_u32_e32 v2, vcc_lo, s7, v4, vcc_lo
	global_load_u16 v1, v[1:2], off
	s_waitcnt vmcnt(1)
	v_cvt_f32_f16_e32 v2, v7
	v_mul_f32_e32 v2, s18, v2
	s_waitcnt vmcnt(0)
	v_cvt_f32_f16_e32 v1, v1
	s_delay_alu instid0(VALU_DEP_1)
	v_mul_f32_e32 v2, v2, v1
.LBB117_16:
	s_or_b32 exec_lo, exec_lo, s21
	v_lshlrev_b32_e32 v1, 2, v0
	ds_store_b32 v1, v2 offset:2048
.LBB117_17:
	s_or_b32 exec_lo, exec_lo, s19
	v_or_b32_e32 v1, 0x300, v0
	s_mov_b32 s19, exec_lo
	s_delay_alu instid0(VALU_DEP_1) | instskip(NEXT) | instid1(VALU_DEP_1)
	v_lshrrev_b32_e32 v1, s16, v1
	v_add_nc_u32_e32 v1, s15, v1
	s_delay_alu instid0(VALU_DEP_1)
	v_cmpx_gt_u32_e64 s17, v1
	s_cbranch_execz .LBB117_21
; %bb.18:
	v_dual_mov_b32 v2, 0 :: v_dual_add_nc_u32 v1, s14, v1
	s_delay_alu instid0(VALU_DEP_1) | instskip(NEXT) | instid1(VALU_DEP_1)
	v_lshlrev_b64 v[3:4], 2, v[1:2]
	v_add_co_u32 v3, vcc_lo, s8, v3
	s_delay_alu instid0(VALU_DEP_2) | instskip(SKIP_3) | instid1(VALU_DEP_1)
	v_add_co_ci_u32_e32 v4, vcc_lo, s9, v4, vcc_lo
	global_load_b32 v3, v[3:4], off
	s_waitcnt vmcnt(0)
	v_ashrrev_i32_e32 v4, 31, v3
	v_lshlrev_b64 v[3:4], 2, v[3:4]
	s_delay_alu instid0(VALU_DEP_1) | instskip(NEXT) | instid1(VALU_DEP_2)
	v_add_co_u32 v3, vcc_lo, s0, v3
	v_add_co_ci_u32_e32 v4, vcc_lo, s1, v4, vcc_lo
	s_mov_b32 s0, exec_lo
	global_load_b64 v[3:4], v[3:4], off
	s_waitcnt vmcnt(0)
	v_sub_nc_u32_e32 v1, v4, v3
	s_delay_alu instid0(VALU_DEP_1)
	v_cmpx_lt_u32_e64 v6, v1
	s_cbranch_execz .LBB117_20
; %bb.19:
	v_dual_mov_b32 v2, 0 :: v_dual_add_nc_u32 v1, v3, v5
	s_delay_alu instid0(VALU_DEP_1) | instskip(SKIP_1) | instid1(VALU_DEP_2)
	v_lshlrev_b64 v[3:4], 2, v[1:2]
	v_lshlrev_b64 v[1:2], 1, v[1:2]
	v_add_co_u32 v3, vcc_lo, s2, v3
	s_delay_alu instid0(VALU_DEP_3) | instskip(NEXT) | instid1(VALU_DEP_3)
	v_add_co_ci_u32_e32 v4, vcc_lo, s3, v4, vcc_lo
	v_add_co_u32 v1, vcc_lo, s4, v1
	s_delay_alu instid0(VALU_DEP_4) | instskip(SKIP_4) | instid1(VALU_DEP_1)
	v_add_co_ci_u32_e32 v2, vcc_lo, s5, v2, vcc_lo
	global_load_b32 v3, v[3:4], off
	global_load_u16 v5, v[1:2], off
	s_waitcnt vmcnt(1)
	v_subrev_nc_u32_e32 v3, s20, v3
	v_ashrrev_i32_e32 v4, 31, v3
	s_delay_alu instid0(VALU_DEP_1) | instskip(NEXT) | instid1(VALU_DEP_1)
	v_lshlrev_b64 v[3:4], 1, v[3:4]
	v_add_co_u32 v1, vcc_lo, s6, v3
	s_delay_alu instid0(VALU_DEP_2) | instskip(SKIP_3) | instid1(VALU_DEP_1)
	v_add_co_ci_u32_e32 v2, vcc_lo, s7, v4, vcc_lo
	global_load_u16 v1, v[1:2], off
	s_waitcnt vmcnt(1)
	v_cvt_f32_f16_e32 v2, v5
	v_mul_f32_e32 v2, s18, v2
	s_waitcnt vmcnt(0)
	v_cvt_f32_f16_e32 v1, v1
	s_delay_alu instid0(VALU_DEP_1)
	v_mul_f32_e32 v2, v2, v1
.LBB117_20:
	s_or_b32 exec_lo, exec_lo, s0
	v_lshlrev_b32_e32 v1, 2, v0
	ds_store_b32 v1, v2 offset:3072
.LBB117_21:
	s_or_b32 exec_lo, exec_lo, s19
	s_cmp_lt_u32 s16, 11
	s_waitcnt lgkmcnt(0)
	s_barrier
	buffer_gl0_inv
	s_cbranch_scc0 .LBB117_30
; %bb.22:
	v_cmp_neq_f32_e64 s0, s12, 0
	v_mov_b32_e32 v2, 0
	s_sub_i32 s1, s17, s15
	s_add_i32 s14, s14, s15
	s_mov_b32 s2, 0
	s_set_inst_prefetch_distance 0x1
	s_branch .LBB117_25
	.p2align	6
.LBB117_23:                             ;   in Loop: Header=BB117_25 Depth=1
	s_delay_alu instid0(VALU_DEP_1) | instskip(NEXT) | instid1(VALU_DEP_2)
	v_add_co_u32 v3, vcc_lo, s10, v3
	v_add_co_ci_u32_e32 v4, vcc_lo, s11, v4, vcc_lo
	global_store_b32 v[3:4], v1, off
.LBB117_24:                             ;   in Loop: Header=BB117_25 Depth=1
	s_or_b32 exec_lo, exec_lo, s3
	s_addk_i32 s2, 0x100
	s_delay_alu instid0(SALU_CYCLE_1)
	s_cmp_lt_u32 s2, s13
	s_cbranch_scc0 .LBB117_30
.LBB117_25:                             ; =>This Loop Header: Depth=1
                                        ;     Child Loop BB117_27 Depth 2
	v_add_nc_u32_e32 v4, s2, v0
	s_mov_b32 s3, exec_lo
	s_delay_alu instid0(VALU_DEP_1)
	v_cmpx_gt_u32_e64 s1, v4
	s_cbranch_execz .LBB117_24
; %bb.26:                               ;   in Loop: Header=BB117_25 Depth=1
	v_add_nc_u32_e32 v1, s14, v4
	s_mov_b32 s4, 1
	s_delay_alu instid0(VALU_DEP_1) | instskip(SKIP_1) | instid1(VALU_DEP_1)
	v_lshlrev_b64 v[5:6], 2, v[1:2]
	v_lshlrev_b32_e32 v1, s16, v4
	v_dual_mov_b32 v1, 0 :: v_dual_lshlrev_b32 v4, 2, v1
	s_delay_alu instid0(VALU_DEP_3) | instskip(NEXT) | instid1(VALU_DEP_4)
	v_add_co_u32 v5, vcc_lo, s8, v5
	v_add_co_ci_u32_e32 v6, vcc_lo, s9, v6, vcc_lo
	global_load_b32 v3, v[5:6], off
.LBB117_27:                             ;   Parent Loop BB117_25 Depth=1
                                        ; =>  This Inner Loop Header: Depth=2
	ds_load_b32 v5, v4
	v_add_nc_u32_e32 v4, 4, v4
	s_lshr_b32 s5, s4, s16
	s_add_i32 s4, s4, 1
	s_cmp_lg_u32 s5, 0
	s_waitcnt lgkmcnt(0)
	v_add_f32_e32 v1, v1, v5
	s_cbranch_scc0 .LBB117_27
; %bb.28:                               ;   in Loop: Header=BB117_25 Depth=1
	s_waitcnt vmcnt(0)
	v_ashrrev_i32_e32 v4, 31, v3
	s_and_b32 vcc_lo, exec_lo, s0
	s_delay_alu instid0(VALU_DEP_1)
	v_lshlrev_b64 v[3:4], 2, v[3:4]
	s_cbranch_vccz .LBB117_23
; %bb.29:                               ;   in Loop: Header=BB117_25 Depth=1
	s_delay_alu instid0(VALU_DEP_1) | instskip(NEXT) | instid1(VALU_DEP_2)
	v_add_co_u32 v5, vcc_lo, s10, v3
	v_add_co_ci_u32_e32 v6, vcc_lo, s11, v4, vcc_lo
	global_load_b32 v5, v[5:6], off
	s_waitcnt vmcnt(0)
	v_fmac_f32_e32 v1, s12, v5
	s_branch .LBB117_23
.LBB117_30:
	s_set_inst_prefetch_distance 0x2
	s_nop 0
	s_sendmsg sendmsg(MSG_DEALLOC_VGPRS)
	s_endpgm
	.section	.rodata,"a",@progbits
	.p2align	6, 0x0
	.amdhsa_kernel _ZN9rocsparseL30csrmvn_lrb_short_rows_2_kernelIiiDF16_DF16_ffEEvbT_PT0_S3_jNS_24const_host_device_scalarIT4_EEPKS1_PKS2_PKT1_PKT2_S6_PT3_21rocsparse_index_base_b
		.amdhsa_group_segment_fixed_size 4096
		.amdhsa_private_segment_fixed_size 0
		.amdhsa_kernarg_size 96
		.amdhsa_user_sgpr_count 15
		.amdhsa_user_sgpr_dispatch_ptr 0
		.amdhsa_user_sgpr_queue_ptr 0
		.amdhsa_user_sgpr_kernarg_segment_ptr 1
		.amdhsa_user_sgpr_dispatch_id 0
		.amdhsa_user_sgpr_private_segment_size 0
		.amdhsa_wavefront_size32 1
		.amdhsa_uses_dynamic_stack 0
		.amdhsa_enable_private_segment 0
		.amdhsa_system_sgpr_workgroup_id_x 1
		.amdhsa_system_sgpr_workgroup_id_y 0
		.amdhsa_system_sgpr_workgroup_id_z 0
		.amdhsa_system_sgpr_workgroup_info 0
		.amdhsa_system_vgpr_workitem_id 0
		.amdhsa_next_free_vgpr 8
		.amdhsa_next_free_sgpr 22
		.amdhsa_reserve_vcc 1
		.amdhsa_float_round_mode_32 0
		.amdhsa_float_round_mode_16_64 0
		.amdhsa_float_denorm_mode_32 3
		.amdhsa_float_denorm_mode_16_64 3
		.amdhsa_dx10_clamp 1
		.amdhsa_ieee_mode 1
		.amdhsa_fp16_overflow 0
		.amdhsa_workgroup_processor_mode 1
		.amdhsa_memory_ordered 1
		.amdhsa_forward_progress 0
		.amdhsa_shared_vgpr_count 0
		.amdhsa_exception_fp_ieee_invalid_op 0
		.amdhsa_exception_fp_denorm_src 0
		.amdhsa_exception_fp_ieee_div_zero 0
		.amdhsa_exception_fp_ieee_overflow 0
		.amdhsa_exception_fp_ieee_underflow 0
		.amdhsa_exception_fp_ieee_inexact 0
		.amdhsa_exception_int_div_zero 0
	.end_amdhsa_kernel
	.section	.text._ZN9rocsparseL30csrmvn_lrb_short_rows_2_kernelIiiDF16_DF16_ffEEvbT_PT0_S3_jNS_24const_host_device_scalarIT4_EEPKS1_PKS2_PKT1_PKT2_S6_PT3_21rocsparse_index_base_b,"axG",@progbits,_ZN9rocsparseL30csrmvn_lrb_short_rows_2_kernelIiiDF16_DF16_ffEEvbT_PT0_S3_jNS_24const_host_device_scalarIT4_EEPKS1_PKS2_PKT1_PKT2_S6_PT3_21rocsparse_index_base_b,comdat
.Lfunc_end117:
	.size	_ZN9rocsparseL30csrmvn_lrb_short_rows_2_kernelIiiDF16_DF16_ffEEvbT_PT0_S3_jNS_24const_host_device_scalarIT4_EEPKS1_PKS2_PKT1_PKT2_S6_PT3_21rocsparse_index_base_b, .Lfunc_end117-_ZN9rocsparseL30csrmvn_lrb_short_rows_2_kernelIiiDF16_DF16_ffEEvbT_PT0_S3_jNS_24const_host_device_scalarIT4_EEPKS1_PKS2_PKT1_PKT2_S6_PT3_21rocsparse_index_base_b
                                        ; -- End function
	.section	.AMDGPU.csdata,"",@progbits
; Kernel info:
; codeLenInByte = 1840
; NumSgprs: 24
; NumVgprs: 8
; ScratchSize: 0
; MemoryBound: 0
; FloatMode: 240
; IeeeMode: 1
; LDSByteSize: 4096 bytes/workgroup (compile time only)
; SGPRBlocks: 2
; VGPRBlocks: 0
; NumSGPRsForWavesPerEU: 24
; NumVGPRsForWavesPerEU: 8
; Occupancy: 16
; WaveLimiterHint : 1
; COMPUTE_PGM_RSRC2:SCRATCH_EN: 0
; COMPUTE_PGM_RSRC2:USER_SGPR: 15
; COMPUTE_PGM_RSRC2:TRAP_HANDLER: 0
; COMPUTE_PGM_RSRC2:TGID_X_EN: 1
; COMPUTE_PGM_RSRC2:TGID_Y_EN: 0
; COMPUTE_PGM_RSRC2:TGID_Z_EN: 0
; COMPUTE_PGM_RSRC2:TIDIG_COMP_CNT: 0
	.section	.text._ZN9rocsparseL41csrmvn_lrb_medium_rows_warp_reduce_kernelILj256ELj32EiiDF16_DF16_ffEEvbT1_lPT2_S3_jNS_24const_host_device_scalarIT6_EEPKS1_PKS2_PKT3_PKT4_S6_PT5_21rocsparse_index_base_b,"axG",@progbits,_ZN9rocsparseL41csrmvn_lrb_medium_rows_warp_reduce_kernelILj256ELj32EiiDF16_DF16_ffEEvbT1_lPT2_S3_jNS_24const_host_device_scalarIT6_EEPKS1_PKS2_PKT3_PKT4_S6_PT5_21rocsparse_index_base_b,comdat
	.globl	_ZN9rocsparseL41csrmvn_lrb_medium_rows_warp_reduce_kernelILj256ELj32EiiDF16_DF16_ffEEvbT1_lPT2_S3_jNS_24const_host_device_scalarIT6_EEPKS1_PKS2_PKT3_PKT4_S6_PT5_21rocsparse_index_base_b ; -- Begin function _ZN9rocsparseL41csrmvn_lrb_medium_rows_warp_reduce_kernelILj256ELj32EiiDF16_DF16_ffEEvbT1_lPT2_S3_jNS_24const_host_device_scalarIT6_EEPKS1_PKS2_PKT3_PKT4_S6_PT5_21rocsparse_index_base_b
	.p2align	8
	.type	_ZN9rocsparseL41csrmvn_lrb_medium_rows_warp_reduce_kernelILj256ELj32EiiDF16_DF16_ffEEvbT1_lPT2_S3_jNS_24const_host_device_scalarIT6_EEPKS1_PKS2_PKT3_PKT4_S6_PT5_21rocsparse_index_base_b,@function
_ZN9rocsparseL41csrmvn_lrb_medium_rows_warp_reduce_kernelILj256ELj32EiiDF16_DF16_ffEEvbT1_lPT2_S3_jNS_24const_host_device_scalarIT6_EEPKS1_PKS2_PKT3_PKT4_S6_PT5_21rocsparse_index_base_b: ; @_ZN9rocsparseL41csrmvn_lrb_medium_rows_warp_reduce_kernelILj256ELj32EiiDF16_DF16_ffEEvbT1_lPT2_S3_jNS_24const_host_device_scalarIT6_EEPKS1_PKS2_PKT3_PKT4_S6_PT5_21rocsparse_index_base_b
; %bb.0:
	s_clause 0x2
	s_load_b64 s[8:9], s[0:1], 0x60
	s_load_b64 s[10:11], s[0:1], 0x28
	;; [unrolled: 1-line block ×3, first 2 shown]
	s_waitcnt lgkmcnt(0)
	s_bitcmp1_b32 s9, 0
	s_cselect_b32 s4, -1, 0
	s_delay_alu instid0(SALU_CYCLE_1)
	s_and_b32 vcc_lo, exec_lo, s4
	s_xor_b32 s4, s4, -1
	s_cbranch_vccnz .LBB118_2
; %bb.1:
	s_load_b32 s10, s[10:11], 0x0
.LBB118_2:
	s_and_not1_b32 vcc_lo, exec_lo, s4
	s_cbranch_vccnz .LBB118_4
; %bb.3:
	s_load_b32 s2, s[2:3], 0x0
.LBB118_4:
	s_waitcnt lgkmcnt(0)
	v_cmp_neq_f32_e64 s3, s10, 0
	v_cmp_neq_f32_e64 s4, s2, 1.0
	s_delay_alu instid0(VALU_DEP_1) | instskip(NEXT) | instid1(SALU_CYCLE_1)
	s_or_b32 s3, s3, s4
	s_and_not1_b32 vcc_lo, exec_lo, s3
	s_cbranch_vccnz .LBB118_14
; %bb.5:
	s_load_b64 s[4:5], s[0:1], 0x8
	v_lshrrev_b32_e32 v1, 5, v0
	s_mov_b32 s3, exec_lo
	s_delay_alu instid0(VALU_DEP_1) | instskip(NEXT) | instid1(VALU_DEP_1)
	v_lshl_or_b32 v1, s15, 3, v1
	v_ashrrev_i32_e32 v2, 31, v1
	s_waitcnt lgkmcnt(0)
	s_delay_alu instid0(VALU_DEP_1)
	v_cmpx_gt_i64_e64 s[4:5], v[1:2]
	s_cbranch_execz .LBB118_14
; %bb.6:
	s_clause 0x1
	s_load_b32 s14, s[0:1], 0x20
	s_load_b128 s[4:7], s[0:1], 0x10
	s_mov_b32 s15, 0
	v_and_b32_e32 v0, 31, v0
	s_delay_alu instid0(VALU_DEP_1) | instskip(SKIP_2) | instid1(SALU_CYCLE_1)
	v_subrev_nc_u32_e32 v5, s8, v0
	s_waitcnt lgkmcnt(0)
	s_lshl_b64 s[12:13], s[14:15], 2
	s_add_u32 s6, s6, s12
	s_addc_u32 s7, s7, s13
	s_load_b64 s[12:13], s[0:1], 0x58
	s_load_b32 s3, s[6:7], 0x0
	s_waitcnt lgkmcnt(0)
	v_add_nc_u32_e32 v1, s3, v1
	s_mov_b32 s3, exec_lo
	s_delay_alu instid0(VALU_DEP_1) | instskip(NEXT) | instid1(VALU_DEP_1)
	v_ashrrev_i32_e32 v2, 31, v1
	v_lshlrev_b64 v[1:2], 2, v[1:2]
	s_delay_alu instid0(VALU_DEP_1) | instskip(NEXT) | instid1(VALU_DEP_2)
	v_add_co_u32 v1, vcc_lo, s4, v1
	v_add_co_ci_u32_e32 v2, vcc_lo, s5, v2, vcc_lo
	s_load_b64 s[4:5], s[0:1], 0x30
	global_load_b32 v1, v[1:2], off
	s_waitcnt vmcnt(0)
	v_ashrrev_i32_e32 v2, 31, v1
	s_delay_alu instid0(VALU_DEP_1) | instskip(SKIP_1) | instid1(VALU_DEP_1)
	v_lshlrev_b64 v[1:2], 2, v[1:2]
	s_waitcnt lgkmcnt(0)
	v_add_co_u32 v3, vcc_lo, s4, v1
	s_delay_alu instid0(VALU_DEP_2)
	v_add_co_ci_u32_e32 v4, vcc_lo, s5, v2, vcc_lo
	global_load_b64 v[3:4], v[3:4], off
	s_waitcnt vmcnt(0)
	v_subrev_nc_u32_e32 v6, s8, v4
	v_add_nc_u32_e32 v3, v3, v5
	v_mov_b32_e32 v5, 0
	s_delay_alu instid0(VALU_DEP_2)
	v_cmpx_lt_i32_e64 v3, v6
	s_cbranch_execz .LBB118_10
; %bb.7:
	s_clause 0x1
	s_load_b128 s[4:7], s[0:1], 0x38
	s_load_b64 s[0:1], s[0:1], 0x48
	v_mov_b32_e32 v5, 0
	s_set_inst_prefetch_distance 0x1
	.p2align	6
.LBB118_8:                              ; =>This Inner Loop Header: Depth=1
	v_ashrrev_i32_e32 v4, 31, v3
	s_delay_alu instid0(VALU_DEP_1) | instskip(SKIP_2) | instid1(VALU_DEP_2)
	v_lshlrev_b64 v[7:8], 2, v[3:4]
	v_lshlrev_b64 v[9:10], 1, v[3:4]
	s_waitcnt lgkmcnt(0)
	v_add_co_u32 v7, vcc_lo, s4, v7
	s_delay_alu instid0(VALU_DEP_3) | instskip(NEXT) | instid1(VALU_DEP_3)
	v_add_co_ci_u32_e32 v8, vcc_lo, s5, v8, vcc_lo
	v_add_co_u32 v9, vcc_lo, s6, v9
	s_delay_alu instid0(VALU_DEP_4)
	v_add_co_ci_u32_e32 v10, vcc_lo, s7, v10, vcc_lo
	global_load_b32 v7, v[7:8], off
	global_load_u16 v4, v[9:10], off
	s_waitcnt vmcnt(1)
	v_subrev_nc_u32_e32 v7, s8, v7
	s_waitcnt vmcnt(0)
	v_cvt_f32_f16_e32 v4, v4
	v_add_nc_u32_e32 v3, 32, v3
	s_delay_alu instid0(VALU_DEP_3) | instskip(NEXT) | instid1(VALU_DEP_3)
	v_ashrrev_i32_e32 v8, 31, v7
	v_mul_f32_e32 v4, s10, v4
	s_delay_alu instid0(VALU_DEP_2) | instskip(NEXT) | instid1(VALU_DEP_1)
	v_lshlrev_b64 v[7:8], 1, v[7:8]
	v_add_co_u32 v7, vcc_lo, s0, v7
	s_delay_alu instid0(VALU_DEP_2)
	v_add_co_ci_u32_e32 v8, vcc_lo, s1, v8, vcc_lo
	v_cmp_ge_i32_e32 vcc_lo, v3, v6
	global_load_u16 v7, v[7:8], off
	s_or_b32 s15, vcc_lo, s15
	s_waitcnt vmcnt(0)
	v_fma_mix_f32 v5, v4, v7, v5 op_sel_hi:[0,1,0]
	s_and_not1_b32 exec_lo, exec_lo, s15
	s_cbranch_execnz .LBB118_8
; %bb.9:
	s_set_inst_prefetch_distance 0x2
	s_or_b32 exec_lo, exec_lo, s15
.LBB118_10:
	s_delay_alu instid0(SALU_CYCLE_1) | instskip(SKIP_1) | instid1(VALU_DEP_1)
	s_or_b32 exec_lo, exec_lo, s3
	v_mbcnt_lo_u32_b32 v3, -1, 0
	v_xor_b32_e32 v4, 16, v3
	v_xor_b32_e32 v6, 8, v3
	s_delay_alu instid0(VALU_DEP_2) | instskip(SKIP_1) | instid1(VALU_DEP_3)
	v_cmp_gt_i32_e32 vcc_lo, 32, v4
	v_cndmask_b32_e32 v4, v3, v4, vcc_lo
	v_cmp_gt_i32_e32 vcc_lo, 32, v6
	s_delay_alu instid0(VALU_DEP_2)
	v_lshlrev_b32_e32 v4, 2, v4
	v_cndmask_b32_e32 v6, v3, v6, vcc_lo
	ds_bpermute_b32 v4, v4, v5
	v_lshlrev_b32_e32 v6, 2, v6
	s_waitcnt lgkmcnt(0)
	v_add_f32_e32 v4, v5, v4
	ds_bpermute_b32 v5, v6, v4
	v_xor_b32_e32 v6, 4, v3
	s_delay_alu instid0(VALU_DEP_1) | instskip(SKIP_1) | instid1(VALU_DEP_1)
	v_cmp_gt_i32_e32 vcc_lo, 32, v6
	v_cndmask_b32_e32 v6, v3, v6, vcc_lo
	v_lshlrev_b32_e32 v6, 2, v6
	s_waitcnt lgkmcnt(0)
	v_add_f32_e32 v4, v4, v5
	ds_bpermute_b32 v5, v6, v4
	v_xor_b32_e32 v6, 2, v3
	s_delay_alu instid0(VALU_DEP_1) | instskip(SKIP_1) | instid1(VALU_DEP_1)
	v_cmp_gt_i32_e32 vcc_lo, 32, v6
	v_cndmask_b32_e32 v6, v3, v6, vcc_lo
	v_lshlrev_b32_e32 v6, 2, v6
	s_waitcnt lgkmcnt(0)
	v_add_f32_e32 v4, v4, v5
	ds_bpermute_b32 v5, v6, v4
	v_xor_b32_e32 v6, 1, v3
	s_delay_alu instid0(VALU_DEP_1) | instskip(SKIP_3) | instid1(VALU_DEP_2)
	v_cmp_gt_i32_e32 vcc_lo, 32, v6
	v_cndmask_b32_e32 v6, v3, v6, vcc_lo
	v_cmp_eq_u32_e32 vcc_lo, 31, v0
	s_waitcnt lgkmcnt(0)
	v_dual_add_f32 v3, v4, v5 :: v_dual_lshlrev_b32 v4, 2, v6
	ds_bpermute_b32 v4, v4, v3
	s_and_b32 exec_lo, exec_lo, vcc_lo
	s_cbranch_execz .LBB118_14
; %bb.11:
	v_cmp_eq_f32_e64 s0, s2, 0
	s_waitcnt lgkmcnt(0)
	v_add_f32_e32 v0, v3, v4
	s_delay_alu instid0(VALU_DEP_2)
	s_and_b32 vcc_lo, exec_lo, s0
	s_cbranch_vccnz .LBB118_13
; %bb.12:
	v_add_co_u32 v3, vcc_lo, s12, v1
	v_add_co_ci_u32_e32 v4, vcc_lo, s13, v2, vcc_lo
	global_load_b32 v3, v[3:4], off
	s_waitcnt vmcnt(0)
	v_fmac_f32_e32 v0, s2, v3
.LBB118_13:
	v_add_co_u32 v1, vcc_lo, s12, v1
	v_add_co_ci_u32_e32 v2, vcc_lo, s13, v2, vcc_lo
	global_store_b32 v[1:2], v0, off
.LBB118_14:
	s_nop 0
	s_sendmsg sendmsg(MSG_DEALLOC_VGPRS)
	s_endpgm
	.section	.rodata,"a",@progbits
	.p2align	6, 0x0
	.amdhsa_kernel _ZN9rocsparseL41csrmvn_lrb_medium_rows_warp_reduce_kernelILj256ELj32EiiDF16_DF16_ffEEvbT1_lPT2_S3_jNS_24const_host_device_scalarIT6_EEPKS1_PKS2_PKT3_PKT4_S6_PT5_21rocsparse_index_base_b
		.amdhsa_group_segment_fixed_size 0
		.amdhsa_private_segment_fixed_size 0
		.amdhsa_kernarg_size 104
		.amdhsa_user_sgpr_count 15
		.amdhsa_user_sgpr_dispatch_ptr 0
		.amdhsa_user_sgpr_queue_ptr 0
		.amdhsa_user_sgpr_kernarg_segment_ptr 1
		.amdhsa_user_sgpr_dispatch_id 0
		.amdhsa_user_sgpr_private_segment_size 0
		.amdhsa_wavefront_size32 1
		.amdhsa_uses_dynamic_stack 0
		.amdhsa_enable_private_segment 0
		.amdhsa_system_sgpr_workgroup_id_x 1
		.amdhsa_system_sgpr_workgroup_id_y 0
		.amdhsa_system_sgpr_workgroup_id_z 0
		.amdhsa_system_sgpr_workgroup_info 0
		.amdhsa_system_vgpr_workitem_id 0
		.amdhsa_next_free_vgpr 11
		.amdhsa_next_free_sgpr 16
		.amdhsa_reserve_vcc 1
		.amdhsa_float_round_mode_32 0
		.amdhsa_float_round_mode_16_64 0
		.amdhsa_float_denorm_mode_32 3
		.amdhsa_float_denorm_mode_16_64 3
		.amdhsa_dx10_clamp 1
		.amdhsa_ieee_mode 1
		.amdhsa_fp16_overflow 0
		.amdhsa_workgroup_processor_mode 1
		.amdhsa_memory_ordered 1
		.amdhsa_forward_progress 0
		.amdhsa_shared_vgpr_count 0
		.amdhsa_exception_fp_ieee_invalid_op 0
		.amdhsa_exception_fp_denorm_src 0
		.amdhsa_exception_fp_ieee_div_zero 0
		.amdhsa_exception_fp_ieee_overflow 0
		.amdhsa_exception_fp_ieee_underflow 0
		.amdhsa_exception_fp_ieee_inexact 0
		.amdhsa_exception_int_div_zero 0
	.end_amdhsa_kernel
	.section	.text._ZN9rocsparseL41csrmvn_lrb_medium_rows_warp_reduce_kernelILj256ELj32EiiDF16_DF16_ffEEvbT1_lPT2_S3_jNS_24const_host_device_scalarIT6_EEPKS1_PKS2_PKT3_PKT4_S6_PT5_21rocsparse_index_base_b,"axG",@progbits,_ZN9rocsparseL41csrmvn_lrb_medium_rows_warp_reduce_kernelILj256ELj32EiiDF16_DF16_ffEEvbT1_lPT2_S3_jNS_24const_host_device_scalarIT6_EEPKS1_PKS2_PKT3_PKT4_S6_PT5_21rocsparse_index_base_b,comdat
.Lfunc_end118:
	.size	_ZN9rocsparseL41csrmvn_lrb_medium_rows_warp_reduce_kernelILj256ELj32EiiDF16_DF16_ffEEvbT1_lPT2_S3_jNS_24const_host_device_scalarIT6_EEPKS1_PKS2_PKT3_PKT4_S6_PT5_21rocsparse_index_base_b, .Lfunc_end118-_ZN9rocsparseL41csrmvn_lrb_medium_rows_warp_reduce_kernelILj256ELj32EiiDF16_DF16_ffEEvbT1_lPT2_S3_jNS_24const_host_device_scalarIT6_EEPKS1_PKS2_PKT3_PKT4_S6_PT5_21rocsparse_index_base_b
                                        ; -- End function
	.section	.AMDGPU.csdata,"",@progbits
; Kernel info:
; codeLenInByte = 872
; NumSgprs: 18
; NumVgprs: 11
; ScratchSize: 0
; MemoryBound: 0
; FloatMode: 240
; IeeeMode: 1
; LDSByteSize: 0 bytes/workgroup (compile time only)
; SGPRBlocks: 2
; VGPRBlocks: 1
; NumSGPRsForWavesPerEU: 18
; NumVGPRsForWavesPerEU: 11
; Occupancy: 16
; WaveLimiterHint : 1
; COMPUTE_PGM_RSRC2:SCRATCH_EN: 0
; COMPUTE_PGM_RSRC2:USER_SGPR: 15
; COMPUTE_PGM_RSRC2:TRAP_HANDLER: 0
; COMPUTE_PGM_RSRC2:TGID_X_EN: 1
; COMPUTE_PGM_RSRC2:TGID_Y_EN: 0
; COMPUTE_PGM_RSRC2:TGID_Z_EN: 0
; COMPUTE_PGM_RSRC2:TIDIG_COMP_CNT: 0
	.section	.text._ZN9rocsparseL41csrmvn_lrb_medium_rows_warp_reduce_kernelILj256ELj64EiiDF16_DF16_ffEEvbT1_lPT2_S3_jNS_24const_host_device_scalarIT6_EEPKS1_PKS2_PKT3_PKT4_S6_PT5_21rocsparse_index_base_b,"axG",@progbits,_ZN9rocsparseL41csrmvn_lrb_medium_rows_warp_reduce_kernelILj256ELj64EiiDF16_DF16_ffEEvbT1_lPT2_S3_jNS_24const_host_device_scalarIT6_EEPKS1_PKS2_PKT3_PKT4_S6_PT5_21rocsparse_index_base_b,comdat
	.globl	_ZN9rocsparseL41csrmvn_lrb_medium_rows_warp_reduce_kernelILj256ELj64EiiDF16_DF16_ffEEvbT1_lPT2_S3_jNS_24const_host_device_scalarIT6_EEPKS1_PKS2_PKT3_PKT4_S6_PT5_21rocsparse_index_base_b ; -- Begin function _ZN9rocsparseL41csrmvn_lrb_medium_rows_warp_reduce_kernelILj256ELj64EiiDF16_DF16_ffEEvbT1_lPT2_S3_jNS_24const_host_device_scalarIT6_EEPKS1_PKS2_PKT3_PKT4_S6_PT5_21rocsparse_index_base_b
	.p2align	8
	.type	_ZN9rocsparseL41csrmvn_lrb_medium_rows_warp_reduce_kernelILj256ELj64EiiDF16_DF16_ffEEvbT1_lPT2_S3_jNS_24const_host_device_scalarIT6_EEPKS1_PKS2_PKT3_PKT4_S6_PT5_21rocsparse_index_base_b,@function
_ZN9rocsparseL41csrmvn_lrb_medium_rows_warp_reduce_kernelILj256ELj64EiiDF16_DF16_ffEEvbT1_lPT2_S3_jNS_24const_host_device_scalarIT6_EEPKS1_PKS2_PKT3_PKT4_S6_PT5_21rocsparse_index_base_b: ; @_ZN9rocsparseL41csrmvn_lrb_medium_rows_warp_reduce_kernelILj256ELj64EiiDF16_DF16_ffEEvbT1_lPT2_S3_jNS_24const_host_device_scalarIT6_EEPKS1_PKS2_PKT3_PKT4_S6_PT5_21rocsparse_index_base_b
; %bb.0:
	s_clause 0x2
	s_load_b64 s[8:9], s[0:1], 0x60
	s_load_b64 s[10:11], s[0:1], 0x28
	;; [unrolled: 1-line block ×3, first 2 shown]
	s_waitcnt lgkmcnt(0)
	s_bitcmp1_b32 s9, 0
	s_cselect_b32 s4, -1, 0
	s_delay_alu instid0(SALU_CYCLE_1)
	s_and_b32 vcc_lo, exec_lo, s4
	s_xor_b32 s4, s4, -1
	s_cbranch_vccnz .LBB119_2
; %bb.1:
	s_load_b32 s10, s[10:11], 0x0
.LBB119_2:
	s_and_not1_b32 vcc_lo, exec_lo, s4
	s_cbranch_vccnz .LBB119_4
; %bb.3:
	s_load_b32 s2, s[2:3], 0x0
.LBB119_4:
	s_waitcnt lgkmcnt(0)
	v_cmp_neq_f32_e64 s3, s10, 0
	v_cmp_neq_f32_e64 s4, s2, 1.0
	s_delay_alu instid0(VALU_DEP_1) | instskip(NEXT) | instid1(SALU_CYCLE_1)
	s_or_b32 s3, s3, s4
	s_and_not1_b32 vcc_lo, exec_lo, s3
	s_cbranch_vccnz .LBB119_14
; %bb.5:
	s_load_b64 s[4:5], s[0:1], 0x8
	v_lshrrev_b32_e32 v1, 6, v0
	s_mov_b32 s3, exec_lo
	s_delay_alu instid0(VALU_DEP_1) | instskip(NEXT) | instid1(VALU_DEP_1)
	v_lshl_or_b32 v1, s15, 2, v1
	v_ashrrev_i32_e32 v2, 31, v1
	s_waitcnt lgkmcnt(0)
	s_delay_alu instid0(VALU_DEP_1)
	v_cmpx_gt_i64_e64 s[4:5], v[1:2]
	s_cbranch_execz .LBB119_14
; %bb.6:
	s_clause 0x1
	s_load_b32 s14, s[0:1], 0x20
	s_load_b128 s[4:7], s[0:1], 0x10
	s_mov_b32 s15, 0
	v_and_b32_e32 v0, 63, v0
	s_delay_alu instid0(VALU_DEP_1) | instskip(SKIP_2) | instid1(SALU_CYCLE_1)
	v_subrev_nc_u32_e32 v5, s8, v0
	s_waitcnt lgkmcnt(0)
	s_lshl_b64 s[12:13], s[14:15], 2
	s_add_u32 s6, s6, s12
	s_addc_u32 s7, s7, s13
	s_load_b64 s[12:13], s[0:1], 0x58
	s_load_b32 s3, s[6:7], 0x0
	s_waitcnt lgkmcnt(0)
	v_add_nc_u32_e32 v1, s3, v1
	s_mov_b32 s3, exec_lo
	s_delay_alu instid0(VALU_DEP_1) | instskip(NEXT) | instid1(VALU_DEP_1)
	v_ashrrev_i32_e32 v2, 31, v1
	v_lshlrev_b64 v[1:2], 2, v[1:2]
	s_delay_alu instid0(VALU_DEP_1) | instskip(NEXT) | instid1(VALU_DEP_2)
	v_add_co_u32 v1, vcc_lo, s4, v1
	v_add_co_ci_u32_e32 v2, vcc_lo, s5, v2, vcc_lo
	s_load_b64 s[4:5], s[0:1], 0x30
	global_load_b32 v1, v[1:2], off
	s_waitcnt vmcnt(0)
	v_ashrrev_i32_e32 v2, 31, v1
	s_delay_alu instid0(VALU_DEP_1) | instskip(SKIP_1) | instid1(VALU_DEP_1)
	v_lshlrev_b64 v[1:2], 2, v[1:2]
	s_waitcnt lgkmcnt(0)
	v_add_co_u32 v3, vcc_lo, s4, v1
	s_delay_alu instid0(VALU_DEP_2)
	v_add_co_ci_u32_e32 v4, vcc_lo, s5, v2, vcc_lo
	global_load_b64 v[3:4], v[3:4], off
	s_waitcnt vmcnt(0)
	v_subrev_nc_u32_e32 v6, s8, v4
	v_add_nc_u32_e32 v3, v3, v5
	v_mov_b32_e32 v5, 0
	s_delay_alu instid0(VALU_DEP_2)
	v_cmpx_lt_i32_e64 v3, v6
	s_cbranch_execz .LBB119_10
; %bb.7:
	s_clause 0x1
	s_load_b128 s[4:7], s[0:1], 0x38
	s_load_b64 s[0:1], s[0:1], 0x48
	v_mov_b32_e32 v5, 0
	s_set_inst_prefetch_distance 0x1
	.p2align	6
.LBB119_8:                              ; =>This Inner Loop Header: Depth=1
	v_ashrrev_i32_e32 v4, 31, v3
	s_delay_alu instid0(VALU_DEP_1) | instskip(SKIP_2) | instid1(VALU_DEP_2)
	v_lshlrev_b64 v[7:8], 2, v[3:4]
	v_lshlrev_b64 v[9:10], 1, v[3:4]
	s_waitcnt lgkmcnt(0)
	v_add_co_u32 v7, vcc_lo, s4, v7
	s_delay_alu instid0(VALU_DEP_3) | instskip(NEXT) | instid1(VALU_DEP_3)
	v_add_co_ci_u32_e32 v8, vcc_lo, s5, v8, vcc_lo
	v_add_co_u32 v9, vcc_lo, s6, v9
	s_delay_alu instid0(VALU_DEP_4)
	v_add_co_ci_u32_e32 v10, vcc_lo, s7, v10, vcc_lo
	global_load_b32 v7, v[7:8], off
	global_load_u16 v4, v[9:10], off
	s_waitcnt vmcnt(1)
	v_subrev_nc_u32_e32 v7, s8, v7
	s_waitcnt vmcnt(0)
	v_cvt_f32_f16_e32 v4, v4
	v_add_nc_u32_e32 v3, 64, v3
	s_delay_alu instid0(VALU_DEP_3) | instskip(NEXT) | instid1(VALU_DEP_3)
	v_ashrrev_i32_e32 v8, 31, v7
	v_mul_f32_e32 v4, s10, v4
	s_delay_alu instid0(VALU_DEP_2) | instskip(NEXT) | instid1(VALU_DEP_1)
	v_lshlrev_b64 v[7:8], 1, v[7:8]
	v_add_co_u32 v7, vcc_lo, s0, v7
	s_delay_alu instid0(VALU_DEP_2)
	v_add_co_ci_u32_e32 v8, vcc_lo, s1, v8, vcc_lo
	v_cmp_ge_i32_e32 vcc_lo, v3, v6
	global_load_u16 v7, v[7:8], off
	s_or_b32 s15, vcc_lo, s15
	s_waitcnt vmcnt(0)
	v_fma_mix_f32 v5, v4, v7, v5 op_sel_hi:[0,1,0]
	s_and_not1_b32 exec_lo, exec_lo, s15
	s_cbranch_execnz .LBB119_8
; %bb.9:
	s_set_inst_prefetch_distance 0x2
	s_or_b32 exec_lo, exec_lo, s15
.LBB119_10:
	s_delay_alu instid0(SALU_CYCLE_1) | instskip(SKIP_1) | instid1(VALU_DEP_1)
	s_or_b32 exec_lo, exec_lo, s3
	v_mbcnt_lo_u32_b32 v3, -1, 0
	v_or_b32_e32 v4, 32, v3
	v_xor_b32_e32 v6, 16, v3
	s_delay_alu instid0(VALU_DEP_2) | instskip(SKIP_1) | instid1(VALU_DEP_3)
	v_cmp_gt_i32_e32 vcc_lo, 32, v4
	v_cndmask_b32_e32 v4, v3, v4, vcc_lo
	v_cmp_gt_i32_e32 vcc_lo, 32, v6
	s_delay_alu instid0(VALU_DEP_2)
	v_lshlrev_b32_e32 v4, 2, v4
	v_cndmask_b32_e32 v6, v3, v6, vcc_lo
	ds_bpermute_b32 v4, v4, v5
	v_lshlrev_b32_e32 v6, 2, v6
	s_waitcnt lgkmcnt(0)
	v_add_f32_e32 v4, v5, v4
	ds_bpermute_b32 v5, v6, v4
	v_xor_b32_e32 v6, 8, v3
	s_delay_alu instid0(VALU_DEP_1) | instskip(SKIP_1) | instid1(VALU_DEP_1)
	v_cmp_gt_i32_e32 vcc_lo, 32, v6
	v_cndmask_b32_e32 v6, v3, v6, vcc_lo
	v_lshlrev_b32_e32 v6, 2, v6
	s_waitcnt lgkmcnt(0)
	v_add_f32_e32 v4, v4, v5
	ds_bpermute_b32 v5, v6, v4
	v_xor_b32_e32 v6, 4, v3
	s_delay_alu instid0(VALU_DEP_1) | instskip(SKIP_1) | instid1(VALU_DEP_1)
	v_cmp_gt_i32_e32 vcc_lo, 32, v6
	v_cndmask_b32_e32 v6, v3, v6, vcc_lo
	;; [unrolled: 8-line block ×3, first 2 shown]
	v_lshlrev_b32_e32 v6, 2, v6
	s_waitcnt lgkmcnt(0)
	v_add_f32_e32 v4, v4, v5
	ds_bpermute_b32 v5, v6, v4
	v_xor_b32_e32 v6, 1, v3
	s_delay_alu instid0(VALU_DEP_1) | instskip(SKIP_3) | instid1(VALU_DEP_2)
	v_cmp_gt_i32_e32 vcc_lo, 32, v6
	v_cndmask_b32_e32 v6, v3, v6, vcc_lo
	v_cmp_eq_u32_e32 vcc_lo, 63, v0
	s_waitcnt lgkmcnt(0)
	v_dual_add_f32 v3, v4, v5 :: v_dual_lshlrev_b32 v4, 2, v6
	ds_bpermute_b32 v4, v4, v3
	s_and_b32 exec_lo, exec_lo, vcc_lo
	s_cbranch_execz .LBB119_14
; %bb.11:
	v_cmp_eq_f32_e64 s0, s2, 0
	s_waitcnt lgkmcnt(0)
	v_add_f32_e32 v0, v3, v4
	s_delay_alu instid0(VALU_DEP_2)
	s_and_b32 vcc_lo, exec_lo, s0
	s_cbranch_vccnz .LBB119_13
; %bb.12:
	v_add_co_u32 v3, vcc_lo, s12, v1
	v_add_co_ci_u32_e32 v4, vcc_lo, s13, v2, vcc_lo
	global_load_b32 v3, v[3:4], off
	s_waitcnt vmcnt(0)
	v_fmac_f32_e32 v0, s2, v3
.LBB119_13:
	v_add_co_u32 v1, vcc_lo, s12, v1
	v_add_co_ci_u32_e32 v2, vcc_lo, s13, v2, vcc_lo
	global_store_b32 v[1:2], v0, off
.LBB119_14:
	s_nop 0
	s_sendmsg sendmsg(MSG_DEALLOC_VGPRS)
	s_endpgm
	.section	.rodata,"a",@progbits
	.p2align	6, 0x0
	.amdhsa_kernel _ZN9rocsparseL41csrmvn_lrb_medium_rows_warp_reduce_kernelILj256ELj64EiiDF16_DF16_ffEEvbT1_lPT2_S3_jNS_24const_host_device_scalarIT6_EEPKS1_PKS2_PKT3_PKT4_S6_PT5_21rocsparse_index_base_b
		.amdhsa_group_segment_fixed_size 0
		.amdhsa_private_segment_fixed_size 0
		.amdhsa_kernarg_size 104
		.amdhsa_user_sgpr_count 15
		.amdhsa_user_sgpr_dispatch_ptr 0
		.amdhsa_user_sgpr_queue_ptr 0
		.amdhsa_user_sgpr_kernarg_segment_ptr 1
		.amdhsa_user_sgpr_dispatch_id 0
		.amdhsa_user_sgpr_private_segment_size 0
		.amdhsa_wavefront_size32 1
		.amdhsa_uses_dynamic_stack 0
		.amdhsa_enable_private_segment 0
		.amdhsa_system_sgpr_workgroup_id_x 1
		.amdhsa_system_sgpr_workgroup_id_y 0
		.amdhsa_system_sgpr_workgroup_id_z 0
		.amdhsa_system_sgpr_workgroup_info 0
		.amdhsa_system_vgpr_workitem_id 0
		.amdhsa_next_free_vgpr 11
		.amdhsa_next_free_sgpr 16
		.amdhsa_reserve_vcc 1
		.amdhsa_float_round_mode_32 0
		.amdhsa_float_round_mode_16_64 0
		.amdhsa_float_denorm_mode_32 3
		.amdhsa_float_denorm_mode_16_64 3
		.amdhsa_dx10_clamp 1
		.amdhsa_ieee_mode 1
		.amdhsa_fp16_overflow 0
		.amdhsa_workgroup_processor_mode 1
		.amdhsa_memory_ordered 1
		.amdhsa_forward_progress 0
		.amdhsa_shared_vgpr_count 0
		.amdhsa_exception_fp_ieee_invalid_op 0
		.amdhsa_exception_fp_denorm_src 0
		.amdhsa_exception_fp_ieee_div_zero 0
		.amdhsa_exception_fp_ieee_overflow 0
		.amdhsa_exception_fp_ieee_underflow 0
		.amdhsa_exception_fp_ieee_inexact 0
		.amdhsa_exception_int_div_zero 0
	.end_amdhsa_kernel
	.section	.text._ZN9rocsparseL41csrmvn_lrb_medium_rows_warp_reduce_kernelILj256ELj64EiiDF16_DF16_ffEEvbT1_lPT2_S3_jNS_24const_host_device_scalarIT6_EEPKS1_PKS2_PKT3_PKT4_S6_PT5_21rocsparse_index_base_b,"axG",@progbits,_ZN9rocsparseL41csrmvn_lrb_medium_rows_warp_reduce_kernelILj256ELj64EiiDF16_DF16_ffEEvbT1_lPT2_S3_jNS_24const_host_device_scalarIT6_EEPKS1_PKS2_PKT3_PKT4_S6_PT5_21rocsparse_index_base_b,comdat
.Lfunc_end119:
	.size	_ZN9rocsparseL41csrmvn_lrb_medium_rows_warp_reduce_kernelILj256ELj64EiiDF16_DF16_ffEEvbT1_lPT2_S3_jNS_24const_host_device_scalarIT6_EEPKS1_PKS2_PKT3_PKT4_S6_PT5_21rocsparse_index_base_b, .Lfunc_end119-_ZN9rocsparseL41csrmvn_lrb_medium_rows_warp_reduce_kernelILj256ELj64EiiDF16_DF16_ffEEvbT1_lPT2_S3_jNS_24const_host_device_scalarIT6_EEPKS1_PKS2_PKT3_PKT4_S6_PT5_21rocsparse_index_base_b
                                        ; -- End function
	.section	.AMDGPU.csdata,"",@progbits
; Kernel info:
; codeLenInByte = 908
; NumSgprs: 18
; NumVgprs: 11
; ScratchSize: 0
; MemoryBound: 0
; FloatMode: 240
; IeeeMode: 1
; LDSByteSize: 0 bytes/workgroup (compile time only)
; SGPRBlocks: 2
; VGPRBlocks: 1
; NumSGPRsForWavesPerEU: 18
; NumVGPRsForWavesPerEU: 11
; Occupancy: 16
; WaveLimiterHint : 1
; COMPUTE_PGM_RSRC2:SCRATCH_EN: 0
; COMPUTE_PGM_RSRC2:USER_SGPR: 15
; COMPUTE_PGM_RSRC2:TRAP_HANDLER: 0
; COMPUTE_PGM_RSRC2:TGID_X_EN: 1
; COMPUTE_PGM_RSRC2:TGID_Y_EN: 0
; COMPUTE_PGM_RSRC2:TGID_Z_EN: 0
; COMPUTE_PGM_RSRC2:TIDIG_COMP_CNT: 0
	.section	.text._ZN9rocsparseL29csrmvn_lrb_medium_rows_kernelILj256EiiDF16_DF16_ffEEvbT0_PT1_S3_jNS_24const_host_device_scalarIT5_EEPKS1_PKS2_PKT2_PKT3_S6_PT4_21rocsparse_index_base_b,"axG",@progbits,_ZN9rocsparseL29csrmvn_lrb_medium_rows_kernelILj256EiiDF16_DF16_ffEEvbT0_PT1_S3_jNS_24const_host_device_scalarIT5_EEPKS1_PKS2_PKT2_PKT3_S6_PT4_21rocsparse_index_base_b,comdat
	.globl	_ZN9rocsparseL29csrmvn_lrb_medium_rows_kernelILj256EiiDF16_DF16_ffEEvbT0_PT1_S3_jNS_24const_host_device_scalarIT5_EEPKS1_PKS2_PKT2_PKT3_S6_PT4_21rocsparse_index_base_b ; -- Begin function _ZN9rocsparseL29csrmvn_lrb_medium_rows_kernelILj256EiiDF16_DF16_ffEEvbT0_PT1_S3_jNS_24const_host_device_scalarIT5_EEPKS1_PKS2_PKT2_PKT3_S6_PT4_21rocsparse_index_base_b
	.p2align	8
	.type	_ZN9rocsparseL29csrmvn_lrb_medium_rows_kernelILj256EiiDF16_DF16_ffEEvbT0_PT1_S3_jNS_24const_host_device_scalarIT5_EEPKS1_PKS2_PKT2_PKT3_S6_PT4_21rocsparse_index_base_b,@function
_ZN9rocsparseL29csrmvn_lrb_medium_rows_kernelILj256EiiDF16_DF16_ffEEvbT0_PT1_S3_jNS_24const_host_device_scalarIT5_EEPKS1_PKS2_PKT2_PKT3_S6_PT4_21rocsparse_index_base_b: ; @_ZN9rocsparseL29csrmvn_lrb_medium_rows_kernelILj256EiiDF16_DF16_ffEEvbT0_PT1_S3_jNS_24const_host_device_scalarIT5_EEPKS1_PKS2_PKT2_PKT3_S6_PT4_21rocsparse_index_base_b
; %bb.0:
	s_clause 0x2
	s_load_b64 s[12:13], s[0:1], 0x58
	s_load_b64 s[16:17], s[0:1], 0x20
	;; [unrolled: 1-line block ×3, first 2 shown]
	s_waitcnt lgkmcnt(0)
	s_bitcmp1_b32 s13, 0
	s_cselect_b32 s4, -1, 0
	s_delay_alu instid0(SALU_CYCLE_1)
	s_and_b32 vcc_lo, exec_lo, s4
	s_xor_b32 s4, s4, -1
	s_cbranch_vccnz .LBB120_2
; %bb.1:
	s_load_b32 s16, s[16:17], 0x0
.LBB120_2:
	s_and_not1_b32 vcc_lo, exec_lo, s4
	s_cbranch_vccnz .LBB120_4
; %bb.3:
	s_load_b32 s2, s[2:3], 0x0
.LBB120_4:
	s_waitcnt lgkmcnt(0)
	v_cmp_neq_f32_e64 s3, s16, 0
	v_cmp_neq_f32_e64 s4, s2, 1.0
	s_mov_b32 s5, 0
	s_delay_alu instid0(VALU_DEP_1) | instskip(NEXT) | instid1(SALU_CYCLE_1)
	s_or_b32 s3, s3, s4
	s_and_not1_b32 vcc_lo, exec_lo, s3
	s_cbranch_vccnz .LBB120_29
; %bb.5:
	s_clause 0x1
	s_load_b32 s4, s[0:1], 0x18
	s_load_b128 s[8:11], s[0:1], 0x8
	v_subrev_nc_u32_e32 v1, s12, v0
	v_mov_b32_e32 v3, 0
	s_waitcnt lgkmcnt(0)
	s_lshl_b64 s[4:5], s[4:5], 2
	s_delay_alu instid0(SALU_CYCLE_1)
	s_add_u32 s4, s10, s4
	s_addc_u32 s5, s11, s5
	s_load_b32 s3, s[4:5], 0x0
	s_waitcnt lgkmcnt(0)
	s_add_i32 s4, s3, s15
	s_mov_b32 s3, exec_lo
	s_ashr_i32 s5, s4, 31
	s_delay_alu instid0(SALU_CYCLE_1) | instskip(NEXT) | instid1(SALU_CYCLE_1)
	s_lshl_b64 s[4:5], s[4:5], 2
	s_add_u32 s4, s8, s4
	s_addc_u32 s5, s9, s5
	s_load_b32 s4, s[4:5], 0x0
	s_load_b64 s[6:7], s[0:1], 0x28
	s_waitcnt lgkmcnt(0)
	s_ashr_i32 s5, s4, 31
	s_delay_alu instid0(SALU_CYCLE_1) | instskip(NEXT) | instid1(SALU_CYCLE_1)
	s_lshl_b64 s[8:9], s[4:5], 2
	s_add_u32 s4, s6, s8
	s_addc_u32 s5, s7, s9
	s_load_b64 s[4:5], s[4:5], 0x0
	s_load_b64 s[10:11], s[0:1], 0x50
	s_waitcnt lgkmcnt(0)
	v_add_nc_u32_e32 v1, s4, v1
	s_sub_i32 s13, s5, s12
	s_delay_alu instid0(VALU_DEP_1) | instid1(SALU_CYCLE_1)
	v_cmpx_gt_i32_e64 s13, v1
	s_cbranch_execz .LBB120_9
; %bb.6:
	s_clause 0x1
	s_load_b128 s[4:7], s[0:1], 0x30
	s_load_b64 s[0:1], s[0:1], 0x40
	v_mov_b32_e32 v3, 0
	s_mov_b32 s14, 0
	s_set_inst_prefetch_distance 0x1
	.p2align	6
.LBB120_7:                              ; =>This Inner Loop Header: Depth=1
	v_ashrrev_i32_e32 v2, 31, v1
	s_delay_alu instid0(VALU_DEP_1) | instskip(SKIP_2) | instid1(VALU_DEP_2)
	v_lshlrev_b64 v[4:5], 2, v[1:2]
	v_lshlrev_b64 v[6:7], 1, v[1:2]
	s_waitcnt lgkmcnt(0)
	v_add_co_u32 v4, vcc_lo, s4, v4
	s_delay_alu instid0(VALU_DEP_3) | instskip(NEXT) | instid1(VALU_DEP_3)
	v_add_co_ci_u32_e32 v5, vcc_lo, s5, v5, vcc_lo
	v_add_co_u32 v6, vcc_lo, s6, v6
	s_delay_alu instid0(VALU_DEP_4)
	v_add_co_ci_u32_e32 v7, vcc_lo, s7, v7, vcc_lo
	global_load_b32 v4, v[4:5], off
	global_load_u16 v2, v[6:7], off
	s_waitcnt vmcnt(1)
	v_subrev_nc_u32_e32 v4, s12, v4
	s_waitcnt vmcnt(0)
	v_cvt_f32_f16_e32 v2, v2
	v_add_nc_u32_e32 v1, 0x100, v1
	s_delay_alu instid0(VALU_DEP_3) | instskip(NEXT) | instid1(VALU_DEP_3)
	v_ashrrev_i32_e32 v5, 31, v4
	v_mul_f32_e32 v2, s16, v2
	s_delay_alu instid0(VALU_DEP_2) | instskip(NEXT) | instid1(VALU_DEP_1)
	v_lshlrev_b64 v[4:5], 1, v[4:5]
	v_add_co_u32 v4, vcc_lo, s0, v4
	s_delay_alu instid0(VALU_DEP_2)
	v_add_co_ci_u32_e32 v5, vcc_lo, s1, v5, vcc_lo
	v_cmp_le_i32_e32 vcc_lo, s13, v1
	global_load_u16 v4, v[4:5], off
	s_or_b32 s14, vcc_lo, s14
	s_waitcnt vmcnt(0)
	v_fma_mix_f32 v3, v2, v4, v3 op_sel_hi:[0,1,0]
	s_and_not1_b32 exec_lo, exec_lo, s14
	s_cbranch_execnz .LBB120_7
; %bb.8:
	s_set_inst_prefetch_distance 0x2
	s_or_b32 exec_lo, exec_lo, s14
.LBB120_9:
	s_delay_alu instid0(SALU_CYCLE_1)
	s_or_b32 exec_lo, exec_lo, s3
	v_lshlrev_b32_e32 v1, 2, v0
	s_mov_b32 s0, exec_lo
	ds_store_b32 v1, v3
	s_waitcnt lgkmcnt(0)
	s_barrier
	buffer_gl0_inv
	v_cmpx_gt_u32_e32 0x80, v0
	s_cbranch_execz .LBB120_11
; %bb.10:
	ds_load_2addr_stride64_b32 v[2:3], v1 offset1:2
	s_waitcnt lgkmcnt(0)
	v_add_f32_e32 v2, v2, v3
	ds_store_b32 v1, v2
.LBB120_11:
	s_or_b32 exec_lo, exec_lo, s0
	s_delay_alu instid0(SALU_CYCLE_1)
	s_mov_b32 s0, exec_lo
	s_waitcnt lgkmcnt(0)
	s_barrier
	buffer_gl0_inv
	v_cmpx_gt_u32_e32 64, v0
	s_cbranch_execz .LBB120_13
; %bb.12:
	ds_load_2addr_stride64_b32 v[2:3], v1 offset1:1
	s_waitcnt lgkmcnt(0)
	v_add_f32_e32 v2, v2, v3
	ds_store_b32 v1, v2
.LBB120_13:
	s_or_b32 exec_lo, exec_lo, s0
	s_delay_alu instid0(SALU_CYCLE_1)
	s_mov_b32 s0, exec_lo
	s_waitcnt lgkmcnt(0)
	s_barrier
	buffer_gl0_inv
	v_cmpx_gt_u32_e32 32, v0
	s_cbranch_execz .LBB120_15
; %bb.14:
	ds_load_2addr_b32 v[2:3], v1 offset1:32
	s_waitcnt lgkmcnt(0)
	v_add_f32_e32 v2, v2, v3
	ds_store_b32 v1, v2
.LBB120_15:
	s_or_b32 exec_lo, exec_lo, s0
	s_delay_alu instid0(SALU_CYCLE_1)
	s_mov_b32 s0, exec_lo
	s_waitcnt lgkmcnt(0)
	s_barrier
	buffer_gl0_inv
	v_cmpx_gt_u32_e32 16, v0
	s_cbranch_execz .LBB120_17
; %bb.16:
	ds_load_2addr_b32 v[2:3], v1 offset1:16
	s_waitcnt lgkmcnt(0)
	v_add_f32_e32 v2, v2, v3
	ds_store_b32 v1, v2
.LBB120_17:
	;; [unrolled: 14-line block ×5, first 2 shown]
	s_or_b32 exec_lo, exec_lo, s0
	v_cmp_eq_u32_e32 vcc_lo, 0, v0
	s_waitcnt lgkmcnt(0)
	s_barrier
	buffer_gl0_inv
	s_and_saveexec_b32 s0, vcc_lo
	s_cbranch_execz .LBB120_25
; %bb.24:
	v_mov_b32_e32 v2, 0
	ds_load_b64 v[0:1], v2
	s_waitcnt lgkmcnt(0)
	v_add_f32_e32 v0, v0, v1
	ds_store_b32 v2, v0
.LBB120_25:
	s_or_b32 exec_lo, exec_lo, s0
	s_waitcnt lgkmcnt(0)
	s_barrier
	buffer_gl0_inv
	s_and_saveexec_b32 s0, vcc_lo
	s_cbranch_execz .LBB120_29
; %bb.26:
	v_mov_b32_e32 v0, 0
	v_cmp_eq_f32_e64 s0, s2, 0
	ds_load_b32 v1, v0
	s_and_b32 vcc_lo, exec_lo, s0
	s_cbranch_vccnz .LBB120_28
; %bb.27:
	s_add_u32 s0, s10, s8
	s_addc_u32 s1, s11, s9
	s_load_b32 s0, s[0:1], 0x0
	s_waitcnt lgkmcnt(0)
	v_fmac_f32_e64 v1, s2, s0
.LBB120_28:
	s_add_u32 s0, s10, s8
	s_addc_u32 s1, s11, s9
	s_waitcnt lgkmcnt(0)
	global_store_b32 v0, v1, s[0:1]
.LBB120_29:
	s_nop 0
	s_sendmsg sendmsg(MSG_DEALLOC_VGPRS)
	s_endpgm
	.section	.rodata,"a",@progbits
	.p2align	6, 0x0
	.amdhsa_kernel _ZN9rocsparseL29csrmvn_lrb_medium_rows_kernelILj256EiiDF16_DF16_ffEEvbT0_PT1_S3_jNS_24const_host_device_scalarIT5_EEPKS1_PKS2_PKT2_PKT3_S6_PT4_21rocsparse_index_base_b
		.amdhsa_group_segment_fixed_size 1024
		.amdhsa_private_segment_fixed_size 0
		.amdhsa_kernarg_size 96
		.amdhsa_user_sgpr_count 15
		.amdhsa_user_sgpr_dispatch_ptr 0
		.amdhsa_user_sgpr_queue_ptr 0
		.amdhsa_user_sgpr_kernarg_segment_ptr 1
		.amdhsa_user_sgpr_dispatch_id 0
		.amdhsa_user_sgpr_private_segment_size 0
		.amdhsa_wavefront_size32 1
		.amdhsa_uses_dynamic_stack 0
		.amdhsa_enable_private_segment 0
		.amdhsa_system_sgpr_workgroup_id_x 1
		.amdhsa_system_sgpr_workgroup_id_y 0
		.amdhsa_system_sgpr_workgroup_id_z 0
		.amdhsa_system_sgpr_workgroup_info 0
		.amdhsa_system_vgpr_workitem_id 0
		.amdhsa_next_free_vgpr 8
		.amdhsa_next_free_sgpr 18
		.amdhsa_reserve_vcc 1
		.amdhsa_float_round_mode_32 0
		.amdhsa_float_round_mode_16_64 0
		.amdhsa_float_denorm_mode_32 3
		.amdhsa_float_denorm_mode_16_64 3
		.amdhsa_dx10_clamp 1
		.amdhsa_ieee_mode 1
		.amdhsa_fp16_overflow 0
		.amdhsa_workgroup_processor_mode 1
		.amdhsa_memory_ordered 1
		.amdhsa_forward_progress 0
		.amdhsa_shared_vgpr_count 0
		.amdhsa_exception_fp_ieee_invalid_op 0
		.amdhsa_exception_fp_denorm_src 0
		.amdhsa_exception_fp_ieee_div_zero 0
		.amdhsa_exception_fp_ieee_overflow 0
		.amdhsa_exception_fp_ieee_underflow 0
		.amdhsa_exception_fp_ieee_inexact 0
		.amdhsa_exception_int_div_zero 0
	.end_amdhsa_kernel
	.section	.text._ZN9rocsparseL29csrmvn_lrb_medium_rows_kernelILj256EiiDF16_DF16_ffEEvbT0_PT1_S3_jNS_24const_host_device_scalarIT5_EEPKS1_PKS2_PKT2_PKT3_S6_PT4_21rocsparse_index_base_b,"axG",@progbits,_ZN9rocsparseL29csrmvn_lrb_medium_rows_kernelILj256EiiDF16_DF16_ffEEvbT0_PT1_S3_jNS_24const_host_device_scalarIT5_EEPKS1_PKS2_PKT2_PKT3_S6_PT4_21rocsparse_index_base_b,comdat
.Lfunc_end120:
	.size	_ZN9rocsparseL29csrmvn_lrb_medium_rows_kernelILj256EiiDF16_DF16_ffEEvbT0_PT1_S3_jNS_24const_host_device_scalarIT5_EEPKS1_PKS2_PKT2_PKT3_S6_PT4_21rocsparse_index_base_b, .Lfunc_end120-_ZN9rocsparseL29csrmvn_lrb_medium_rows_kernelILj256EiiDF16_DF16_ffEEvbT0_PT1_S3_jNS_24const_host_device_scalarIT5_EEPKS1_PKS2_PKT2_PKT3_S6_PT4_21rocsparse_index_base_b
                                        ; -- End function
	.section	.AMDGPU.csdata,"",@progbits
; Kernel info:
; codeLenInByte = 1120
; NumSgprs: 20
; NumVgprs: 8
; ScratchSize: 0
; MemoryBound: 0
; FloatMode: 240
; IeeeMode: 1
; LDSByteSize: 1024 bytes/workgroup (compile time only)
; SGPRBlocks: 2
; VGPRBlocks: 0
; NumSGPRsForWavesPerEU: 20
; NumVGPRsForWavesPerEU: 8
; Occupancy: 16
; WaveLimiterHint : 1
; COMPUTE_PGM_RSRC2:SCRATCH_EN: 0
; COMPUTE_PGM_RSRC2:USER_SGPR: 15
; COMPUTE_PGM_RSRC2:TRAP_HANDLER: 0
; COMPUTE_PGM_RSRC2:TGID_X_EN: 1
; COMPUTE_PGM_RSRC2:TGID_Y_EN: 0
; COMPUTE_PGM_RSRC2:TGID_Z_EN: 0
; COMPUTE_PGM_RSRC2:TIDIG_COMP_CNT: 0
	.section	.text._ZN9rocsparseL27csrmvn_lrb_long_rows_kernelIiiDF16_DF16_ffEEvbT_PjPT0_S4_jNS_24const_host_device_scalarIT4_EEPKS1_PKS3_PKT1_PKT2_S7_PT3_21rocsparse_index_base_b,"axG",@progbits,_ZN9rocsparseL27csrmvn_lrb_long_rows_kernelIiiDF16_DF16_ffEEvbT_PjPT0_S4_jNS_24const_host_device_scalarIT4_EEPKS1_PKS3_PKT1_PKT2_S7_PT3_21rocsparse_index_base_b,comdat
	.globl	_ZN9rocsparseL27csrmvn_lrb_long_rows_kernelIiiDF16_DF16_ffEEvbT_PjPT0_S4_jNS_24const_host_device_scalarIT4_EEPKS1_PKS3_PKT1_PKT2_S7_PT3_21rocsparse_index_base_b ; -- Begin function _ZN9rocsparseL27csrmvn_lrb_long_rows_kernelIiiDF16_DF16_ffEEvbT_PjPT0_S4_jNS_24const_host_device_scalarIT4_EEPKS1_PKS3_PKT1_PKT2_S7_PT3_21rocsparse_index_base_b
	.p2align	8
	.type	_ZN9rocsparseL27csrmvn_lrb_long_rows_kernelIiiDF16_DF16_ffEEvbT_PjPT0_S4_jNS_24const_host_device_scalarIT4_EEPKS1_PKS3_PKT1_PKT2_S7_PT3_21rocsparse_index_base_b,@function
_ZN9rocsparseL27csrmvn_lrb_long_rows_kernelIiiDF16_DF16_ffEEvbT_PjPT0_S4_jNS_24const_host_device_scalarIT4_EEPKS1_PKS3_PKT1_PKT2_S7_PT3_21rocsparse_index_base_b: ; @_ZN9rocsparseL27csrmvn_lrb_long_rows_kernelIiiDF16_DF16_ffEEvbT_PjPT0_S4_jNS_24const_host_device_scalarIT4_EEPKS1_PKS3_PKT1_PKT2_S7_PT3_21rocsparse_index_base_b
; %bb.0:
	s_mov_b32 s8, s15
	s_clause 0x2
	s_load_b64 s[14:15], s[0:1], 0x60
	s_load_b64 s[16:17], s[0:1], 0x28
	;; [unrolled: 1-line block ×3, first 2 shown]
	s_waitcnt lgkmcnt(0)
	s_bitcmp1_b32 s15, 0
	s_cselect_b32 s4, -1, 0
	s_delay_alu instid0(SALU_CYCLE_1)
	s_and_b32 vcc_lo, exec_lo, s4
	s_xor_b32 s4, s4, -1
	s_cbranch_vccnz .LBB121_2
; %bb.1:
	s_load_b32 s16, s[16:17], 0x0
.LBB121_2:
	s_and_not1_b32 vcc_lo, exec_lo, s4
	s_cbranch_vccnz .LBB121_4
; %bb.3:
	s_load_b32 s2, s[2:3], 0x0
.LBB121_4:
	s_waitcnt lgkmcnt(0)
	v_cmp_neq_f32_e64 s3, s16, 0
	v_cmp_neq_f32_e64 s4, s2, 1.0
	s_mov_b32 s5, 0
	s_delay_alu instid0(VALU_DEP_1) | instskip(NEXT) | instid1(SALU_CYCLE_1)
	s_or_b32 s3, s3, s4
	s_and_not1_b32 vcc_lo, exec_lo, s3
	s_cbranch_vccnz .LBB121_39
; %bb.5:
	s_clause 0x1
	s_load_b32 s4, s[0:1], 0x20
	s_load_b64 s[6:7], s[0:1], 0x18
	v_mov_b32_e32 v3, 0
	s_waitcnt lgkmcnt(0)
	s_lshl_b64 s[10:11], s[4:5], 2
	s_delay_alu instid0(SALU_CYCLE_1) | instskip(SKIP_4) | instid1(SALU_CYCLE_1)
	s_add_u32 s6, s6, s10
	s_addc_u32 s7, s7, s11
	s_lshl_b32 s3, -1, s4
	s_load_b32 s10, s[6:7], 0x0
	s_not_b32 s3, s3
	s_mul_hi_u32 s3, s3, 0x2aaaaaab
	s_delay_alu instid0(SALU_CYCLE_1) | instskip(NEXT) | instid1(SALU_CYCLE_1)
	s_lshr_b32 s3, s3, 7
	s_add_i32 s9, s3, 1
	s_not_b32 s3, s3
	v_cvt_f32_u32_e32 v1, s9
	s_delay_alu instid0(VALU_DEP_1) | instskip(SKIP_2) | instid1(VALU_DEP_1)
	v_rcp_iflag_f32_e32 v1, v1
	s_waitcnt_depctr 0xfff
	v_mul_f32_e32 v1, 0x4f7ffffe, v1
	v_cvt_u32_f32_e32 v1, v1
	s_delay_alu instid0(VALU_DEP_1) | instskip(NEXT) | instid1(VALU_DEP_1)
	v_readfirstlane_b32 s4, v1
	s_mul_i32 s3, s3, s4
	s_delay_alu instid0(SALU_CYCLE_1) | instskip(NEXT) | instid1(SALU_CYCLE_1)
	s_mul_hi_u32 s3, s4, s3
	s_add_i32 s4, s4, s3
	s_delay_alu instid0(SALU_CYCLE_1) | instskip(SKIP_4) | instid1(SALU_CYCLE_1)
	s_mul_hi_u32 s3, s8, s4
	s_load_b128 s[4:7], s[0:1], 0x8
	s_mul_i32 s11, s3, s9
	s_add_i32 s12, s3, 1
	s_sub_i32 s11, s8, s11
	s_sub_i32 s13, s11, s9
	s_cmp_ge_u32 s11, s9
	s_cselect_b32 s3, s12, s3
	s_cselect_b32 s11, s13, s11
	s_add_i32 s12, s3, 1
	s_cmp_ge_u32 s11, s9
	s_cselect_b32 s3, s12, s3
	s_waitcnt lgkmcnt(0)
	s_add_i32 s10, s3, s10
	s_mul_i32 s12, s3, s9
	s_ashr_i32 s11, s10, 31
	s_sub_i32 s17, s8, s12
	s_lshl_b64 s[10:11], s[10:11], 2
	v_or_b32_e32 v1, s17, v0
	s_add_u32 s6, s6, s10
	s_addc_u32 s7, s7, s11
	s_load_b32 s6, s[6:7], 0x0
	s_load_b64 s[10:11], s[0:1], 0x30
	s_mov_b32 s3, exec_lo
	s_waitcnt lgkmcnt(0)
	s_ashr_i32 s7, s6, 31
	s_delay_alu instid0(SALU_CYCLE_1) | instskip(NEXT) | instid1(SALU_CYCLE_1)
	s_lshl_b64 s[6:7], s[6:7], 2
	s_add_u32 s18, s10, s6
	s_addc_u32 s19, s11, s7
	s_ashr_i32 s9, s8, 31
	s_delay_alu instid0(SALU_CYCLE_1)
	s_lshl_b64 s[10:11], s[8:9], 2
	s_load_b64 s[8:9], s[0:1], 0x58
	s_add_u32 s10, s4, s10
	s_addc_u32 s11, s5, s11
	s_load_b64 s[18:19], s[18:19], 0x0
	s_load_b32 s15, s[10:11], 0x0
	v_cmpx_eq_u32_e32 0, v1
	s_cbranch_execz .LBB121_9
; %bb.6:
	s_waitcnt lgkmcnt(0)
	s_add_u32 s22, s8, s6
	s_addc_u32 s23, s9, s7
	s_mov_b32 s21, exec_lo
	s_load_b32 s20, s[22:23], 0x0
	v_mbcnt_lo_u32_b32 v2, s21, 0
	v_add_f32_e64 v1, s2, -1.0
	s_mov_b32 s2, exec_lo
	s_waitcnt vmcnt(0) expcnt(0) lgkmcnt(0)
	s_delay_alu instid0(VALU_DEP_2)
	v_cmpx_eq_u32_e32 0, v2
	s_cbranch_execz .LBB121_8
; %bb.7:
	s_ashr_i32 s13, s12, 31
	s_delay_alu instid0(SALU_CYCLE_1) | instskip(NEXT) | instid1(SALU_CYCLE_1)
	s_lshl_b64 s[22:23], s[12:13], 2
	s_add_u32 s22, s4, s22
	s_addc_u32 s23, s5, s23
	s_bcnt1_i32_b32 s13, s21
	s_delay_alu instid0(SALU_CYCLE_1) | instskip(NEXT) | instid1(SALU_CYCLE_1)
	s_and_b32 s13, s13, 1
	v_dual_mov_b32 v2, 0 :: v_dual_mov_b32 v3, s13
	global_atomic_xor_b32 v2, v3, s[22:23]
.LBB121_8:
	s_or_b32 exec_lo, exec_lo, s2
	v_mul_f32_e32 v3, s20, v1
.LBB121_9:
	s_or_b32 exec_lo, exec_lo, s3
	s_mul_i32 s2, s17, 0x300
	s_waitcnt lgkmcnt(0)
	s_sub_i32 s3, s19, s14
	s_sub_i32 s2, s2, s14
	s_mov_b32 s13, exec_lo
	s_add_i32 s2, s2, s18
	s_delay_alu instid0(SALU_CYCLE_1) | instskip(SKIP_1) | instid1(SALU_CYCLE_1)
	v_add_nc_u32_e32 v1, s2, v0
	s_addk_i32 s2, 0x300
	s_min_i32 s20, s2, s3
	s_delay_alu instid0(VALU_DEP_1) | instid1(SALU_CYCLE_1)
	v_cmpx_gt_i32_e64 s20, v1
	s_cbranch_execz .LBB121_13
; %bb.10:
	s_clause 0x1
	s_load_b64 s[18:19], s[0:1], 0x48
	s_load_b128 s[0:3], s[0:1], 0x38
	s_mov_b32 s21, 0
	s_set_inst_prefetch_distance 0x1
	.p2align	6
.LBB121_11:                             ; =>This Inner Loop Header: Depth=1
	v_ashrrev_i32_e32 v2, 31, v1
	s_delay_alu instid0(VALU_DEP_1) | instskip(SKIP_2) | instid1(VALU_DEP_2)
	v_lshlrev_b64 v[4:5], 2, v[1:2]
	v_lshlrev_b64 v[6:7], 1, v[1:2]
	s_waitcnt lgkmcnt(0)
	v_add_co_u32 v4, vcc_lo, s0, v4
	s_delay_alu instid0(VALU_DEP_3) | instskip(NEXT) | instid1(VALU_DEP_3)
	v_add_co_ci_u32_e32 v5, vcc_lo, s1, v5, vcc_lo
	v_add_co_u32 v6, vcc_lo, s2, v6
	s_delay_alu instid0(VALU_DEP_4)
	v_add_co_ci_u32_e32 v7, vcc_lo, s3, v7, vcc_lo
	global_load_b32 v4, v[4:5], off
	global_load_u16 v2, v[6:7], off
	s_waitcnt vmcnt(1)
	v_subrev_nc_u32_e32 v4, s14, v4
	s_waitcnt vmcnt(0)
	v_cvt_f32_f16_e32 v2, v2
	v_add_nc_u32_e32 v1, 0x100, v1
	s_delay_alu instid0(VALU_DEP_3) | instskip(NEXT) | instid1(VALU_DEP_3)
	v_ashrrev_i32_e32 v5, 31, v4
	v_mul_f32_e32 v2, s16, v2
	s_delay_alu instid0(VALU_DEP_2) | instskip(NEXT) | instid1(VALU_DEP_1)
	v_lshlrev_b64 v[4:5], 1, v[4:5]
	v_add_co_u32 v4, vcc_lo, s18, v4
	s_delay_alu instid0(VALU_DEP_2)
	v_add_co_ci_u32_e32 v5, vcc_lo, s19, v5, vcc_lo
	v_cmp_le_i32_e32 vcc_lo, s20, v1
	global_load_u16 v4, v[4:5], off
	s_or_b32 s21, vcc_lo, s21
	s_waitcnt vmcnt(0)
	v_fma_mix_f32 v3, v2, v4, v3 op_sel_hi:[0,1,0]
	s_and_not1_b32 exec_lo, exec_lo, s21
	s_cbranch_execnz .LBB121_11
; %bb.12:
	s_set_inst_prefetch_distance 0x2
	s_or_b32 exec_lo, exec_lo, s21
.LBB121_13:
	s_delay_alu instid0(SALU_CYCLE_1)
	s_or_b32 exec_lo, exec_lo, s13
	v_lshlrev_b32_e32 v1, 2, v0
	s_mov_b32 s0, exec_lo
	ds_store_b32 v1, v3
	s_waitcnt lgkmcnt(0)
	s_waitcnt_vscnt null, 0x0
	s_barrier
	buffer_gl0_inv
	v_cmpx_gt_u32_e32 0x80, v0
	s_cbranch_execz .LBB121_15
; %bb.14:
	ds_load_2addr_stride64_b32 v[2:3], v1 offset1:2
	s_waitcnt lgkmcnt(0)
	v_add_f32_e32 v2, v2, v3
	ds_store_b32 v1, v2
.LBB121_15:
	s_or_b32 exec_lo, exec_lo, s0
	s_delay_alu instid0(SALU_CYCLE_1)
	s_mov_b32 s0, exec_lo
	s_waitcnt lgkmcnt(0)
	s_barrier
	buffer_gl0_inv
	v_cmpx_gt_u32_e32 64, v0
	s_cbranch_execz .LBB121_17
; %bb.16:
	ds_load_2addr_stride64_b32 v[2:3], v1 offset1:1
	s_waitcnt lgkmcnt(0)
	v_add_f32_e32 v2, v2, v3
	ds_store_b32 v1, v2
.LBB121_17:
	s_or_b32 exec_lo, exec_lo, s0
	s_delay_alu instid0(SALU_CYCLE_1)
	s_mov_b32 s0, exec_lo
	s_waitcnt lgkmcnt(0)
	s_barrier
	buffer_gl0_inv
	v_cmpx_gt_u32_e32 32, v0
	s_cbranch_execz .LBB121_19
; %bb.18:
	ds_load_2addr_b32 v[2:3], v1 offset1:32
	s_waitcnt lgkmcnt(0)
	v_add_f32_e32 v2, v2, v3
	ds_store_b32 v1, v2
.LBB121_19:
	s_or_b32 exec_lo, exec_lo, s0
	s_delay_alu instid0(SALU_CYCLE_1)
	s_mov_b32 s0, exec_lo
	s_waitcnt lgkmcnt(0)
	s_barrier
	buffer_gl0_inv
	v_cmpx_gt_u32_e32 16, v0
	s_cbranch_execz .LBB121_21
; %bb.20:
	ds_load_2addr_b32 v[2:3], v1 offset1:16
	s_waitcnt lgkmcnt(0)
	v_add_f32_e32 v2, v2, v3
	ds_store_b32 v1, v2
.LBB121_21:
	s_or_b32 exec_lo, exec_lo, s0
	s_delay_alu instid0(SALU_CYCLE_1)
	s_mov_b32 s0, exec_lo
	s_waitcnt lgkmcnt(0)
	s_barrier
	buffer_gl0_inv
	v_cmpx_gt_u32_e32 8, v0
	s_cbranch_execz .LBB121_23
; %bb.22:
	ds_load_2addr_b32 v[2:3], v1 offset1:8
	s_waitcnt lgkmcnt(0)
	v_add_f32_e32 v2, v2, v3
	ds_store_b32 v1, v2
.LBB121_23:
	s_or_b32 exec_lo, exec_lo, s0
	s_delay_alu instid0(SALU_CYCLE_1)
	s_mov_b32 s0, exec_lo
	s_waitcnt lgkmcnt(0)
	s_barrier
	buffer_gl0_inv
	v_cmpx_gt_u32_e32 4, v0
	s_cbranch_execz .LBB121_25
; %bb.24:
	ds_load_2addr_b32 v[2:3], v1 offset1:4
	s_waitcnt lgkmcnt(0)
	v_add_f32_e32 v2, v2, v3
	ds_store_b32 v1, v2
.LBB121_25:
	s_or_b32 exec_lo, exec_lo, s0
	s_delay_alu instid0(SALU_CYCLE_1)
	s_mov_b32 s0, exec_lo
	s_waitcnt lgkmcnt(0)
	s_barrier
	buffer_gl0_inv
	v_cmpx_gt_u32_e32 2, v0
	s_cbranch_execz .LBB121_27
; %bb.26:
	ds_load_2addr_b32 v[2:3], v1 offset1:2
	s_waitcnt lgkmcnt(0)
	v_add_f32_e32 v2, v2, v3
	ds_store_b32 v1, v2
.LBB121_27:
	s_or_b32 exec_lo, exec_lo, s0
	v_cmp_eq_u32_e32 vcc_lo, 0, v0
	s_waitcnt lgkmcnt(0)
	s_barrier
	buffer_gl0_inv
	s_and_saveexec_b32 s0, vcc_lo
	s_cbranch_execz .LBB121_29
; %bb.28:
	v_mov_b32_e32 v2, 0
	ds_load_b64 v[0:1], v2
	s_waitcnt lgkmcnt(0)
	v_add_f32_e32 v0, v0, v1
	ds_store_b32 v2, v0
.LBB121_29:
	s_or_b32 exec_lo, exec_lo, s0
	s_waitcnt lgkmcnt(0)
	s_barrier
	buffer_gl0_inv
	s_and_saveexec_b32 s0, vcc_lo
	s_cbranch_execz .LBB121_39
; %bb.30:
	s_cmp_eq_u32 s17, 0
	s_cbranch_scc1 .LBB121_36
; %bb.31:
	s_ashr_i32 s13, s12, 31
	v_mov_b32_e32 v0, 0
	s_lshl_b64 s[0:1], s[12:13], 2
	s_delay_alu instid0(SALU_CYCLE_1)
	s_add_u32 s0, s4, s0
	s_addc_u32 s1, s5, s1
	s_branch .LBB121_33
.LBB121_32:                             ;   in Loop: Header=BB121_33 Depth=1
	s_or_b32 exec_lo, exec_lo, s2
	s_waitcnt vmcnt(0)
	v_readfirstlane_b32 s2, v1
	s_delay_alu instid0(VALU_DEP_1)
	s_cmp_eq_u32 s2, s15
	s_cbranch_scc0 .LBB121_35
.LBB121_33:                             ; =>This Inner Loop Header: Depth=1
	v_mbcnt_lo_u32_b32 v1, exec_lo, 0
	s_delay_alu instid0(VALU_DEP_1)
	v_cmp_eq_u32_e32 vcc_lo, 0, v1
                                        ; implicit-def: $vgpr1
	s_and_saveexec_b32 s2, vcc_lo
	s_cbranch_execz .LBB121_32
; %bb.34:                               ;   in Loop: Header=BB121_33 Depth=1
	global_load_b32 v1, v0, s[0:1] glc
	s_branch .LBB121_32
.LBB121_35:
	v_mov_b32_e32 v0, 0
	global_load_b32 v1, v0, s[10:11]
	s_waitcnt vmcnt(0)
	v_xor_b32_e32 v1, 1, v1
	global_store_b32 v0, v1, s[10:11]
.LBB121_36:
	s_mov_b32 s2, exec_lo
	s_delay_alu instid0(SALU_CYCLE_1) | instskip(NEXT) | instid1(VALU_DEP_1)
	v_mbcnt_lo_u32_b32 v0, s2, 0
	v_cmp_eq_u32_e32 vcc_lo, 0, v0
	s_and_b32 s0, exec_lo, vcc_lo
	s_delay_alu instid0(SALU_CYCLE_1)
	s_mov_b32 exec_lo, s0
	s_cbranch_execz .LBB121_39
; %bb.37:
	s_add_u32 s0, s8, s6
	s_addc_u32 s1, s9, s7
	s_bcnt1_i32_b32 s2, s2
	s_delay_alu instid0(SALU_CYCLE_1)
	v_cvt_f32_ubyte0_e32 v3, s2
	v_mov_b32_e32 v2, 0
	s_mov_b32 s2, 0
	global_load_b32 v1, v2, s[0:1]
	ds_load_b32 v0, v2
	s_waitcnt lgkmcnt(0)
	v_mul_f32_e32 v3, v0, v3
.LBB121_38:                             ; =>This Inner Loop Header: Depth=1
	s_waitcnt vmcnt(0)
	s_delay_alu instid0(VALU_DEP_1)
	v_add_f32_e32 v0, v1, v3
	global_atomic_cmpswap_b32 v0, v2, v[0:1], s[0:1] glc
	s_waitcnt vmcnt(0)
	v_cmp_eq_u32_e32 vcc_lo, v0, v1
	v_mov_b32_e32 v1, v0
	s_or_b32 s2, vcc_lo, s2
	s_delay_alu instid0(SALU_CYCLE_1)
	s_and_not1_b32 exec_lo, exec_lo, s2
	s_cbranch_execnz .LBB121_38
.LBB121_39:
	s_nop 0
	s_sendmsg sendmsg(MSG_DEALLOC_VGPRS)
	s_endpgm
	.section	.rodata,"a",@progbits
	.p2align	6, 0x0
	.amdhsa_kernel _ZN9rocsparseL27csrmvn_lrb_long_rows_kernelIiiDF16_DF16_ffEEvbT_PjPT0_S4_jNS_24const_host_device_scalarIT4_EEPKS1_PKS3_PKT1_PKT2_S7_PT3_21rocsparse_index_base_b
		.amdhsa_group_segment_fixed_size 1024
		.amdhsa_private_segment_fixed_size 0
		.amdhsa_kernarg_size 104
		.amdhsa_user_sgpr_count 15
		.amdhsa_user_sgpr_dispatch_ptr 0
		.amdhsa_user_sgpr_queue_ptr 0
		.amdhsa_user_sgpr_kernarg_segment_ptr 1
		.amdhsa_user_sgpr_dispatch_id 0
		.amdhsa_user_sgpr_private_segment_size 0
		.amdhsa_wavefront_size32 1
		.amdhsa_uses_dynamic_stack 0
		.amdhsa_enable_private_segment 0
		.amdhsa_system_sgpr_workgroup_id_x 1
		.amdhsa_system_sgpr_workgroup_id_y 0
		.amdhsa_system_sgpr_workgroup_id_z 0
		.amdhsa_system_sgpr_workgroup_info 0
		.amdhsa_system_vgpr_workitem_id 0
		.amdhsa_next_free_vgpr 8
		.amdhsa_next_free_sgpr 24
		.amdhsa_reserve_vcc 1
		.amdhsa_float_round_mode_32 0
		.amdhsa_float_round_mode_16_64 0
		.amdhsa_float_denorm_mode_32 3
		.amdhsa_float_denorm_mode_16_64 3
		.amdhsa_dx10_clamp 1
		.amdhsa_ieee_mode 1
		.amdhsa_fp16_overflow 0
		.amdhsa_workgroup_processor_mode 1
		.amdhsa_memory_ordered 1
		.amdhsa_forward_progress 0
		.amdhsa_shared_vgpr_count 0
		.amdhsa_exception_fp_ieee_invalid_op 0
		.amdhsa_exception_fp_denorm_src 0
		.amdhsa_exception_fp_ieee_div_zero 0
		.amdhsa_exception_fp_ieee_overflow 0
		.amdhsa_exception_fp_ieee_underflow 0
		.amdhsa_exception_fp_ieee_inexact 0
		.amdhsa_exception_int_div_zero 0
	.end_amdhsa_kernel
	.section	.text._ZN9rocsparseL27csrmvn_lrb_long_rows_kernelIiiDF16_DF16_ffEEvbT_PjPT0_S4_jNS_24const_host_device_scalarIT4_EEPKS1_PKS3_PKT1_PKT2_S7_PT3_21rocsparse_index_base_b,"axG",@progbits,_ZN9rocsparseL27csrmvn_lrb_long_rows_kernelIiiDF16_DF16_ffEEvbT_PjPT0_S4_jNS_24const_host_device_scalarIT4_EEPKS1_PKS3_PKT1_PKT2_S7_PT3_21rocsparse_index_base_b,comdat
.Lfunc_end121:
	.size	_ZN9rocsparseL27csrmvn_lrb_long_rows_kernelIiiDF16_DF16_ffEEvbT_PjPT0_S4_jNS_24const_host_device_scalarIT4_EEPKS1_PKS3_PKT1_PKT2_S7_PT3_21rocsparse_index_base_b, .Lfunc_end121-_ZN9rocsparseL27csrmvn_lrb_long_rows_kernelIiiDF16_DF16_ffEEvbT_PjPT0_S4_jNS_24const_host_device_scalarIT4_EEPKS1_PKS3_PKT1_PKT2_S7_PT3_21rocsparse_index_base_b
                                        ; -- End function
	.section	.AMDGPU.csdata,"",@progbits
; Kernel info:
; codeLenInByte = 1640
; NumSgprs: 26
; NumVgprs: 8
; ScratchSize: 0
; MemoryBound: 0
; FloatMode: 240
; IeeeMode: 1
; LDSByteSize: 1024 bytes/workgroup (compile time only)
; SGPRBlocks: 3
; VGPRBlocks: 0
; NumSGPRsForWavesPerEU: 26
; NumVGPRsForWavesPerEU: 8
; Occupancy: 16
; WaveLimiterHint : 1
; COMPUTE_PGM_RSRC2:SCRATCH_EN: 0
; COMPUTE_PGM_RSRC2:USER_SGPR: 15
; COMPUTE_PGM_RSRC2:TRAP_HANDLER: 0
; COMPUTE_PGM_RSRC2:TGID_X_EN: 1
; COMPUTE_PGM_RSRC2:TGID_Y_EN: 0
; COMPUTE_PGM_RSRC2:TGID_Z_EN: 0
; COMPUTE_PGM_RSRC2:TIDIG_COMP_CNT: 0
	.section	.text._ZN9rocsparseL28csrmvn_lrb_short_rows_kernelIliDF16_DF16_ffEEvbT_PT0_S3_jNS_24const_host_device_scalarIT4_EEPKS1_PKS2_PKT1_PKT2_S6_PT3_21rocsparse_index_base_b,"axG",@progbits,_ZN9rocsparseL28csrmvn_lrb_short_rows_kernelIliDF16_DF16_ffEEvbT_PT0_S3_jNS_24const_host_device_scalarIT4_EEPKS1_PKS2_PKT1_PKT2_S6_PT3_21rocsparse_index_base_b,comdat
	.globl	_ZN9rocsparseL28csrmvn_lrb_short_rows_kernelIliDF16_DF16_ffEEvbT_PT0_S3_jNS_24const_host_device_scalarIT4_EEPKS1_PKS2_PKT1_PKT2_S6_PT3_21rocsparse_index_base_b ; -- Begin function _ZN9rocsparseL28csrmvn_lrb_short_rows_kernelIliDF16_DF16_ffEEvbT_PT0_S3_jNS_24const_host_device_scalarIT4_EEPKS1_PKS2_PKT1_PKT2_S6_PT3_21rocsparse_index_base_b
	.p2align	8
	.type	_ZN9rocsparseL28csrmvn_lrb_short_rows_kernelIliDF16_DF16_ffEEvbT_PT0_S3_jNS_24const_host_device_scalarIT4_EEPKS1_PKS2_PKT1_PKT2_S6_PT3_21rocsparse_index_base_b,@function
_ZN9rocsparseL28csrmvn_lrb_short_rows_kernelIliDF16_DF16_ffEEvbT_PT0_S3_jNS_24const_host_device_scalarIT4_EEPKS1_PKS2_PKT1_PKT2_S6_PT3_21rocsparse_index_base_b: ; @_ZN9rocsparseL28csrmvn_lrb_short_rows_kernelIliDF16_DF16_ffEEvbT_PT0_S3_jNS_24const_host_device_scalarIT4_EEPKS1_PKS2_PKT1_PKT2_S6_PT3_21rocsparse_index_base_b
; %bb.0:
	s_clause 0x2
	s_load_b64 s[20:21], s[0:1], 0x60
	s_load_b64 s[22:23], s[0:1], 0x28
	;; [unrolled: 1-line block ×3, first 2 shown]
	s_waitcnt lgkmcnt(0)
	s_bitcmp1_b32 s21, 0
	s_cselect_b32 s4, -1, 0
	s_delay_alu instid0(SALU_CYCLE_1)
	s_and_b32 vcc_lo, exec_lo, s4
	s_xor_b32 s4, s4, -1
	s_cbranch_vccnz .LBB122_2
; %bb.1:
	s_load_b32 s22, s[22:23], 0x0
.LBB122_2:
	s_and_not1_b32 vcc_lo, exec_lo, s4
	s_cbranch_vccnz .LBB122_4
; %bb.3:
	s_load_b32 s2, s[2:3], 0x0
.LBB122_4:
	s_waitcnt lgkmcnt(0)
	v_cmp_neq_f32_e64 s3, s22, 0
	v_cmp_neq_f32_e64 s4, s2, 1.0
	s_mov_b32 s13, 0
	s_delay_alu instid0(VALU_DEP_1) | instskip(NEXT) | instid1(SALU_CYCLE_1)
	s_or_b32 s3, s3, s4
	s_and_not1_b32 vcc_lo, exec_lo, s3
	s_cbranch_vccnz .LBB122_18
; %bb.5:
	s_clause 0x1
	s_load_b32 s12, s[0:1], 0x20
	s_load_b128 s[16:19], s[0:1], 0x10
	s_mov_b32 s7, s13
	s_waitcnt lgkmcnt(0)
	s_lshl_b64 s[4:5], s[12:13], 2
	s_delay_alu instid0(SALU_CYCLE_1) | instskip(SKIP_2) | instid1(SALU_CYCLE_1)
	s_add_u32 s4, s18, s4
	s_addc_u32 s5, s19, s5
	s_add_i32 s6, s12, 1
	s_lshl_b64 s[6:7], s[6:7], 2
	s_delay_alu instid0(SALU_CYCLE_1)
	s_add_u32 s6, s18, s6
	s_addc_u32 s7, s19, s7
	s_clause 0x1
	s_load_b32 s3, s[4:5], 0x0
	s_load_b32 s4, s[6:7], 0x0
	s_lshl_b32 s13, s15, 8
	s_delay_alu instid0(SALU_CYCLE_1) | instskip(SKIP_2) | instid1(SALU_CYCLE_1)
	s_add_i32 s5, s13, 0x100
	s_waitcnt lgkmcnt(0)
	s_sub_i32 s4, s4, s3
	s_min_u32 s14, s4, s5
	s_cmp_gt_u32 s12, 23
	s_cbranch_scc1 .LBB122_12
; %bb.6:
	s_load_b256 s[4:11], s[0:1], 0x30
	v_mov_b32_e32 v5, 0
	v_bfe_u32 v6, v0, 0, s12
	v_lshl_add_u32 v8, v0, 2, 0
	s_lshl_b32 s15, 0x100, s12
	s_mov_b32 s18, 0
	v_mov_b32_e32 v7, v5
	s_branch .LBB122_9
.LBB122_7:                              ;   in Loop: Header=BB122_9 Depth=1
	s_or_b32 exec_lo, exec_lo, s21
	ds_store_b32 v8, v3
.LBB122_8:                              ;   in Loop: Header=BB122_9 Depth=1
	s_or_b32 exec_lo, exec_lo, s19
	v_add_nc_u32_e32 v8, 0x400, v8
	s_addk_i32 s18, 0x100
	s_delay_alu instid0(SALU_CYCLE_1)
	s_cmp_ge_u32 s18, s15
	s_cbranch_scc1 .LBB122_12
.LBB122_9:                              ; =>This Inner Loop Header: Depth=1
	v_add_nc_u32_e32 v1, s18, v0
	s_mov_b32 s19, exec_lo
	s_delay_alu instid0(VALU_DEP_1) | instskip(NEXT) | instid1(VALU_DEP_1)
	v_lshrrev_b32_e32 v1, s12, v1
	v_add_nc_u32_e32 v1, s13, v1
	s_delay_alu instid0(VALU_DEP_1)
	v_cmpx_gt_u32_e64 s14, v1
	s_cbranch_execz .LBB122_8
; %bb.10:                               ;   in Loop: Header=BB122_9 Depth=1
	v_add_nc_u32_e32 v4, s3, v1
	s_delay_alu instid0(VALU_DEP_1) | instskip(NEXT) | instid1(VALU_DEP_1)
	v_lshlrev_b64 v[1:2], 2, v[4:5]
	v_add_co_u32 v1, vcc_lo, s16, v1
	s_delay_alu instid0(VALU_DEP_2) | instskip(SKIP_3) | instid1(VALU_DEP_1)
	v_add_co_ci_u32_e32 v2, vcc_lo, s17, v2, vcc_lo
	global_load_b32 v1, v[1:2], off
	s_waitcnt vmcnt(0)
	v_ashrrev_i32_e32 v2, 31, v1
	v_lshlrev_b64 v[1:2], 3, v[1:2]
	s_waitcnt lgkmcnt(0)
	s_delay_alu instid0(VALU_DEP_1) | instskip(NEXT) | instid1(VALU_DEP_2)
	v_add_co_u32 v1, vcc_lo, s4, v1
	v_add_co_ci_u32_e32 v2, vcc_lo, s5, v2, vcc_lo
	global_load_b128 v[1:4], v[1:2], off
	s_waitcnt vmcnt(0)
	v_sub_co_u32 v3, vcc_lo, v3, v1
	v_sub_co_ci_u32_e32 v4, vcc_lo, v4, v2, vcc_lo
	s_delay_alu instid0(VALU_DEP_1)
	v_cmp_gt_i64_e32 vcc_lo, v[3:4], v[6:7]
	v_mov_b32_e32 v3, 0
	s_and_saveexec_b32 s21, vcc_lo
	s_cbranch_execz .LBB122_7
; %bb.11:                               ;   in Loop: Header=BB122_9 Depth=1
	v_sub_co_u32 v1, vcc_lo, v1, s20
	v_subrev_co_ci_u32_e32 v2, vcc_lo, 0, v2, vcc_lo
	s_delay_alu instid0(VALU_DEP_2) | instskip(NEXT) | instid1(VALU_DEP_2)
	v_add_co_u32 v1, vcc_lo, v1, v6
	v_add_co_ci_u32_e32 v2, vcc_lo, 0, v2, vcc_lo
	s_delay_alu instid0(VALU_DEP_1) | instskip(SKIP_1) | instid1(VALU_DEP_2)
	v_lshlrev_b64 v[3:4], 2, v[1:2]
	v_lshlrev_b64 v[1:2], 1, v[1:2]
	v_add_co_u32 v3, vcc_lo, s6, v3
	s_delay_alu instid0(VALU_DEP_3) | instskip(NEXT) | instid1(VALU_DEP_3)
	v_add_co_ci_u32_e32 v4, vcc_lo, s7, v4, vcc_lo
	v_add_co_u32 v1, vcc_lo, s8, v1
	s_delay_alu instid0(VALU_DEP_4) | instskip(SKIP_4) | instid1(VALU_DEP_1)
	v_add_co_ci_u32_e32 v2, vcc_lo, s9, v2, vcc_lo
	global_load_b32 v3, v[3:4], off
	global_load_u16 v9, v[1:2], off
	s_waitcnt vmcnt(1)
	v_subrev_nc_u32_e32 v3, s20, v3
	v_ashrrev_i32_e32 v4, 31, v3
	s_delay_alu instid0(VALU_DEP_1) | instskip(NEXT) | instid1(VALU_DEP_1)
	v_lshlrev_b64 v[3:4], 1, v[3:4]
	v_add_co_u32 v1, vcc_lo, s10, v3
	s_delay_alu instid0(VALU_DEP_2) | instskip(SKIP_3) | instid1(VALU_DEP_1)
	v_add_co_ci_u32_e32 v2, vcc_lo, s11, v4, vcc_lo
	global_load_u16 v1, v[1:2], off
	s_waitcnt vmcnt(1)
	v_cvt_f32_f16_e32 v2, v9
	v_mul_f32_e32 v2, s22, v2
	s_waitcnt vmcnt(0)
	v_cvt_f32_f16_e32 v1, v1
	s_delay_alu instid0(VALU_DEP_1)
	v_mul_f32_e32 v3, v2, v1
	s_branch .LBB122_7
.LBB122_12:
	s_waitcnt lgkmcnt(0)
	s_sub_i32 s4, s14, s13
	s_delay_alu instid0(SALU_CYCLE_1)
	v_cmp_gt_u32_e32 vcc_lo, s4, v0
	s_barrier
	buffer_gl0_inv
	s_and_saveexec_b32 s4, vcc_lo
	s_cbranch_execz .LBB122_18
; %bb.13:
	v_add3_u32 v1, s3, s13, v0
	v_mov_b32_e32 v2, 0
	s_load_b64 s[0:1], s[0:1], 0x58
	v_lshlrev_b32_e32 v0, s12, v0
	s_mov_b32 s3, 1
	s_delay_alu instid0(VALU_DEP_2) | instskip(NEXT) | instid1(VALU_DEP_2)
	v_lshlrev_b64 v[3:4], 2, v[1:2]
	v_lshl_add_u32 v0, v0, 2, 0
	s_delay_alu instid0(VALU_DEP_2) | instskip(NEXT) | instid1(VALU_DEP_3)
	v_add_co_u32 v3, vcc_lo, s16, v3
	v_add_co_ci_u32_e32 v4, vcc_lo, s17, v4, vcc_lo
	global_load_b32 v3, v[3:4], off
.LBB122_14:                             ; =>This Inner Loop Header: Depth=1
	ds_load_b32 v1, v0
	v_add_nc_u32_e32 v0, 4, v0
	s_lshr_b32 s4, s3, s12
	s_add_i32 s3, s3, 1
	s_cmp_lg_u32 s4, 0
	s_waitcnt lgkmcnt(0)
	v_add_f32_e32 v2, v2, v1
	s_cbranch_scc0 .LBB122_14
; %bb.15:
	s_waitcnt vmcnt(0)
	v_ashrrev_i32_e32 v4, 31, v3
	v_cmp_neq_f32_e64 s3, s2, 0
	s_delay_alu instid0(VALU_DEP_2) | instskip(NEXT) | instid1(VALU_DEP_2)
	v_lshlrev_b64 v[0:1], 2, v[3:4]
	s_and_b32 vcc_lo, exec_lo, s3
	s_cbranch_vccz .LBB122_17
; %bb.16:
	s_delay_alu instid0(VALU_DEP_1) | instskip(NEXT) | instid1(VALU_DEP_2)
	v_add_co_u32 v3, vcc_lo, s0, v0
	v_add_co_ci_u32_e32 v4, vcc_lo, s1, v1, vcc_lo
	global_load_b32 v3, v[3:4], off
	s_waitcnt vmcnt(0)
	v_fmac_f32_e32 v2, s2, v3
.LBB122_17:
	s_delay_alu instid0(VALU_DEP_1) | instskip(NEXT) | instid1(VALU_DEP_2)
	v_add_co_u32 v0, vcc_lo, s0, v0
	v_add_co_ci_u32_e32 v1, vcc_lo, s1, v1, vcc_lo
	global_store_b32 v[0:1], v2, off
.LBB122_18:
	s_nop 0
	s_sendmsg sendmsg(MSG_DEALLOC_VGPRS)
	s_endpgm
	.section	.rodata,"a",@progbits
	.p2align	6, 0x0
	.amdhsa_kernel _ZN9rocsparseL28csrmvn_lrb_short_rows_kernelIliDF16_DF16_ffEEvbT_PT0_S3_jNS_24const_host_device_scalarIT4_EEPKS1_PKS2_PKT1_PKT2_S6_PT3_21rocsparse_index_base_b
		.amdhsa_group_segment_fixed_size 0
		.amdhsa_private_segment_fixed_size 0
		.amdhsa_kernarg_size 104
		.amdhsa_user_sgpr_count 15
		.amdhsa_user_sgpr_dispatch_ptr 0
		.amdhsa_user_sgpr_queue_ptr 0
		.amdhsa_user_sgpr_kernarg_segment_ptr 1
		.amdhsa_user_sgpr_dispatch_id 0
		.amdhsa_user_sgpr_private_segment_size 0
		.amdhsa_wavefront_size32 1
		.amdhsa_uses_dynamic_stack 0
		.amdhsa_enable_private_segment 0
		.amdhsa_system_sgpr_workgroup_id_x 1
		.amdhsa_system_sgpr_workgroup_id_y 0
		.amdhsa_system_sgpr_workgroup_id_z 0
		.amdhsa_system_sgpr_workgroup_info 0
		.amdhsa_system_vgpr_workitem_id 0
		.amdhsa_next_free_vgpr 10
		.amdhsa_next_free_sgpr 24
		.amdhsa_reserve_vcc 1
		.amdhsa_float_round_mode_32 0
		.amdhsa_float_round_mode_16_64 0
		.amdhsa_float_denorm_mode_32 3
		.amdhsa_float_denorm_mode_16_64 3
		.amdhsa_dx10_clamp 1
		.amdhsa_ieee_mode 1
		.amdhsa_fp16_overflow 0
		.amdhsa_workgroup_processor_mode 1
		.amdhsa_memory_ordered 1
		.amdhsa_forward_progress 0
		.amdhsa_shared_vgpr_count 0
		.amdhsa_exception_fp_ieee_invalid_op 0
		.amdhsa_exception_fp_denorm_src 0
		.amdhsa_exception_fp_ieee_div_zero 0
		.amdhsa_exception_fp_ieee_overflow 0
		.amdhsa_exception_fp_ieee_underflow 0
		.amdhsa_exception_fp_ieee_inexact 0
		.amdhsa_exception_int_div_zero 0
	.end_amdhsa_kernel
	.section	.text._ZN9rocsparseL28csrmvn_lrb_short_rows_kernelIliDF16_DF16_ffEEvbT_PT0_S3_jNS_24const_host_device_scalarIT4_EEPKS1_PKS2_PKT1_PKT2_S6_PT3_21rocsparse_index_base_b,"axG",@progbits,_ZN9rocsparseL28csrmvn_lrb_short_rows_kernelIliDF16_DF16_ffEEvbT_PT0_S3_jNS_24const_host_device_scalarIT4_EEPKS1_PKS2_PKT1_PKT2_S6_PT3_21rocsparse_index_base_b,comdat
.Lfunc_end122:
	.size	_ZN9rocsparseL28csrmvn_lrb_short_rows_kernelIliDF16_DF16_ffEEvbT_PT0_S3_jNS_24const_host_device_scalarIT4_EEPKS1_PKS2_PKT1_PKT2_S6_PT3_21rocsparse_index_base_b, .Lfunc_end122-_ZN9rocsparseL28csrmvn_lrb_short_rows_kernelIliDF16_DF16_ffEEvbT_PT0_S3_jNS_24const_host_device_scalarIT4_EEPKS1_PKS2_PKT1_PKT2_S6_PT3_21rocsparse_index_base_b
                                        ; -- End function
	.section	.AMDGPU.csdata,"",@progbits
; Kernel info:
; codeLenInByte = 908
; NumSgprs: 26
; NumVgprs: 10
; ScratchSize: 0
; MemoryBound: 0
; FloatMode: 240
; IeeeMode: 1
; LDSByteSize: 0 bytes/workgroup (compile time only)
; SGPRBlocks: 3
; VGPRBlocks: 1
; NumSGPRsForWavesPerEU: 26
; NumVGPRsForWavesPerEU: 10
; Occupancy: 16
; WaveLimiterHint : 1
; COMPUTE_PGM_RSRC2:SCRATCH_EN: 0
; COMPUTE_PGM_RSRC2:USER_SGPR: 15
; COMPUTE_PGM_RSRC2:TRAP_HANDLER: 0
; COMPUTE_PGM_RSRC2:TGID_X_EN: 1
; COMPUTE_PGM_RSRC2:TGID_Y_EN: 0
; COMPUTE_PGM_RSRC2:TGID_Z_EN: 0
; COMPUTE_PGM_RSRC2:TIDIG_COMP_CNT: 0
	.section	.text._ZN9rocsparseL30csrmvn_lrb_short_rows_2_kernelIliDF16_DF16_ffEEvbT_PT0_S3_jNS_24const_host_device_scalarIT4_EEPKS1_PKS2_PKT1_PKT2_S6_PT3_21rocsparse_index_base_b,"axG",@progbits,_ZN9rocsparseL30csrmvn_lrb_short_rows_2_kernelIliDF16_DF16_ffEEvbT_PT0_S3_jNS_24const_host_device_scalarIT4_EEPKS1_PKS2_PKT1_PKT2_S6_PT3_21rocsparse_index_base_b,comdat
	.globl	_ZN9rocsparseL30csrmvn_lrb_short_rows_2_kernelIliDF16_DF16_ffEEvbT_PT0_S3_jNS_24const_host_device_scalarIT4_EEPKS1_PKS2_PKT1_PKT2_S6_PT3_21rocsparse_index_base_b ; -- Begin function _ZN9rocsparseL30csrmvn_lrb_short_rows_2_kernelIliDF16_DF16_ffEEvbT_PT0_S3_jNS_24const_host_device_scalarIT4_EEPKS1_PKS2_PKT1_PKT2_S6_PT3_21rocsparse_index_base_b
	.p2align	8
	.type	_ZN9rocsparseL30csrmvn_lrb_short_rows_2_kernelIliDF16_DF16_ffEEvbT_PT0_S3_jNS_24const_host_device_scalarIT4_EEPKS1_PKS2_PKT1_PKT2_S6_PT3_21rocsparse_index_base_b,@function
_ZN9rocsparseL30csrmvn_lrb_short_rows_2_kernelIliDF16_DF16_ffEEvbT_PT0_S3_jNS_24const_host_device_scalarIT4_EEPKS1_PKS2_PKT1_PKT2_S6_PT3_21rocsparse_index_base_b: ; @_ZN9rocsparseL30csrmvn_lrb_short_rows_2_kernelIliDF16_DF16_ffEEvbT_PT0_S3_jNS_24const_host_device_scalarIT4_EEPKS1_PKS2_PKT1_PKT2_S6_PT3_21rocsparse_index_base_b
; %bb.0:
	s_clause 0x2
	s_load_b64 s[20:21], s[0:1], 0x60
	s_load_b64 s[18:19], s[0:1], 0x28
	;; [unrolled: 1-line block ×3, first 2 shown]
	s_waitcnt lgkmcnt(0)
	s_bitcmp1_b32 s21, 0
	s_cselect_b32 s2, -1, 0
	s_delay_alu instid0(SALU_CYCLE_1)
	s_and_b32 vcc_lo, exec_lo, s2
	s_xor_b32 s2, s2, -1
	s_cbranch_vccnz .LBB123_2
; %bb.1:
	s_load_b32 s18, s[18:19], 0x0
.LBB123_2:
	s_and_not1_b32 vcc_lo, exec_lo, s2
	s_cbranch_vccnz .LBB123_4
; %bb.3:
	s_load_b32 s12, s[12:13], 0x0
.LBB123_4:
	s_waitcnt lgkmcnt(0)
	v_cmp_neq_f32_e64 s2, s18, 0
	v_cmp_neq_f32_e64 s3, s12, 1.0
	s_mov_b32 s17, 0
	s_delay_alu instid0(VALU_DEP_1) | instskip(NEXT) | instid1(SALU_CYCLE_1)
	s_or_b32 s2, s2, s3
	s_and_not1_b32 vcc_lo, exec_lo, s2
	s_cbranch_vccnz .LBB123_30
; %bb.5:
	s_clause 0x1
	s_load_b32 s16, s[0:1], 0x20
	s_load_b128 s[8:11], s[0:1], 0x10
	s_mov_b32 s5, s17
	v_mov_b32_e32 v6, 0
	s_waitcnt lgkmcnt(0)
	s_lshl_b64 s[2:3], s[16:17], 2
	v_lshrrev_b32_e32 v1, s16, v0
	s_add_u32 s2, s10, s2
	s_addc_u32 s3, s11, s3
	s_add_i32 s4, s16, 1
	v_bfe_u32 v5, v0, 0, s16
	s_lshl_b64 s[4:5], s[4:5], 2
	s_delay_alu instid0(SALU_CYCLE_1)
	s_add_u32 s4, s10, s4
	s_addc_u32 s5, s11, s5
	s_clause 0x1
	s_load_b32 s14, s[2:3], 0x0
	s_load_b32 s17, s[4:5], 0x0
	s_clause 0x1
	s_load_b64 s[10:11], s[0:1], 0x58
	s_load_b256 s[0:7], s[0:1], 0x30
	s_lshr_b32 s13, 0x400, s16
	s_delay_alu instid0(SALU_CYCLE_1) | instskip(NEXT) | instid1(SALU_CYCLE_1)
	s_mul_i32 s15, s13, s15
	v_add_nc_u32_e32 v1, s15, v1
	s_add_i32 s19, s15, s13
	s_waitcnt lgkmcnt(0)
	s_sub_i32 s17, s17, s14
	s_delay_alu instid0(SALU_CYCLE_1)
	s_min_u32 s17, s17, s19
	s_mov_b32 s19, exec_lo
	v_cmpx_gt_u32_e64 s17, v1
	s_cbranch_execz .LBB123_9
; %bb.6:
	v_dual_mov_b32 v2, v6 :: v_dual_add_nc_u32 v1, s14, v1
	s_delay_alu instid0(VALU_DEP_1) | instskip(NEXT) | instid1(VALU_DEP_1)
	v_lshlrev_b64 v[1:2], 2, v[1:2]
	v_add_co_u32 v1, vcc_lo, s8, v1
	s_delay_alu instid0(VALU_DEP_2) | instskip(SKIP_3) | instid1(VALU_DEP_1)
	v_add_co_ci_u32_e32 v2, vcc_lo, s9, v2, vcc_lo
	global_load_b32 v1, v[1:2], off
	s_waitcnt vmcnt(0)
	v_ashrrev_i32_e32 v2, 31, v1
	v_lshlrev_b64 v[1:2], 3, v[1:2]
	s_delay_alu instid0(VALU_DEP_1) | instskip(NEXT) | instid1(VALU_DEP_2)
	v_add_co_u32 v1, vcc_lo, s0, v1
	v_add_co_ci_u32_e32 v2, vcc_lo, s1, v2, vcc_lo
	global_load_b128 v[1:4], v[1:2], off
	s_waitcnt vmcnt(0)
	v_sub_co_u32 v3, vcc_lo, v3, v1
	v_sub_co_ci_u32_e32 v4, vcc_lo, v4, v2, vcc_lo
	s_delay_alu instid0(VALU_DEP_1)
	v_cmp_gt_i64_e32 vcc_lo, v[3:4], v[5:6]
	v_mov_b32_e32 v3, v6
	s_and_saveexec_b32 s21, vcc_lo
	s_cbranch_execz .LBB123_8
; %bb.7:
	v_sub_co_u32 v1, vcc_lo, v1, s20
	v_subrev_co_ci_u32_e32 v2, vcc_lo, 0, v2, vcc_lo
	s_delay_alu instid0(VALU_DEP_2) | instskip(NEXT) | instid1(VALU_DEP_2)
	v_add_co_u32 v1, vcc_lo, v1, v5
	v_add_co_ci_u32_e32 v2, vcc_lo, 0, v2, vcc_lo
	s_delay_alu instid0(VALU_DEP_1) | instskip(SKIP_1) | instid1(VALU_DEP_2)
	v_lshlrev_b64 v[3:4], 2, v[1:2]
	v_lshlrev_b64 v[1:2], 1, v[1:2]
	v_add_co_u32 v3, vcc_lo, s2, v3
	s_delay_alu instid0(VALU_DEP_3) | instskip(NEXT) | instid1(VALU_DEP_3)
	v_add_co_ci_u32_e32 v4, vcc_lo, s3, v4, vcc_lo
	v_add_co_u32 v1, vcc_lo, s4, v1
	s_delay_alu instid0(VALU_DEP_4) | instskip(SKIP_4) | instid1(VALU_DEP_1)
	v_add_co_ci_u32_e32 v2, vcc_lo, s5, v2, vcc_lo
	global_load_b32 v3, v[3:4], off
	global_load_u16 v7, v[1:2], off
	s_waitcnt vmcnt(1)
	v_subrev_nc_u32_e32 v3, s20, v3
	v_ashrrev_i32_e32 v4, 31, v3
	s_delay_alu instid0(VALU_DEP_1) | instskip(NEXT) | instid1(VALU_DEP_1)
	v_lshlrev_b64 v[3:4], 1, v[3:4]
	v_add_co_u32 v1, vcc_lo, s6, v3
	s_delay_alu instid0(VALU_DEP_2) | instskip(SKIP_3) | instid1(VALU_DEP_1)
	v_add_co_ci_u32_e32 v2, vcc_lo, s7, v4, vcc_lo
	global_load_u16 v1, v[1:2], off
	s_waitcnt vmcnt(1)
	v_cvt_f32_f16_e32 v2, v7
	v_mul_f32_e32 v2, s18, v2
	s_waitcnt vmcnt(0)
	v_cvt_f32_f16_e32 v1, v1
	s_delay_alu instid0(VALU_DEP_1)
	v_mul_f32_e32 v3, v2, v1
.LBB123_8:
	s_or_b32 exec_lo, exec_lo, s21
	v_lshlrev_b32_e32 v1, 2, v0
	ds_store_b32 v1, v3
.LBB123_9:
	s_or_b32 exec_lo, exec_lo, s19
	v_or_b32_e32 v1, 0x100, v0
	s_mov_b32 s19, exec_lo
	s_delay_alu instid0(VALU_DEP_1) | instskip(NEXT) | instid1(VALU_DEP_1)
	v_lshrrev_b32_e32 v1, s16, v1
	v_add_nc_u32_e32 v1, s15, v1
	s_delay_alu instid0(VALU_DEP_1)
	v_cmpx_gt_u32_e64 s17, v1
	s_cbranch_execz .LBB123_13
; %bb.10:
	v_dual_mov_b32 v8, 0 :: v_dual_add_nc_u32 v7, s14, v1
	s_mov_b32 s21, exec_lo
	s_delay_alu instid0(VALU_DEP_1) | instskip(NEXT) | instid1(VALU_DEP_1)
	v_lshlrev_b64 v[1:2], 2, v[7:8]
	v_add_co_u32 v1, vcc_lo, s8, v1
	s_delay_alu instid0(VALU_DEP_2) | instskip(SKIP_3) | instid1(VALU_DEP_1)
	v_add_co_ci_u32_e32 v2, vcc_lo, s9, v2, vcc_lo
	global_load_b32 v1, v[1:2], off
	s_waitcnt vmcnt(0)
	v_ashrrev_i32_e32 v2, 31, v1
	v_lshlrev_b64 v[1:2], 3, v[1:2]
	s_delay_alu instid0(VALU_DEP_1) | instskip(NEXT) | instid1(VALU_DEP_2)
	v_add_co_u32 v1, vcc_lo, s0, v1
	v_add_co_ci_u32_e32 v2, vcc_lo, s1, v2, vcc_lo
	global_load_b128 v[1:4], v[1:2], off
	s_waitcnt vmcnt(0)
	v_sub_co_u32 v3, vcc_lo, v3, v1
	v_sub_co_ci_u32_e32 v4, vcc_lo, v4, v2, vcc_lo
	s_delay_alu instid0(VALU_DEP_1)
	v_cmpx_gt_i64_e64 v[3:4], v[5:6]
	s_cbranch_execz .LBB123_12
; %bb.11:
	v_sub_co_u32 v1, vcc_lo, v1, s20
	v_subrev_co_ci_u32_e32 v2, vcc_lo, 0, v2, vcc_lo
	s_delay_alu instid0(VALU_DEP_2) | instskip(NEXT) | instid1(VALU_DEP_2)
	v_add_co_u32 v1, vcc_lo, v1, v5
	v_add_co_ci_u32_e32 v2, vcc_lo, 0, v2, vcc_lo
	s_delay_alu instid0(VALU_DEP_1) | instskip(SKIP_1) | instid1(VALU_DEP_2)
	v_lshlrev_b64 v[3:4], 2, v[1:2]
	v_lshlrev_b64 v[1:2], 1, v[1:2]
	v_add_co_u32 v3, vcc_lo, s2, v3
	s_delay_alu instid0(VALU_DEP_3) | instskip(NEXT) | instid1(VALU_DEP_3)
	v_add_co_ci_u32_e32 v4, vcc_lo, s3, v4, vcc_lo
	v_add_co_u32 v1, vcc_lo, s4, v1
	s_delay_alu instid0(VALU_DEP_4) | instskip(SKIP_4) | instid1(VALU_DEP_1)
	v_add_co_ci_u32_e32 v2, vcc_lo, s5, v2, vcc_lo
	global_load_b32 v3, v[3:4], off
	global_load_u16 v7, v[1:2], off
	s_waitcnt vmcnt(1)
	v_subrev_nc_u32_e32 v3, s20, v3
	v_ashrrev_i32_e32 v4, 31, v3
	s_delay_alu instid0(VALU_DEP_1) | instskip(NEXT) | instid1(VALU_DEP_1)
	v_lshlrev_b64 v[3:4], 1, v[3:4]
	v_add_co_u32 v1, vcc_lo, s6, v3
	s_delay_alu instid0(VALU_DEP_2) | instskip(SKIP_3) | instid1(VALU_DEP_1)
	v_add_co_ci_u32_e32 v2, vcc_lo, s7, v4, vcc_lo
	global_load_u16 v1, v[1:2], off
	s_waitcnt vmcnt(1)
	v_cvt_f32_f16_e32 v2, v7
	v_mul_f32_e32 v2, s18, v2
	s_waitcnt vmcnt(0)
	v_cvt_f32_f16_e32 v1, v1
	s_delay_alu instid0(VALU_DEP_1)
	v_mul_f32_e32 v8, v2, v1
.LBB123_12:
	s_or_b32 exec_lo, exec_lo, s21
	v_lshlrev_b32_e32 v1, 2, v0
	ds_store_b32 v1, v8 offset:1024
.LBB123_13:
	s_or_b32 exec_lo, exec_lo, s19
	v_or_b32_e32 v1, 0x200, v0
	s_mov_b32 s19, exec_lo
	s_delay_alu instid0(VALU_DEP_1) | instskip(NEXT) | instid1(VALU_DEP_1)
	v_lshrrev_b32_e32 v1, s16, v1
	v_add_nc_u32_e32 v1, s15, v1
	s_delay_alu instid0(VALU_DEP_1)
	v_cmpx_gt_u32_e64 s17, v1
	s_cbranch_execz .LBB123_17
; %bb.14:
	v_dual_mov_b32 v8, 0 :: v_dual_add_nc_u32 v7, s14, v1
	s_mov_b32 s21, exec_lo
	s_delay_alu instid0(VALU_DEP_1) | instskip(NEXT) | instid1(VALU_DEP_1)
	v_lshlrev_b64 v[1:2], 2, v[7:8]
	v_add_co_u32 v1, vcc_lo, s8, v1
	s_delay_alu instid0(VALU_DEP_2) | instskip(SKIP_3) | instid1(VALU_DEP_1)
	v_add_co_ci_u32_e32 v2, vcc_lo, s9, v2, vcc_lo
	global_load_b32 v1, v[1:2], off
	s_waitcnt vmcnt(0)
	v_ashrrev_i32_e32 v2, 31, v1
	v_lshlrev_b64 v[1:2], 3, v[1:2]
	s_delay_alu instid0(VALU_DEP_1) | instskip(NEXT) | instid1(VALU_DEP_2)
	v_add_co_u32 v1, vcc_lo, s0, v1
	v_add_co_ci_u32_e32 v2, vcc_lo, s1, v2, vcc_lo
	global_load_b128 v[1:4], v[1:2], off
	s_waitcnt vmcnt(0)
	v_sub_co_u32 v3, vcc_lo, v3, v1
	v_sub_co_ci_u32_e32 v4, vcc_lo, v4, v2, vcc_lo
	s_delay_alu instid0(VALU_DEP_1)
	v_cmpx_gt_i64_e64 v[3:4], v[5:6]
	s_cbranch_execz .LBB123_16
; %bb.15:
	v_sub_co_u32 v1, vcc_lo, v1, s20
	v_subrev_co_ci_u32_e32 v2, vcc_lo, 0, v2, vcc_lo
	s_delay_alu instid0(VALU_DEP_2) | instskip(NEXT) | instid1(VALU_DEP_2)
	v_add_co_u32 v1, vcc_lo, v1, v5
	v_add_co_ci_u32_e32 v2, vcc_lo, 0, v2, vcc_lo
	s_delay_alu instid0(VALU_DEP_1) | instskip(SKIP_1) | instid1(VALU_DEP_2)
	v_lshlrev_b64 v[3:4], 2, v[1:2]
	v_lshlrev_b64 v[1:2], 1, v[1:2]
	v_add_co_u32 v3, vcc_lo, s2, v3
	s_delay_alu instid0(VALU_DEP_3) | instskip(NEXT) | instid1(VALU_DEP_3)
	v_add_co_ci_u32_e32 v4, vcc_lo, s3, v4, vcc_lo
	v_add_co_u32 v1, vcc_lo, s4, v1
	s_delay_alu instid0(VALU_DEP_4) | instskip(SKIP_4) | instid1(VALU_DEP_1)
	v_add_co_ci_u32_e32 v2, vcc_lo, s5, v2, vcc_lo
	global_load_b32 v3, v[3:4], off
	global_load_u16 v7, v[1:2], off
	s_waitcnt vmcnt(1)
	v_subrev_nc_u32_e32 v3, s20, v3
	v_ashrrev_i32_e32 v4, 31, v3
	s_delay_alu instid0(VALU_DEP_1) | instskip(NEXT) | instid1(VALU_DEP_1)
	v_lshlrev_b64 v[3:4], 1, v[3:4]
	v_add_co_u32 v1, vcc_lo, s6, v3
	s_delay_alu instid0(VALU_DEP_2) | instskip(SKIP_3) | instid1(VALU_DEP_1)
	v_add_co_ci_u32_e32 v2, vcc_lo, s7, v4, vcc_lo
	global_load_u16 v1, v[1:2], off
	s_waitcnt vmcnt(1)
	v_cvt_f32_f16_e32 v2, v7
	v_mul_f32_e32 v2, s18, v2
	s_waitcnt vmcnt(0)
	v_cvt_f32_f16_e32 v1, v1
	s_delay_alu instid0(VALU_DEP_1)
	v_mul_f32_e32 v8, v2, v1
.LBB123_16:
	s_or_b32 exec_lo, exec_lo, s21
	v_lshlrev_b32_e32 v1, 2, v0
	ds_store_b32 v1, v8 offset:2048
.LBB123_17:
	s_or_b32 exec_lo, exec_lo, s19
	v_or_b32_e32 v1, 0x300, v0
	s_mov_b32 s19, exec_lo
	s_delay_alu instid0(VALU_DEP_1) | instskip(NEXT) | instid1(VALU_DEP_1)
	v_lshrrev_b32_e32 v1, s16, v1
	v_add_nc_u32_e32 v1, s15, v1
	s_delay_alu instid0(VALU_DEP_1)
	v_cmpx_gt_u32_e64 s17, v1
	s_cbranch_execz .LBB123_21
; %bb.18:
	v_dual_mov_b32 v8, 0 :: v_dual_add_nc_u32 v7, s14, v1
	s_delay_alu instid0(VALU_DEP_1) | instskip(NEXT) | instid1(VALU_DEP_1)
	v_lshlrev_b64 v[1:2], 2, v[7:8]
	v_add_co_u32 v1, vcc_lo, s8, v1
	s_delay_alu instid0(VALU_DEP_2) | instskip(SKIP_3) | instid1(VALU_DEP_1)
	v_add_co_ci_u32_e32 v2, vcc_lo, s9, v2, vcc_lo
	global_load_b32 v1, v[1:2], off
	s_waitcnt vmcnt(0)
	v_ashrrev_i32_e32 v2, 31, v1
	v_lshlrev_b64 v[1:2], 3, v[1:2]
	s_delay_alu instid0(VALU_DEP_1) | instskip(NEXT) | instid1(VALU_DEP_2)
	v_add_co_u32 v1, vcc_lo, s0, v1
	v_add_co_ci_u32_e32 v2, vcc_lo, s1, v2, vcc_lo
	s_mov_b32 s0, exec_lo
	global_load_b128 v[1:4], v[1:2], off
	s_waitcnt vmcnt(0)
	v_sub_co_u32 v3, vcc_lo, v3, v1
	v_sub_co_ci_u32_e32 v4, vcc_lo, v4, v2, vcc_lo
	s_delay_alu instid0(VALU_DEP_1)
	v_cmpx_gt_i64_e64 v[3:4], v[5:6]
	s_cbranch_execz .LBB123_20
; %bb.19:
	v_sub_co_u32 v1, vcc_lo, v1, s20
	v_subrev_co_ci_u32_e32 v2, vcc_lo, 0, v2, vcc_lo
	s_delay_alu instid0(VALU_DEP_2) | instskip(NEXT) | instid1(VALU_DEP_2)
	v_add_co_u32 v1, vcc_lo, v1, v5
	v_add_co_ci_u32_e32 v2, vcc_lo, 0, v2, vcc_lo
	s_delay_alu instid0(VALU_DEP_1) | instskip(SKIP_1) | instid1(VALU_DEP_2)
	v_lshlrev_b64 v[3:4], 2, v[1:2]
	v_lshlrev_b64 v[1:2], 1, v[1:2]
	v_add_co_u32 v3, vcc_lo, s2, v3
	s_delay_alu instid0(VALU_DEP_3) | instskip(NEXT) | instid1(VALU_DEP_3)
	v_add_co_ci_u32_e32 v4, vcc_lo, s3, v4, vcc_lo
	v_add_co_u32 v1, vcc_lo, s4, v1
	s_delay_alu instid0(VALU_DEP_4) | instskip(SKIP_4) | instid1(VALU_DEP_1)
	v_add_co_ci_u32_e32 v2, vcc_lo, s5, v2, vcc_lo
	global_load_b32 v3, v[3:4], off
	global_load_u16 v5, v[1:2], off
	s_waitcnt vmcnt(1)
	v_subrev_nc_u32_e32 v3, s20, v3
	v_ashrrev_i32_e32 v4, 31, v3
	s_delay_alu instid0(VALU_DEP_1) | instskip(NEXT) | instid1(VALU_DEP_1)
	v_lshlrev_b64 v[3:4], 1, v[3:4]
	v_add_co_u32 v1, vcc_lo, s6, v3
	s_delay_alu instid0(VALU_DEP_2) | instskip(SKIP_3) | instid1(VALU_DEP_1)
	v_add_co_ci_u32_e32 v2, vcc_lo, s7, v4, vcc_lo
	global_load_u16 v1, v[1:2], off
	s_waitcnt vmcnt(1)
	v_cvt_f32_f16_e32 v2, v5
	v_mul_f32_e32 v2, s18, v2
	s_waitcnt vmcnt(0)
	v_cvt_f32_f16_e32 v1, v1
	s_delay_alu instid0(VALU_DEP_1)
	v_mul_f32_e32 v8, v2, v1
.LBB123_20:
	s_or_b32 exec_lo, exec_lo, s0
	v_lshlrev_b32_e32 v1, 2, v0
	ds_store_b32 v1, v8 offset:3072
.LBB123_21:
	s_or_b32 exec_lo, exec_lo, s19
	s_cmp_lt_u32 s16, 11
	s_waitcnt lgkmcnt(0)
	s_barrier
	buffer_gl0_inv
	s_cbranch_scc0 .LBB123_30
; %bb.22:
	v_cmp_neq_f32_e64 s0, s12, 0
	v_mov_b32_e32 v2, 0
	s_sub_i32 s1, s17, s15
	s_add_i32 s14, s14, s15
	s_mov_b32 s2, 0
	s_set_inst_prefetch_distance 0x1
	s_branch .LBB123_25
	.p2align	6
.LBB123_23:                             ;   in Loop: Header=BB123_25 Depth=1
	s_delay_alu instid0(VALU_DEP_1) | instskip(NEXT) | instid1(VALU_DEP_2)
	v_add_co_u32 v3, vcc_lo, s10, v3
	v_add_co_ci_u32_e32 v4, vcc_lo, s11, v4, vcc_lo
	global_store_b32 v[3:4], v1, off
.LBB123_24:                             ;   in Loop: Header=BB123_25 Depth=1
	s_or_b32 exec_lo, exec_lo, s3
	s_addk_i32 s2, 0x100
	s_delay_alu instid0(SALU_CYCLE_1)
	s_cmp_lt_u32 s2, s13
	s_cbranch_scc0 .LBB123_30
.LBB123_25:                             ; =>This Loop Header: Depth=1
                                        ;     Child Loop BB123_27 Depth 2
	v_add_nc_u32_e32 v4, s2, v0
	s_mov_b32 s3, exec_lo
	s_delay_alu instid0(VALU_DEP_1)
	v_cmpx_gt_u32_e64 s1, v4
	s_cbranch_execz .LBB123_24
; %bb.26:                               ;   in Loop: Header=BB123_25 Depth=1
	v_add_nc_u32_e32 v1, s14, v4
	s_mov_b32 s4, 1
	s_delay_alu instid0(VALU_DEP_1) | instskip(SKIP_1) | instid1(VALU_DEP_1)
	v_lshlrev_b64 v[5:6], 2, v[1:2]
	v_lshlrev_b32_e32 v1, s16, v4
	v_dual_mov_b32 v1, 0 :: v_dual_lshlrev_b32 v4, 2, v1
	s_delay_alu instid0(VALU_DEP_3) | instskip(NEXT) | instid1(VALU_DEP_4)
	v_add_co_u32 v5, vcc_lo, s8, v5
	v_add_co_ci_u32_e32 v6, vcc_lo, s9, v6, vcc_lo
	global_load_b32 v3, v[5:6], off
.LBB123_27:                             ;   Parent Loop BB123_25 Depth=1
                                        ; =>  This Inner Loop Header: Depth=2
	ds_load_b32 v5, v4
	v_add_nc_u32_e32 v4, 4, v4
	s_lshr_b32 s5, s4, s16
	s_add_i32 s4, s4, 1
	s_cmp_lg_u32 s5, 0
	s_waitcnt lgkmcnt(0)
	v_add_f32_e32 v1, v1, v5
	s_cbranch_scc0 .LBB123_27
; %bb.28:                               ;   in Loop: Header=BB123_25 Depth=1
	s_waitcnt vmcnt(0)
	v_ashrrev_i32_e32 v4, 31, v3
	s_and_b32 vcc_lo, exec_lo, s0
	s_delay_alu instid0(VALU_DEP_1)
	v_lshlrev_b64 v[3:4], 2, v[3:4]
	s_cbranch_vccz .LBB123_23
; %bb.29:                               ;   in Loop: Header=BB123_25 Depth=1
	s_delay_alu instid0(VALU_DEP_1) | instskip(NEXT) | instid1(VALU_DEP_2)
	v_add_co_u32 v5, vcc_lo, s10, v3
	v_add_co_ci_u32_e32 v6, vcc_lo, s11, v4, vcc_lo
	global_load_b32 v5, v[5:6], off
	s_waitcnt vmcnt(0)
	v_fmac_f32_e32 v1, s12, v5
	s_branch .LBB123_23
.LBB123_30:
	s_set_inst_prefetch_distance 0x2
	s_nop 0
	s_sendmsg sendmsg(MSG_DEALLOC_VGPRS)
	s_endpgm
	.section	.rodata,"a",@progbits
	.p2align	6, 0x0
	.amdhsa_kernel _ZN9rocsparseL30csrmvn_lrb_short_rows_2_kernelIliDF16_DF16_ffEEvbT_PT0_S3_jNS_24const_host_device_scalarIT4_EEPKS1_PKS2_PKT1_PKT2_S6_PT3_21rocsparse_index_base_b
		.amdhsa_group_segment_fixed_size 4096
		.amdhsa_private_segment_fixed_size 0
		.amdhsa_kernarg_size 104
		.amdhsa_user_sgpr_count 15
		.amdhsa_user_sgpr_dispatch_ptr 0
		.amdhsa_user_sgpr_queue_ptr 0
		.amdhsa_user_sgpr_kernarg_segment_ptr 1
		.amdhsa_user_sgpr_dispatch_id 0
		.amdhsa_user_sgpr_private_segment_size 0
		.amdhsa_wavefront_size32 1
		.amdhsa_uses_dynamic_stack 0
		.amdhsa_enable_private_segment 0
		.amdhsa_system_sgpr_workgroup_id_x 1
		.amdhsa_system_sgpr_workgroup_id_y 0
		.amdhsa_system_sgpr_workgroup_id_z 0
		.amdhsa_system_sgpr_workgroup_info 0
		.amdhsa_system_vgpr_workitem_id 0
		.amdhsa_next_free_vgpr 9
		.amdhsa_next_free_sgpr 22
		.amdhsa_reserve_vcc 1
		.amdhsa_float_round_mode_32 0
		.amdhsa_float_round_mode_16_64 0
		.amdhsa_float_denorm_mode_32 3
		.amdhsa_float_denorm_mode_16_64 3
		.amdhsa_dx10_clamp 1
		.amdhsa_ieee_mode 1
		.amdhsa_fp16_overflow 0
		.amdhsa_workgroup_processor_mode 1
		.amdhsa_memory_ordered 1
		.amdhsa_forward_progress 0
		.amdhsa_shared_vgpr_count 0
		.amdhsa_exception_fp_ieee_invalid_op 0
		.amdhsa_exception_fp_denorm_src 0
		.amdhsa_exception_fp_ieee_div_zero 0
		.amdhsa_exception_fp_ieee_overflow 0
		.amdhsa_exception_fp_ieee_underflow 0
		.amdhsa_exception_fp_ieee_inexact 0
		.amdhsa_exception_int_div_zero 0
	.end_amdhsa_kernel
	.section	.text._ZN9rocsparseL30csrmvn_lrb_short_rows_2_kernelIliDF16_DF16_ffEEvbT_PT0_S3_jNS_24const_host_device_scalarIT4_EEPKS1_PKS2_PKT1_PKT2_S6_PT3_21rocsparse_index_base_b,"axG",@progbits,_ZN9rocsparseL30csrmvn_lrb_short_rows_2_kernelIliDF16_DF16_ffEEvbT_PT0_S3_jNS_24const_host_device_scalarIT4_EEPKS1_PKS2_PKT1_PKT2_S6_PT3_21rocsparse_index_base_b,comdat
.Lfunc_end123:
	.size	_ZN9rocsparseL30csrmvn_lrb_short_rows_2_kernelIliDF16_DF16_ffEEvbT_PT0_S3_jNS_24const_host_device_scalarIT4_EEPKS1_PKS2_PKT1_PKT2_S6_PT3_21rocsparse_index_base_b, .Lfunc_end123-_ZN9rocsparseL30csrmvn_lrb_short_rows_2_kernelIliDF16_DF16_ffEEvbT_PT0_S3_jNS_24const_host_device_scalarIT4_EEPKS1_PKS2_PKT1_PKT2_S6_PT3_21rocsparse_index_base_b
                                        ; -- End function
	.section	.AMDGPU.csdata,"",@progbits
; Kernel info:
; codeLenInByte = 1956
; NumSgprs: 24
; NumVgprs: 9
; ScratchSize: 0
; MemoryBound: 0
; FloatMode: 240
; IeeeMode: 1
; LDSByteSize: 4096 bytes/workgroup (compile time only)
; SGPRBlocks: 2
; VGPRBlocks: 1
; NumSGPRsForWavesPerEU: 24
; NumVGPRsForWavesPerEU: 9
; Occupancy: 16
; WaveLimiterHint : 1
; COMPUTE_PGM_RSRC2:SCRATCH_EN: 0
; COMPUTE_PGM_RSRC2:USER_SGPR: 15
; COMPUTE_PGM_RSRC2:TRAP_HANDLER: 0
; COMPUTE_PGM_RSRC2:TGID_X_EN: 1
; COMPUTE_PGM_RSRC2:TGID_Y_EN: 0
; COMPUTE_PGM_RSRC2:TGID_Z_EN: 0
; COMPUTE_PGM_RSRC2:TIDIG_COMP_CNT: 0
	.section	.text._ZN9rocsparseL41csrmvn_lrb_medium_rows_warp_reduce_kernelILj256ELj32EliDF16_DF16_ffEEvbT1_lPT2_S3_jNS_24const_host_device_scalarIT6_EEPKS1_PKS2_PKT3_PKT4_S6_PT5_21rocsparse_index_base_b,"axG",@progbits,_ZN9rocsparseL41csrmvn_lrb_medium_rows_warp_reduce_kernelILj256ELj32EliDF16_DF16_ffEEvbT1_lPT2_S3_jNS_24const_host_device_scalarIT6_EEPKS1_PKS2_PKT3_PKT4_S6_PT5_21rocsparse_index_base_b,comdat
	.globl	_ZN9rocsparseL41csrmvn_lrb_medium_rows_warp_reduce_kernelILj256ELj32EliDF16_DF16_ffEEvbT1_lPT2_S3_jNS_24const_host_device_scalarIT6_EEPKS1_PKS2_PKT3_PKT4_S6_PT5_21rocsparse_index_base_b ; -- Begin function _ZN9rocsparseL41csrmvn_lrb_medium_rows_warp_reduce_kernelILj256ELj32EliDF16_DF16_ffEEvbT1_lPT2_S3_jNS_24const_host_device_scalarIT6_EEPKS1_PKS2_PKT3_PKT4_S6_PT5_21rocsparse_index_base_b
	.p2align	8
	.type	_ZN9rocsparseL41csrmvn_lrb_medium_rows_warp_reduce_kernelILj256ELj32EliDF16_DF16_ffEEvbT1_lPT2_S3_jNS_24const_host_device_scalarIT6_EEPKS1_PKS2_PKT3_PKT4_S6_PT5_21rocsparse_index_base_b,@function
_ZN9rocsparseL41csrmvn_lrb_medium_rows_warp_reduce_kernelILj256ELj32EliDF16_DF16_ffEEvbT1_lPT2_S3_jNS_24const_host_device_scalarIT6_EEPKS1_PKS2_PKT3_PKT4_S6_PT5_21rocsparse_index_base_b: ; @_ZN9rocsparseL41csrmvn_lrb_medium_rows_warp_reduce_kernelILj256ELj32EliDF16_DF16_ffEEvbT1_lPT2_S3_jNS_24const_host_device_scalarIT6_EEPKS1_PKS2_PKT3_PKT4_S6_PT5_21rocsparse_index_base_b
; %bb.0:
	s_clause 0x2
	s_load_b64 s[4:5], s[0:1], 0x68
	s_load_b64 s[6:7], s[0:1], 0x30
	;; [unrolled: 1-line block ×3, first 2 shown]
	s_waitcnt lgkmcnt(0)
	s_bitcmp1_b32 s5, 0
	s_cselect_b32 s5, -1, 0
	s_delay_alu instid0(SALU_CYCLE_1)
	s_and_b32 vcc_lo, exec_lo, s5
	s_xor_b32 s5, s5, -1
	s_cbranch_vccnz .LBB124_2
; %bb.1:
	s_load_b32 s6, s[6:7], 0x0
.LBB124_2:
	s_and_not1_b32 vcc_lo, exec_lo, s5
	s_cbranch_vccnz .LBB124_4
; %bb.3:
	s_load_b32 s2, s[2:3], 0x0
.LBB124_4:
	s_waitcnt lgkmcnt(0)
	v_cmp_neq_f32_e64 s3, s6, 0
	v_cmp_neq_f32_e64 s5, s2, 1.0
	s_delay_alu instid0(VALU_DEP_1) | instskip(NEXT) | instid1(SALU_CYCLE_1)
	s_or_b32 s3, s3, s5
	s_and_not1_b32 vcc_lo, exec_lo, s3
	s_cbranch_vccnz .LBB124_14
; %bb.5:
	s_load_b64 s[8:9], s[0:1], 0x10
	v_lshrrev_b32_e32 v1, 5, v0
	s_mov_b32 s3, exec_lo
	s_delay_alu instid0(VALU_DEP_1) | instskip(NEXT) | instid1(VALU_DEP_1)
	v_lshl_or_b32 v1, s15, 3, v1
	v_ashrrev_i32_e32 v2, 31, v1
	s_waitcnt lgkmcnt(0)
	s_delay_alu instid0(VALU_DEP_1)
	v_cmpx_gt_i64_e64 s[8:9], v[1:2]
	s_cbranch_execz .LBB124_14
; %bb.6:
	s_clause 0x1
	s_load_b32 s10, s[0:1], 0x28
	s_load_b128 s[12:15], s[0:1], 0x18
	s_mov_b32 s11, 0
	v_dual_mov_b32 v11, 0 :: v_dual_and_b32 v0, 31, v0
	s_waitcnt lgkmcnt(0)
	s_lshl_b64 s[8:9], s[10:11], 2
	s_delay_alu instid0(SALU_CYCLE_1)
	s_add_u32 s8, s14, s8
	s_addc_u32 s9, s15, s9
	s_load_b32 s3, s[8:9], 0x0
	s_load_b64 s[8:9], s[0:1], 0x38
	s_waitcnt lgkmcnt(0)
	v_add_nc_u32_e32 v1, s3, v1
	v_sub_co_u32 v9, s3, v0, s4
	s_delay_alu instid0(VALU_DEP_1) | instskip(NEXT) | instid1(VALU_DEP_3)
	v_sub_co_ci_u32_e64 v10, null, 0, 0, s3
	v_ashrrev_i32_e32 v2, 31, v1
	s_mov_b32 s3, exec_lo
	s_delay_alu instid0(VALU_DEP_1) | instskip(NEXT) | instid1(VALU_DEP_1)
	v_lshlrev_b64 v[1:2], 2, v[1:2]
	v_add_co_u32 v1, vcc_lo, s12, v1
	s_delay_alu instid0(VALU_DEP_2) | instskip(SKIP_3) | instid1(VALU_DEP_1)
	v_add_co_ci_u32_e32 v2, vcc_lo, s13, v2, vcc_lo
	global_load_b32 v1, v[1:2], off
	s_waitcnt vmcnt(0)
	v_ashrrev_i32_e32 v2, 31, v1
	v_lshlrev_b64 v[3:4], 3, v[1:2]
	s_delay_alu instid0(VALU_DEP_1) | instskip(NEXT) | instid1(VALU_DEP_2)
	v_add_co_u32 v3, vcc_lo, s8, v3
	v_add_co_ci_u32_e32 v4, vcc_lo, s9, v4, vcc_lo
	s_load_b64 s[8:9], s[0:1], 0x60
	global_load_b128 v[5:8], v[3:4], off
	s_waitcnt vmcnt(0)
	v_sub_co_u32 v3, vcc_lo, v7, s4
	v_subrev_co_ci_u32_e32 v4, vcc_lo, 0, v8, vcc_lo
	v_add_co_u32 v5, vcc_lo, v5, v9
	v_add_co_ci_u32_e32 v6, vcc_lo, v6, v10, vcc_lo
	s_delay_alu instid0(VALU_DEP_1)
	v_cmpx_lt_i64_e64 v[5:6], v[3:4]
	s_cbranch_execz .LBB124_10
; %bb.7:
	s_clause 0x1
	s_load_b128 s[16:19], s[0:1], 0x40
	s_load_b64 s[12:13], s[0:1], 0x50
	v_lshlrev_b64 v[7:8], 1, v[5:6]
	v_lshlrev_b64 v[9:10], 2, v[5:6]
	v_mov_b32_e32 v11, 0
	s_waitcnt lgkmcnt(0)
	s_delay_alu instid0(VALU_DEP_3) | instskip(NEXT) | instid1(VALU_DEP_4)
	v_add_co_u32 v7, vcc_lo, s18, v7
	v_add_co_ci_u32_e32 v8, vcc_lo, s19, v8, vcc_lo
	s_delay_alu instid0(VALU_DEP_4)
	v_add_co_u32 v9, vcc_lo, s16, v9
	v_add_co_ci_u32_e32 v10, vcc_lo, s17, v10, vcc_lo
	.p2align	6
.LBB124_8:                              ; =>This Inner Loop Header: Depth=1
	global_load_b32 v12, v[9:10], off
	global_load_u16 v14, v[7:8], off
	v_add_co_u32 v9, s0, 0x80, v9
	s_delay_alu instid0(VALU_DEP_1) | instskip(SKIP_2) | instid1(VALU_DEP_1)
	v_add_co_ci_u32_e64 v10, s0, 0, v10, s0
	s_waitcnt vmcnt(1)
	v_subrev_nc_u32_e32 v12, s4, v12
	v_ashrrev_i32_e32 v13, 31, v12
	s_delay_alu instid0(VALU_DEP_1) | instskip(NEXT) | instid1(VALU_DEP_1)
	v_lshlrev_b64 v[12:13], 1, v[12:13]
	v_add_co_u32 v12, vcc_lo, s12, v12
	s_delay_alu instid0(VALU_DEP_2)
	v_add_co_ci_u32_e32 v13, vcc_lo, s13, v13, vcc_lo
	v_add_co_u32 v5, vcc_lo, v5, 32
	v_add_co_ci_u32_e32 v6, vcc_lo, 0, v6, vcc_lo
	global_load_u16 v12, v[12:13], off
	s_waitcnt vmcnt(1)
	v_cvt_f32_f16_e32 v13, v14
	v_add_co_u32 v7, vcc_lo, v7, 64
	v_add_co_ci_u32_e32 v8, vcc_lo, 0, v8, vcc_lo
	s_delay_alu instid0(VALU_DEP_3) | instskip(SKIP_3) | instid1(VALU_DEP_2)
	v_mul_f32_e32 v13, s6, v13
	v_cmp_ge_i64_e32 vcc_lo, v[5:6], v[3:4]
	s_or_b32 s11, vcc_lo, s11
	s_waitcnt vmcnt(0)
	v_fma_mix_f32 v11, v13, v12, v11 op_sel_hi:[0,1,0]
	s_and_not1_b32 exec_lo, exec_lo, s11
	s_cbranch_execnz .LBB124_8
; %bb.9:
	s_or_b32 exec_lo, exec_lo, s11
.LBB124_10:
	s_delay_alu instid0(SALU_CYCLE_1) | instskip(SKIP_1) | instid1(VALU_DEP_1)
	s_or_b32 exec_lo, exec_lo, s3
	v_mbcnt_lo_u32_b32 v3, -1, 0
	v_xor_b32_e32 v4, 16, v3
	v_xor_b32_e32 v5, 8, v3
	;; [unrolled: 1-line block ×3, first 2 shown]
	s_delay_alu instid0(VALU_DEP_3) | instskip(SKIP_1) | instid1(VALU_DEP_4)
	v_cmp_gt_i32_e32 vcc_lo, 32, v4
	v_cndmask_b32_e32 v4, v3, v4, vcc_lo
	v_cmp_gt_i32_e32 vcc_lo, 32, v5
	v_cndmask_b32_e32 v5, v3, v5, vcc_lo
	;; [unrolled: 2-line block ×3, first 2 shown]
	s_delay_alu instid0(VALU_DEP_1) | instskip(NEXT) | instid1(VALU_DEP_4)
	v_lshlrev_b32_e32 v6, 2, v6
	v_lshlrev_b32_e32 v5, 2, v5
	;; [unrolled: 1-line block ×3, first 2 shown]
	ds_bpermute_b32 v4, v4, v11
	s_waitcnt lgkmcnt(0)
	v_add_f32_e32 v4, v11, v4
	ds_bpermute_b32 v5, v5, v4
	s_waitcnt lgkmcnt(0)
	v_add_f32_e32 v4, v4, v5
	ds_bpermute_b32 v5, v6, v4
	v_xor_b32_e32 v6, 2, v3
	s_delay_alu instid0(VALU_DEP_1) | instskip(SKIP_1) | instid1(VALU_DEP_1)
	v_cmp_gt_i32_e32 vcc_lo, 32, v6
	v_cndmask_b32_e32 v6, v3, v6, vcc_lo
	v_lshlrev_b32_e32 v6, 2, v6
	s_waitcnt lgkmcnt(0)
	v_add_f32_e32 v4, v4, v5
	ds_bpermute_b32 v5, v6, v4
	v_xor_b32_e32 v6, 1, v3
	s_delay_alu instid0(VALU_DEP_1) | instskip(SKIP_3) | instid1(VALU_DEP_2)
	v_cmp_gt_i32_e32 vcc_lo, 32, v6
	v_cndmask_b32_e32 v6, v3, v6, vcc_lo
	v_cmp_eq_u32_e32 vcc_lo, 31, v0
	s_waitcnt lgkmcnt(0)
	v_dual_add_f32 v3, v4, v5 :: v_dual_lshlrev_b32 v4, 2, v6
	ds_bpermute_b32 v4, v4, v3
	s_and_b32 exec_lo, exec_lo, vcc_lo
	s_cbranch_execz .LBB124_14
; %bb.11:
	v_cmp_eq_f32_e64 s0, s2, 0
	v_lshlrev_b64 v[0:1], 2, v[1:2]
	s_waitcnt lgkmcnt(0)
	v_add_f32_e32 v3, v3, v4
	s_delay_alu instid0(VALU_DEP_3)
	s_and_b32 vcc_lo, exec_lo, s0
	s_cbranch_vccnz .LBB124_13
; %bb.12:
	s_delay_alu instid0(VALU_DEP_2)
	v_add_co_u32 v4, vcc_lo, s8, v0
	v_add_co_ci_u32_e32 v5, vcc_lo, s9, v1, vcc_lo
	global_load_b32 v2, v[4:5], off
	s_waitcnt vmcnt(0)
	v_fmac_f32_e32 v3, s2, v2
.LBB124_13:
	s_delay_alu instid0(VALU_DEP_2)
	v_add_co_u32 v0, vcc_lo, s8, v0
	v_add_co_ci_u32_e32 v1, vcc_lo, s9, v1, vcc_lo
	global_store_b32 v[0:1], v3, off
.LBB124_14:
	s_nop 0
	s_sendmsg sendmsg(MSG_DEALLOC_VGPRS)
	s_endpgm
	.section	.rodata,"a",@progbits
	.p2align	6, 0x0
	.amdhsa_kernel _ZN9rocsparseL41csrmvn_lrb_medium_rows_warp_reduce_kernelILj256ELj32EliDF16_DF16_ffEEvbT1_lPT2_S3_jNS_24const_host_device_scalarIT6_EEPKS1_PKS2_PKT3_PKT4_S6_PT5_21rocsparse_index_base_b
		.amdhsa_group_segment_fixed_size 0
		.amdhsa_private_segment_fixed_size 0
		.amdhsa_kernarg_size 112
		.amdhsa_user_sgpr_count 15
		.amdhsa_user_sgpr_dispatch_ptr 0
		.amdhsa_user_sgpr_queue_ptr 0
		.amdhsa_user_sgpr_kernarg_segment_ptr 1
		.amdhsa_user_sgpr_dispatch_id 0
		.amdhsa_user_sgpr_private_segment_size 0
		.amdhsa_wavefront_size32 1
		.amdhsa_uses_dynamic_stack 0
		.amdhsa_enable_private_segment 0
		.amdhsa_system_sgpr_workgroup_id_x 1
		.amdhsa_system_sgpr_workgroup_id_y 0
		.amdhsa_system_sgpr_workgroup_id_z 0
		.amdhsa_system_sgpr_workgroup_info 0
		.amdhsa_system_vgpr_workitem_id 0
		.amdhsa_next_free_vgpr 15
		.amdhsa_next_free_sgpr 20
		.amdhsa_reserve_vcc 1
		.amdhsa_float_round_mode_32 0
		.amdhsa_float_round_mode_16_64 0
		.amdhsa_float_denorm_mode_32 3
		.amdhsa_float_denorm_mode_16_64 3
		.amdhsa_dx10_clamp 1
		.amdhsa_ieee_mode 1
		.amdhsa_fp16_overflow 0
		.amdhsa_workgroup_processor_mode 1
		.amdhsa_memory_ordered 1
		.amdhsa_forward_progress 0
		.amdhsa_shared_vgpr_count 0
		.amdhsa_exception_fp_ieee_invalid_op 0
		.amdhsa_exception_fp_denorm_src 0
		.amdhsa_exception_fp_ieee_div_zero 0
		.amdhsa_exception_fp_ieee_overflow 0
		.amdhsa_exception_fp_ieee_underflow 0
		.amdhsa_exception_fp_ieee_inexact 0
		.amdhsa_exception_int_div_zero 0
	.end_amdhsa_kernel
	.section	.text._ZN9rocsparseL41csrmvn_lrb_medium_rows_warp_reduce_kernelILj256ELj32EliDF16_DF16_ffEEvbT1_lPT2_S3_jNS_24const_host_device_scalarIT6_EEPKS1_PKS2_PKT3_PKT4_S6_PT5_21rocsparse_index_base_b,"axG",@progbits,_ZN9rocsparseL41csrmvn_lrb_medium_rows_warp_reduce_kernelILj256ELj32EliDF16_DF16_ffEEvbT1_lPT2_S3_jNS_24const_host_device_scalarIT6_EEPKS1_PKS2_PKT3_PKT4_S6_PT5_21rocsparse_index_base_b,comdat
.Lfunc_end124:
	.size	_ZN9rocsparseL41csrmvn_lrb_medium_rows_warp_reduce_kernelILj256ELj32EliDF16_DF16_ffEEvbT1_lPT2_S3_jNS_24const_host_device_scalarIT6_EEPKS1_PKS2_PKT3_PKT4_S6_PT5_21rocsparse_index_base_b, .Lfunc_end124-_ZN9rocsparseL41csrmvn_lrb_medium_rows_warp_reduce_kernelILj256ELj32EliDF16_DF16_ffEEvbT1_lPT2_S3_jNS_24const_host_device_scalarIT6_EEPKS1_PKS2_PKT3_PKT4_S6_PT5_21rocsparse_index_base_b
                                        ; -- End function
	.section	.AMDGPU.csdata,"",@progbits
; Kernel info:
; codeLenInByte = 936
; NumSgprs: 22
; NumVgprs: 15
; ScratchSize: 0
; MemoryBound: 0
; FloatMode: 240
; IeeeMode: 1
; LDSByteSize: 0 bytes/workgroup (compile time only)
; SGPRBlocks: 2
; VGPRBlocks: 1
; NumSGPRsForWavesPerEU: 22
; NumVGPRsForWavesPerEU: 15
; Occupancy: 16
; WaveLimiterHint : 1
; COMPUTE_PGM_RSRC2:SCRATCH_EN: 0
; COMPUTE_PGM_RSRC2:USER_SGPR: 15
; COMPUTE_PGM_RSRC2:TRAP_HANDLER: 0
; COMPUTE_PGM_RSRC2:TGID_X_EN: 1
; COMPUTE_PGM_RSRC2:TGID_Y_EN: 0
; COMPUTE_PGM_RSRC2:TGID_Z_EN: 0
; COMPUTE_PGM_RSRC2:TIDIG_COMP_CNT: 0
	.section	.text._ZN9rocsparseL41csrmvn_lrb_medium_rows_warp_reduce_kernelILj256ELj64EliDF16_DF16_ffEEvbT1_lPT2_S3_jNS_24const_host_device_scalarIT6_EEPKS1_PKS2_PKT3_PKT4_S6_PT5_21rocsparse_index_base_b,"axG",@progbits,_ZN9rocsparseL41csrmvn_lrb_medium_rows_warp_reduce_kernelILj256ELj64EliDF16_DF16_ffEEvbT1_lPT2_S3_jNS_24const_host_device_scalarIT6_EEPKS1_PKS2_PKT3_PKT4_S6_PT5_21rocsparse_index_base_b,comdat
	.globl	_ZN9rocsparseL41csrmvn_lrb_medium_rows_warp_reduce_kernelILj256ELj64EliDF16_DF16_ffEEvbT1_lPT2_S3_jNS_24const_host_device_scalarIT6_EEPKS1_PKS2_PKT3_PKT4_S6_PT5_21rocsparse_index_base_b ; -- Begin function _ZN9rocsparseL41csrmvn_lrb_medium_rows_warp_reduce_kernelILj256ELj64EliDF16_DF16_ffEEvbT1_lPT2_S3_jNS_24const_host_device_scalarIT6_EEPKS1_PKS2_PKT3_PKT4_S6_PT5_21rocsparse_index_base_b
	.p2align	8
	.type	_ZN9rocsparseL41csrmvn_lrb_medium_rows_warp_reduce_kernelILj256ELj64EliDF16_DF16_ffEEvbT1_lPT2_S3_jNS_24const_host_device_scalarIT6_EEPKS1_PKS2_PKT3_PKT4_S6_PT5_21rocsparse_index_base_b,@function
_ZN9rocsparseL41csrmvn_lrb_medium_rows_warp_reduce_kernelILj256ELj64EliDF16_DF16_ffEEvbT1_lPT2_S3_jNS_24const_host_device_scalarIT6_EEPKS1_PKS2_PKT3_PKT4_S6_PT5_21rocsparse_index_base_b: ; @_ZN9rocsparseL41csrmvn_lrb_medium_rows_warp_reduce_kernelILj256ELj64EliDF16_DF16_ffEEvbT1_lPT2_S3_jNS_24const_host_device_scalarIT6_EEPKS1_PKS2_PKT3_PKT4_S6_PT5_21rocsparse_index_base_b
; %bb.0:
	s_clause 0x2
	s_load_b64 s[4:5], s[0:1], 0x68
	s_load_b64 s[6:7], s[0:1], 0x30
	;; [unrolled: 1-line block ×3, first 2 shown]
	s_waitcnt lgkmcnt(0)
	s_bitcmp1_b32 s5, 0
	s_cselect_b32 s5, -1, 0
	s_delay_alu instid0(SALU_CYCLE_1)
	s_and_b32 vcc_lo, exec_lo, s5
	s_xor_b32 s5, s5, -1
	s_cbranch_vccnz .LBB125_2
; %bb.1:
	s_load_b32 s6, s[6:7], 0x0
.LBB125_2:
	s_and_not1_b32 vcc_lo, exec_lo, s5
	s_cbranch_vccnz .LBB125_4
; %bb.3:
	s_load_b32 s2, s[2:3], 0x0
.LBB125_4:
	s_waitcnt lgkmcnt(0)
	v_cmp_neq_f32_e64 s3, s6, 0
	v_cmp_neq_f32_e64 s5, s2, 1.0
	s_delay_alu instid0(VALU_DEP_1) | instskip(NEXT) | instid1(SALU_CYCLE_1)
	s_or_b32 s3, s3, s5
	s_and_not1_b32 vcc_lo, exec_lo, s3
	s_cbranch_vccnz .LBB125_14
; %bb.5:
	s_load_b64 s[8:9], s[0:1], 0x10
	v_lshrrev_b32_e32 v1, 6, v0
	s_mov_b32 s3, exec_lo
	s_delay_alu instid0(VALU_DEP_1) | instskip(NEXT) | instid1(VALU_DEP_1)
	v_lshl_or_b32 v1, s15, 2, v1
	v_ashrrev_i32_e32 v2, 31, v1
	s_waitcnt lgkmcnt(0)
	s_delay_alu instid0(VALU_DEP_1)
	v_cmpx_gt_i64_e64 s[8:9], v[1:2]
	s_cbranch_execz .LBB125_14
; %bb.6:
	s_clause 0x1
	s_load_b32 s10, s[0:1], 0x28
	s_load_b128 s[12:15], s[0:1], 0x18
	s_mov_b32 s11, 0
	v_dual_mov_b32 v11, 0 :: v_dual_and_b32 v0, 63, v0
	s_waitcnt lgkmcnt(0)
	s_lshl_b64 s[8:9], s[10:11], 2
	s_delay_alu instid0(SALU_CYCLE_1)
	s_add_u32 s8, s14, s8
	s_addc_u32 s9, s15, s9
	s_load_b32 s3, s[8:9], 0x0
	s_load_b64 s[8:9], s[0:1], 0x38
	s_waitcnt lgkmcnt(0)
	v_add_nc_u32_e32 v1, s3, v1
	v_sub_co_u32 v9, s3, v0, s4
	s_delay_alu instid0(VALU_DEP_1) | instskip(NEXT) | instid1(VALU_DEP_3)
	v_sub_co_ci_u32_e64 v10, null, 0, 0, s3
	v_ashrrev_i32_e32 v2, 31, v1
	s_mov_b32 s3, exec_lo
	s_delay_alu instid0(VALU_DEP_1) | instskip(NEXT) | instid1(VALU_DEP_1)
	v_lshlrev_b64 v[1:2], 2, v[1:2]
	v_add_co_u32 v1, vcc_lo, s12, v1
	s_delay_alu instid0(VALU_DEP_2) | instskip(SKIP_3) | instid1(VALU_DEP_1)
	v_add_co_ci_u32_e32 v2, vcc_lo, s13, v2, vcc_lo
	global_load_b32 v1, v[1:2], off
	s_waitcnt vmcnt(0)
	v_ashrrev_i32_e32 v2, 31, v1
	v_lshlrev_b64 v[3:4], 3, v[1:2]
	s_delay_alu instid0(VALU_DEP_1) | instskip(NEXT) | instid1(VALU_DEP_2)
	v_add_co_u32 v3, vcc_lo, s8, v3
	v_add_co_ci_u32_e32 v4, vcc_lo, s9, v4, vcc_lo
	s_load_b64 s[8:9], s[0:1], 0x60
	global_load_b128 v[5:8], v[3:4], off
	s_waitcnt vmcnt(0)
	v_sub_co_u32 v3, vcc_lo, v7, s4
	v_subrev_co_ci_u32_e32 v4, vcc_lo, 0, v8, vcc_lo
	v_add_co_u32 v5, vcc_lo, v5, v9
	v_add_co_ci_u32_e32 v6, vcc_lo, v6, v10, vcc_lo
	s_delay_alu instid0(VALU_DEP_1)
	v_cmpx_lt_i64_e64 v[5:6], v[3:4]
	s_cbranch_execz .LBB125_10
; %bb.7:
	s_clause 0x1
	s_load_b128 s[16:19], s[0:1], 0x40
	s_load_b64 s[12:13], s[0:1], 0x50
	v_lshlrev_b64 v[7:8], 1, v[5:6]
	v_lshlrev_b64 v[9:10], 2, v[5:6]
	v_mov_b32_e32 v11, 0
	s_waitcnt lgkmcnt(0)
	s_delay_alu instid0(VALU_DEP_3) | instskip(NEXT) | instid1(VALU_DEP_4)
	v_add_co_u32 v7, vcc_lo, s18, v7
	v_add_co_ci_u32_e32 v8, vcc_lo, s19, v8, vcc_lo
	s_delay_alu instid0(VALU_DEP_4)
	v_add_co_u32 v9, vcc_lo, s16, v9
	v_add_co_ci_u32_e32 v10, vcc_lo, s17, v10, vcc_lo
	s_set_inst_prefetch_distance 0x1
	.p2align	6
.LBB125_8:                              ; =>This Inner Loop Header: Depth=1
	global_load_b32 v12, v[9:10], off
	global_load_u16 v14, v[7:8], off
	v_add_co_u32 v9, s0, 0x100, v9
	s_delay_alu instid0(VALU_DEP_1) | instskip(SKIP_2) | instid1(VALU_DEP_1)
	v_add_co_ci_u32_e64 v10, s0, 0, v10, s0
	s_waitcnt vmcnt(1)
	v_subrev_nc_u32_e32 v12, s4, v12
	v_ashrrev_i32_e32 v13, 31, v12
	s_delay_alu instid0(VALU_DEP_1) | instskip(NEXT) | instid1(VALU_DEP_1)
	v_lshlrev_b64 v[12:13], 1, v[12:13]
	v_add_co_u32 v12, vcc_lo, s12, v12
	s_delay_alu instid0(VALU_DEP_2)
	v_add_co_ci_u32_e32 v13, vcc_lo, s13, v13, vcc_lo
	v_add_co_u32 v5, vcc_lo, v5, 64
	v_add_co_ci_u32_e32 v6, vcc_lo, 0, v6, vcc_lo
	global_load_u16 v12, v[12:13], off
	s_waitcnt vmcnt(1)
	v_cvt_f32_f16_e32 v13, v14
	v_add_co_u32 v7, vcc_lo, 0x80, v7
	v_add_co_ci_u32_e32 v8, vcc_lo, 0, v8, vcc_lo
	s_delay_alu instid0(VALU_DEP_3) | instskip(SKIP_3) | instid1(VALU_DEP_2)
	v_mul_f32_e32 v13, s6, v13
	v_cmp_ge_i64_e32 vcc_lo, v[5:6], v[3:4]
	s_or_b32 s11, vcc_lo, s11
	s_waitcnt vmcnt(0)
	v_fma_mix_f32 v11, v13, v12, v11 op_sel_hi:[0,1,0]
	s_and_not1_b32 exec_lo, exec_lo, s11
	s_cbranch_execnz .LBB125_8
; %bb.9:
	s_set_inst_prefetch_distance 0x2
	s_or_b32 exec_lo, exec_lo, s11
.LBB125_10:
	s_delay_alu instid0(SALU_CYCLE_1) | instskip(SKIP_1) | instid1(VALU_DEP_1)
	s_or_b32 exec_lo, exec_lo, s3
	v_mbcnt_lo_u32_b32 v3, -1, 0
	v_or_b32_e32 v4, 32, v3
	v_xor_b32_e32 v5, 16, v3
	v_xor_b32_e32 v6, 8, v3
	s_delay_alu instid0(VALU_DEP_3) | instskip(SKIP_1) | instid1(VALU_DEP_4)
	v_cmp_gt_i32_e32 vcc_lo, 32, v4
	v_cndmask_b32_e32 v4, v3, v4, vcc_lo
	v_cmp_gt_i32_e32 vcc_lo, 32, v5
	v_cndmask_b32_e32 v5, v3, v5, vcc_lo
	;; [unrolled: 2-line block ×3, first 2 shown]
	s_delay_alu instid0(VALU_DEP_1) | instskip(NEXT) | instid1(VALU_DEP_4)
	v_lshlrev_b32_e32 v6, 2, v6
	v_lshlrev_b32_e32 v5, 2, v5
	;; [unrolled: 1-line block ×3, first 2 shown]
	ds_bpermute_b32 v4, v4, v11
	s_waitcnt lgkmcnt(0)
	v_add_f32_e32 v4, v11, v4
	ds_bpermute_b32 v5, v5, v4
	s_waitcnt lgkmcnt(0)
	v_add_f32_e32 v4, v4, v5
	ds_bpermute_b32 v5, v6, v4
	v_xor_b32_e32 v6, 4, v3
	s_delay_alu instid0(VALU_DEP_1) | instskip(SKIP_1) | instid1(VALU_DEP_1)
	v_cmp_gt_i32_e32 vcc_lo, 32, v6
	v_cndmask_b32_e32 v6, v3, v6, vcc_lo
	v_lshlrev_b32_e32 v6, 2, v6
	s_waitcnt lgkmcnt(0)
	v_add_f32_e32 v4, v4, v5
	ds_bpermute_b32 v5, v6, v4
	v_xor_b32_e32 v6, 2, v3
	s_delay_alu instid0(VALU_DEP_1) | instskip(SKIP_1) | instid1(VALU_DEP_1)
	v_cmp_gt_i32_e32 vcc_lo, 32, v6
	v_cndmask_b32_e32 v6, v3, v6, vcc_lo
	v_lshlrev_b32_e32 v6, 2, v6
	s_waitcnt lgkmcnt(0)
	v_add_f32_e32 v4, v4, v5
	ds_bpermute_b32 v5, v6, v4
	v_xor_b32_e32 v6, 1, v3
	s_delay_alu instid0(VALU_DEP_1) | instskip(SKIP_3) | instid1(VALU_DEP_2)
	v_cmp_gt_i32_e32 vcc_lo, 32, v6
	v_cndmask_b32_e32 v6, v3, v6, vcc_lo
	v_cmp_eq_u32_e32 vcc_lo, 63, v0
	s_waitcnt lgkmcnt(0)
	v_dual_add_f32 v3, v4, v5 :: v_dual_lshlrev_b32 v4, 2, v6
	ds_bpermute_b32 v4, v4, v3
	s_and_b32 exec_lo, exec_lo, vcc_lo
	s_cbranch_execz .LBB125_14
; %bb.11:
	v_cmp_eq_f32_e64 s0, s2, 0
	v_lshlrev_b64 v[0:1], 2, v[1:2]
	s_waitcnt lgkmcnt(0)
	v_add_f32_e32 v3, v3, v4
	s_delay_alu instid0(VALU_DEP_3)
	s_and_b32 vcc_lo, exec_lo, s0
	s_cbranch_vccnz .LBB125_13
; %bb.12:
	s_delay_alu instid0(VALU_DEP_2)
	v_add_co_u32 v4, vcc_lo, s8, v0
	v_add_co_ci_u32_e32 v5, vcc_lo, s9, v1, vcc_lo
	global_load_b32 v2, v[4:5], off
	s_waitcnt vmcnt(0)
	v_fmac_f32_e32 v3, s2, v2
.LBB125_13:
	s_delay_alu instid0(VALU_DEP_2)
	v_add_co_u32 v0, vcc_lo, s8, v0
	v_add_co_ci_u32_e32 v1, vcc_lo, s9, v1, vcc_lo
	global_store_b32 v[0:1], v3, off
.LBB125_14:
	s_nop 0
	s_sendmsg sendmsg(MSG_DEALLOC_VGPRS)
	s_endpgm
	.section	.rodata,"a",@progbits
	.p2align	6, 0x0
	.amdhsa_kernel _ZN9rocsparseL41csrmvn_lrb_medium_rows_warp_reduce_kernelILj256ELj64EliDF16_DF16_ffEEvbT1_lPT2_S3_jNS_24const_host_device_scalarIT6_EEPKS1_PKS2_PKT3_PKT4_S6_PT5_21rocsparse_index_base_b
		.amdhsa_group_segment_fixed_size 0
		.amdhsa_private_segment_fixed_size 0
		.amdhsa_kernarg_size 112
		.amdhsa_user_sgpr_count 15
		.amdhsa_user_sgpr_dispatch_ptr 0
		.amdhsa_user_sgpr_queue_ptr 0
		.amdhsa_user_sgpr_kernarg_segment_ptr 1
		.amdhsa_user_sgpr_dispatch_id 0
		.amdhsa_user_sgpr_private_segment_size 0
		.amdhsa_wavefront_size32 1
		.amdhsa_uses_dynamic_stack 0
		.amdhsa_enable_private_segment 0
		.amdhsa_system_sgpr_workgroup_id_x 1
		.amdhsa_system_sgpr_workgroup_id_y 0
		.amdhsa_system_sgpr_workgroup_id_z 0
		.amdhsa_system_sgpr_workgroup_info 0
		.amdhsa_system_vgpr_workitem_id 0
		.amdhsa_next_free_vgpr 15
		.amdhsa_next_free_sgpr 20
		.amdhsa_reserve_vcc 1
		.amdhsa_float_round_mode_32 0
		.amdhsa_float_round_mode_16_64 0
		.amdhsa_float_denorm_mode_32 3
		.amdhsa_float_denorm_mode_16_64 3
		.amdhsa_dx10_clamp 1
		.amdhsa_ieee_mode 1
		.amdhsa_fp16_overflow 0
		.amdhsa_workgroup_processor_mode 1
		.amdhsa_memory_ordered 1
		.amdhsa_forward_progress 0
		.amdhsa_shared_vgpr_count 0
		.amdhsa_exception_fp_ieee_invalid_op 0
		.amdhsa_exception_fp_denorm_src 0
		.amdhsa_exception_fp_ieee_div_zero 0
		.amdhsa_exception_fp_ieee_overflow 0
		.amdhsa_exception_fp_ieee_underflow 0
		.amdhsa_exception_fp_ieee_inexact 0
		.amdhsa_exception_int_div_zero 0
	.end_amdhsa_kernel
	.section	.text._ZN9rocsparseL41csrmvn_lrb_medium_rows_warp_reduce_kernelILj256ELj64EliDF16_DF16_ffEEvbT1_lPT2_S3_jNS_24const_host_device_scalarIT6_EEPKS1_PKS2_PKT3_PKT4_S6_PT5_21rocsparse_index_base_b,"axG",@progbits,_ZN9rocsparseL41csrmvn_lrb_medium_rows_warp_reduce_kernelILj256ELj64EliDF16_DF16_ffEEvbT1_lPT2_S3_jNS_24const_host_device_scalarIT6_EEPKS1_PKS2_PKT3_PKT4_S6_PT5_21rocsparse_index_base_b,comdat
.Lfunc_end125:
	.size	_ZN9rocsparseL41csrmvn_lrb_medium_rows_warp_reduce_kernelILj256ELj64EliDF16_DF16_ffEEvbT1_lPT2_S3_jNS_24const_host_device_scalarIT6_EEPKS1_PKS2_PKT3_PKT4_S6_PT5_21rocsparse_index_base_b, .Lfunc_end125-_ZN9rocsparseL41csrmvn_lrb_medium_rows_warp_reduce_kernelILj256ELj64EliDF16_DF16_ffEEvbT1_lPT2_S3_jNS_24const_host_device_scalarIT6_EEPKS1_PKS2_PKT3_PKT4_S6_PT5_21rocsparse_index_base_b
                                        ; -- End function
	.section	.AMDGPU.csdata,"",@progbits
; Kernel info:
; codeLenInByte = 984
; NumSgprs: 22
; NumVgprs: 15
; ScratchSize: 0
; MemoryBound: 0
; FloatMode: 240
; IeeeMode: 1
; LDSByteSize: 0 bytes/workgroup (compile time only)
; SGPRBlocks: 2
; VGPRBlocks: 1
; NumSGPRsForWavesPerEU: 22
; NumVGPRsForWavesPerEU: 15
; Occupancy: 16
; WaveLimiterHint : 1
; COMPUTE_PGM_RSRC2:SCRATCH_EN: 0
; COMPUTE_PGM_RSRC2:USER_SGPR: 15
; COMPUTE_PGM_RSRC2:TRAP_HANDLER: 0
; COMPUTE_PGM_RSRC2:TGID_X_EN: 1
; COMPUTE_PGM_RSRC2:TGID_Y_EN: 0
; COMPUTE_PGM_RSRC2:TGID_Z_EN: 0
; COMPUTE_PGM_RSRC2:TIDIG_COMP_CNT: 0
	.section	.text._ZN9rocsparseL29csrmvn_lrb_medium_rows_kernelILj256EliDF16_DF16_ffEEvbT0_PT1_S3_jNS_24const_host_device_scalarIT5_EEPKS1_PKS2_PKT2_PKT3_S6_PT4_21rocsparse_index_base_b,"axG",@progbits,_ZN9rocsparseL29csrmvn_lrb_medium_rows_kernelILj256EliDF16_DF16_ffEEvbT0_PT1_S3_jNS_24const_host_device_scalarIT5_EEPKS1_PKS2_PKT2_PKT3_S6_PT4_21rocsparse_index_base_b,comdat
	.globl	_ZN9rocsparseL29csrmvn_lrb_medium_rows_kernelILj256EliDF16_DF16_ffEEvbT0_PT1_S3_jNS_24const_host_device_scalarIT5_EEPKS1_PKS2_PKT2_PKT3_S6_PT4_21rocsparse_index_base_b ; -- Begin function _ZN9rocsparseL29csrmvn_lrb_medium_rows_kernelILj256EliDF16_DF16_ffEEvbT0_PT1_S3_jNS_24const_host_device_scalarIT5_EEPKS1_PKS2_PKT2_PKT3_S6_PT4_21rocsparse_index_base_b
	.p2align	8
	.type	_ZN9rocsparseL29csrmvn_lrb_medium_rows_kernelILj256EliDF16_DF16_ffEEvbT0_PT1_S3_jNS_24const_host_device_scalarIT5_EEPKS1_PKS2_PKT2_PKT3_S6_PT4_21rocsparse_index_base_b,@function
_ZN9rocsparseL29csrmvn_lrb_medium_rows_kernelILj256EliDF16_DF16_ffEEvbT0_PT1_S3_jNS_24const_host_device_scalarIT5_EEPKS1_PKS2_PKT2_PKT3_S6_PT4_21rocsparse_index_base_b: ; @_ZN9rocsparseL29csrmvn_lrb_medium_rows_kernelILj256EliDF16_DF16_ffEEvbT0_PT1_S3_jNS_24const_host_device_scalarIT5_EEPKS1_PKS2_PKT2_PKT3_S6_PT4_21rocsparse_index_base_b
; %bb.0:
	s_clause 0x2
	s_load_b64 s[8:9], s[0:1], 0x60
	s_load_b64 s[10:11], s[0:1], 0x28
	;; [unrolled: 1-line block ×3, first 2 shown]
	s_waitcnt lgkmcnt(0)
	s_bitcmp1_b32 s9, 0
	s_cselect_b32 s4, -1, 0
	s_delay_alu instid0(SALU_CYCLE_1)
	s_and_b32 vcc_lo, exec_lo, s4
	s_xor_b32 s4, s4, -1
	s_cbranch_vccnz .LBB126_2
; %bb.1:
	s_load_b32 s10, s[10:11], 0x0
.LBB126_2:
	s_and_not1_b32 vcc_lo, exec_lo, s4
	s_cbranch_vccnz .LBB126_4
; %bb.3:
	s_load_b32 s2, s[2:3], 0x0
.LBB126_4:
	s_waitcnt lgkmcnt(0)
	v_cmp_neq_f32_e64 s3, s10, 0
	v_cmp_neq_f32_e64 s4, s2, 1.0
	s_mov_b32 s5, 0
	s_delay_alu instid0(VALU_DEP_1) | instskip(NEXT) | instid1(SALU_CYCLE_1)
	s_or_b32 s3, s3, s4
	s_and_not1_b32 vcc_lo, exec_lo, s3
	s_cbranch_vccnz .LBB126_29
; %bb.5:
	s_clause 0x1
	s_load_b32 s4, s[0:1], 0x20
	s_load_b128 s[16:19], s[0:1], 0x10
	v_mov_b32_e32 v7, 0
	s_waitcnt lgkmcnt(0)
	s_lshl_b64 s[4:5], s[4:5], 2
	s_delay_alu instid0(SALU_CYCLE_1)
	s_add_u32 s4, s18, s4
	s_addc_u32 s5, s19, s5
	s_load_b32 s3, s[4:5], 0x0
	s_waitcnt lgkmcnt(0)
	s_add_i32 s4, s3, s15
	v_sub_co_u32 v1, s3, v0, s8
	s_ashr_i32 s5, s4, 31
	v_sub_co_ci_u32_e64 v2, null, 0, 0, s3
	s_lshl_b64 s[4:5], s[4:5], 2
	s_mov_b32 s3, exec_lo
	s_add_u32 s4, s16, s4
	s_addc_u32 s5, s17, s5
	s_load_b32 s4, s[4:5], 0x0
	s_load_b64 s[6:7], s[0:1], 0x30
	s_waitcnt lgkmcnt(0)
	s_ashr_i32 s5, s4, 31
	s_delay_alu instid0(SALU_CYCLE_1) | instskip(NEXT) | instid1(SALU_CYCLE_1)
	s_lshl_b64 s[12:13], s[4:5], 3
	s_add_u32 s6, s6, s12
	s_addc_u32 s7, s7, s13
	s_load_b128 s[12:15], s[6:7], 0x0
	s_load_b64 s[6:7], s[0:1], 0x58
	s_waitcnt lgkmcnt(0)
	v_add_co_u32 v1, vcc_lo, s12, v1
	v_add_co_ci_u32_e32 v2, vcc_lo, s13, v2, vcc_lo
	s_sub_u32 s12, s14, s8
	s_subb_u32 s13, s15, 0
	s_delay_alu instid0(VALU_DEP_1) | instid1(SALU_CYCLE_1)
	v_cmpx_gt_i64_e64 s[12:13], v[1:2]
	s_cbranch_execz .LBB126_9
; %bb.6:
	s_clause 0x1
	s_load_b128 s[16:19], s[0:1], 0x38
	s_load_b64 s[14:15], s[0:1], 0x48
	v_lshlrev_b64 v[3:4], 1, v[1:2]
	v_lshlrev_b64 v[5:6], 2, v[1:2]
	v_mov_b32_e32 v7, 0
	s_mov_b32 s1, 0
	s_waitcnt lgkmcnt(0)
	s_delay_alu instid0(VALU_DEP_3)
	v_add_co_u32 v3, vcc_lo, s18, v3
	v_add_co_ci_u32_e32 v4, vcc_lo, s19, v4, vcc_lo
	v_add_co_u32 v5, vcc_lo, s16, v5
	v_add_co_ci_u32_e32 v6, vcc_lo, s17, v6, vcc_lo
	s_set_inst_prefetch_distance 0x1
	.p2align	6
.LBB126_7:                              ; =>This Inner Loop Header: Depth=1
	global_load_b32 v8, v[5:6], off
	global_load_u16 v10, v[3:4], off
	v_add_co_u32 v5, s0, 0x400, v5
	s_delay_alu instid0(VALU_DEP_1) | instskip(SKIP_2) | instid1(VALU_DEP_1)
	v_add_co_ci_u32_e64 v6, s0, 0, v6, s0
	s_waitcnt vmcnt(1)
	v_subrev_nc_u32_e32 v8, s8, v8
	v_ashrrev_i32_e32 v9, 31, v8
	s_delay_alu instid0(VALU_DEP_1) | instskip(NEXT) | instid1(VALU_DEP_1)
	v_lshlrev_b64 v[8:9], 1, v[8:9]
	v_add_co_u32 v8, vcc_lo, s14, v8
	s_delay_alu instid0(VALU_DEP_2)
	v_add_co_ci_u32_e32 v9, vcc_lo, s15, v9, vcc_lo
	v_add_co_u32 v1, vcc_lo, 0x100, v1
	v_add_co_ci_u32_e32 v2, vcc_lo, 0, v2, vcc_lo
	global_load_u16 v8, v[8:9], off
	s_waitcnt vmcnt(1)
	v_cvt_f32_f16_e32 v9, v10
	v_add_co_u32 v3, vcc_lo, 0x200, v3
	v_add_co_ci_u32_e32 v4, vcc_lo, 0, v4, vcc_lo
	s_delay_alu instid0(VALU_DEP_3) | instskip(SKIP_3) | instid1(VALU_DEP_2)
	v_mul_f32_e32 v9, s10, v9
	v_cmp_le_i64_e32 vcc_lo, s[12:13], v[1:2]
	s_or_b32 s1, vcc_lo, s1
	s_waitcnt vmcnt(0)
	v_fma_mix_f32 v7, v9, v8, v7 op_sel_hi:[0,1,0]
	s_and_not1_b32 exec_lo, exec_lo, s1
	s_cbranch_execnz .LBB126_7
; %bb.8:
	s_set_inst_prefetch_distance 0x2
	s_or_b32 exec_lo, exec_lo, s1
.LBB126_9:
	s_delay_alu instid0(SALU_CYCLE_1)
	s_or_b32 exec_lo, exec_lo, s3
	v_lshlrev_b32_e32 v1, 2, v0
	s_mov_b32 s0, exec_lo
	ds_store_b32 v1, v7
	s_waitcnt lgkmcnt(0)
	s_barrier
	buffer_gl0_inv
	v_cmpx_gt_u32_e32 0x80, v0
	s_cbranch_execz .LBB126_11
; %bb.10:
	ds_load_2addr_stride64_b32 v[2:3], v1 offset1:2
	s_waitcnt lgkmcnt(0)
	v_add_f32_e32 v2, v2, v3
	ds_store_b32 v1, v2
.LBB126_11:
	s_or_b32 exec_lo, exec_lo, s0
	s_delay_alu instid0(SALU_CYCLE_1)
	s_mov_b32 s0, exec_lo
	s_waitcnt lgkmcnt(0)
	s_barrier
	buffer_gl0_inv
	v_cmpx_gt_u32_e32 64, v0
	s_cbranch_execz .LBB126_13
; %bb.12:
	ds_load_2addr_stride64_b32 v[2:3], v1 offset1:1
	s_waitcnt lgkmcnt(0)
	v_add_f32_e32 v2, v2, v3
	ds_store_b32 v1, v2
.LBB126_13:
	s_or_b32 exec_lo, exec_lo, s0
	s_delay_alu instid0(SALU_CYCLE_1)
	s_mov_b32 s0, exec_lo
	s_waitcnt lgkmcnt(0)
	s_barrier
	buffer_gl0_inv
	v_cmpx_gt_u32_e32 32, v0
	s_cbranch_execz .LBB126_15
; %bb.14:
	ds_load_2addr_b32 v[2:3], v1 offset1:32
	s_waitcnt lgkmcnt(0)
	v_add_f32_e32 v2, v2, v3
	ds_store_b32 v1, v2
.LBB126_15:
	s_or_b32 exec_lo, exec_lo, s0
	s_delay_alu instid0(SALU_CYCLE_1)
	s_mov_b32 s0, exec_lo
	s_waitcnt lgkmcnt(0)
	s_barrier
	buffer_gl0_inv
	v_cmpx_gt_u32_e32 16, v0
	s_cbranch_execz .LBB126_17
; %bb.16:
	ds_load_2addr_b32 v[2:3], v1 offset1:16
	s_waitcnt lgkmcnt(0)
	v_add_f32_e32 v2, v2, v3
	ds_store_b32 v1, v2
.LBB126_17:
	;; [unrolled: 14-line block ×5, first 2 shown]
	s_or_b32 exec_lo, exec_lo, s0
	v_cmp_eq_u32_e32 vcc_lo, 0, v0
	s_waitcnt lgkmcnt(0)
	s_barrier
	buffer_gl0_inv
	s_and_saveexec_b32 s0, vcc_lo
	s_cbranch_execz .LBB126_25
; %bb.24:
	v_mov_b32_e32 v2, 0
	ds_load_b64 v[0:1], v2
	s_waitcnt lgkmcnt(0)
	v_add_f32_e32 v0, v0, v1
	ds_store_b32 v2, v0
.LBB126_25:
	s_or_b32 exec_lo, exec_lo, s0
	s_waitcnt lgkmcnt(0)
	s_barrier
	buffer_gl0_inv
	s_and_saveexec_b32 s0, vcc_lo
	s_cbranch_execz .LBB126_29
; %bb.26:
	v_mov_b32_e32 v0, 0
	v_cmp_eq_f32_e64 s0, s2, 0
	ds_load_b32 v1, v0
	s_and_b32 vcc_lo, exec_lo, s0
	s_cbranch_vccnz .LBB126_28
; %bb.27:
	s_lshl_b64 s[0:1], s[4:5], 2
	s_delay_alu instid0(SALU_CYCLE_1)
	s_add_u32 s0, s6, s0
	s_addc_u32 s1, s7, s1
	s_load_b32 s0, s[0:1], 0x0
	s_waitcnt lgkmcnt(0)
	v_fmac_f32_e64 v1, s2, s0
.LBB126_28:
	s_lshl_b64 s[0:1], s[4:5], 2
	s_delay_alu instid0(SALU_CYCLE_1)
	s_add_u32 s0, s6, s0
	s_addc_u32 s1, s7, s1
	s_waitcnt lgkmcnt(0)
	global_store_b32 v0, v1, s[0:1]
.LBB126_29:
	s_nop 0
	s_sendmsg sendmsg(MSG_DEALLOC_VGPRS)
	s_endpgm
	.section	.rodata,"a",@progbits
	.p2align	6, 0x0
	.amdhsa_kernel _ZN9rocsparseL29csrmvn_lrb_medium_rows_kernelILj256EliDF16_DF16_ffEEvbT0_PT1_S3_jNS_24const_host_device_scalarIT5_EEPKS1_PKS2_PKT2_PKT3_S6_PT4_21rocsparse_index_base_b
		.amdhsa_group_segment_fixed_size 1024
		.amdhsa_private_segment_fixed_size 0
		.amdhsa_kernarg_size 104
		.amdhsa_user_sgpr_count 15
		.amdhsa_user_sgpr_dispatch_ptr 0
		.amdhsa_user_sgpr_queue_ptr 0
		.amdhsa_user_sgpr_kernarg_segment_ptr 1
		.amdhsa_user_sgpr_dispatch_id 0
		.amdhsa_user_sgpr_private_segment_size 0
		.amdhsa_wavefront_size32 1
		.amdhsa_uses_dynamic_stack 0
		.amdhsa_enable_private_segment 0
		.amdhsa_system_sgpr_workgroup_id_x 1
		.amdhsa_system_sgpr_workgroup_id_y 0
		.amdhsa_system_sgpr_workgroup_id_z 0
		.amdhsa_system_sgpr_workgroup_info 0
		.amdhsa_system_vgpr_workitem_id 0
		.amdhsa_next_free_vgpr 11
		.amdhsa_next_free_sgpr 20
		.amdhsa_reserve_vcc 1
		.amdhsa_float_round_mode_32 0
		.amdhsa_float_round_mode_16_64 0
		.amdhsa_float_denorm_mode_32 3
		.amdhsa_float_denorm_mode_16_64 3
		.amdhsa_dx10_clamp 1
		.amdhsa_ieee_mode 1
		.amdhsa_fp16_overflow 0
		.amdhsa_workgroup_processor_mode 1
		.amdhsa_memory_ordered 1
		.amdhsa_forward_progress 0
		.amdhsa_shared_vgpr_count 0
		.amdhsa_exception_fp_ieee_invalid_op 0
		.amdhsa_exception_fp_denorm_src 0
		.amdhsa_exception_fp_ieee_div_zero 0
		.amdhsa_exception_fp_ieee_overflow 0
		.amdhsa_exception_fp_ieee_underflow 0
		.amdhsa_exception_fp_ieee_inexact 0
		.amdhsa_exception_int_div_zero 0
	.end_amdhsa_kernel
	.section	.text._ZN9rocsparseL29csrmvn_lrb_medium_rows_kernelILj256EliDF16_DF16_ffEEvbT0_PT1_S3_jNS_24const_host_device_scalarIT5_EEPKS1_PKS2_PKT2_PKT3_S6_PT4_21rocsparse_index_base_b,"axG",@progbits,_ZN9rocsparseL29csrmvn_lrb_medium_rows_kernelILj256EliDF16_DF16_ffEEvbT0_PT1_S3_jNS_24const_host_device_scalarIT5_EEPKS1_PKS2_PKT2_PKT3_S6_PT4_21rocsparse_index_base_b,comdat
.Lfunc_end126:
	.size	_ZN9rocsparseL29csrmvn_lrb_medium_rows_kernelILj256EliDF16_DF16_ffEEvbT0_PT1_S3_jNS_24const_host_device_scalarIT5_EEPKS1_PKS2_PKT2_PKT3_S6_PT4_21rocsparse_index_base_b, .Lfunc_end126-_ZN9rocsparseL29csrmvn_lrb_medium_rows_kernelILj256EliDF16_DF16_ffEEvbT0_PT1_S3_jNS_24const_host_device_scalarIT5_EEPKS1_PKS2_PKT2_PKT3_S6_PT4_21rocsparse_index_base_b
                                        ; -- End function
	.section	.AMDGPU.csdata,"",@progbits
; Kernel info:
; codeLenInByte = 1192
; NumSgprs: 22
; NumVgprs: 11
; ScratchSize: 0
; MemoryBound: 0
; FloatMode: 240
; IeeeMode: 1
; LDSByteSize: 1024 bytes/workgroup (compile time only)
; SGPRBlocks: 2
; VGPRBlocks: 1
; NumSGPRsForWavesPerEU: 22
; NumVGPRsForWavesPerEU: 11
; Occupancy: 16
; WaveLimiterHint : 1
; COMPUTE_PGM_RSRC2:SCRATCH_EN: 0
; COMPUTE_PGM_RSRC2:USER_SGPR: 15
; COMPUTE_PGM_RSRC2:TRAP_HANDLER: 0
; COMPUTE_PGM_RSRC2:TGID_X_EN: 1
; COMPUTE_PGM_RSRC2:TGID_Y_EN: 0
; COMPUTE_PGM_RSRC2:TGID_Z_EN: 0
; COMPUTE_PGM_RSRC2:TIDIG_COMP_CNT: 0
	.section	.text._ZN9rocsparseL27csrmvn_lrb_long_rows_kernelIliDF16_DF16_ffEEvbT_PjPT0_S4_jNS_24const_host_device_scalarIT4_EEPKS1_PKS3_PKT1_PKT2_S7_PT3_21rocsparse_index_base_b,"axG",@progbits,_ZN9rocsparseL27csrmvn_lrb_long_rows_kernelIliDF16_DF16_ffEEvbT_PjPT0_S4_jNS_24const_host_device_scalarIT4_EEPKS1_PKS3_PKT1_PKT2_S7_PT3_21rocsparse_index_base_b,comdat
	.globl	_ZN9rocsparseL27csrmvn_lrb_long_rows_kernelIliDF16_DF16_ffEEvbT_PjPT0_S4_jNS_24const_host_device_scalarIT4_EEPKS1_PKS3_PKT1_PKT2_S7_PT3_21rocsparse_index_base_b ; -- Begin function _ZN9rocsparseL27csrmvn_lrb_long_rows_kernelIliDF16_DF16_ffEEvbT_PjPT0_S4_jNS_24const_host_device_scalarIT4_EEPKS1_PKS3_PKT1_PKT2_S7_PT3_21rocsparse_index_base_b
	.p2align	8
	.type	_ZN9rocsparseL27csrmvn_lrb_long_rows_kernelIliDF16_DF16_ffEEvbT_PjPT0_S4_jNS_24const_host_device_scalarIT4_EEPKS1_PKS3_PKT1_PKT2_S7_PT3_21rocsparse_index_base_b,@function
_ZN9rocsparseL27csrmvn_lrb_long_rows_kernelIliDF16_DF16_ffEEvbT_PjPT0_S4_jNS_24const_host_device_scalarIT4_EEPKS1_PKS3_PKT1_PKT2_S7_PT3_21rocsparse_index_base_b: ; @_ZN9rocsparseL27csrmvn_lrb_long_rows_kernelIliDF16_DF16_ffEEvbT_PjPT0_S4_jNS_24const_host_device_scalarIT4_EEPKS1_PKS3_PKT1_PKT2_S7_PT3_21rocsparse_index_base_b
; %bb.0:
	s_clause 0x2
	s_load_b64 s[16:17], s[0:1], 0x68
	s_load_b64 s[18:19], s[0:1], 0x30
	;; [unrolled: 1-line block ×3, first 2 shown]
	s_mov_b32 s8, s15
	s_waitcnt lgkmcnt(0)
	s_bitcmp1_b32 s17, 0
	s_cselect_b32 s2, -1, 0
	s_delay_alu instid0(SALU_CYCLE_1)
	s_and_b32 vcc_lo, exec_lo, s2
	s_xor_b32 s2, s2, -1
	s_cbranch_vccnz .LBB127_2
; %bb.1:
	s_load_b32 s18, s[18:19], 0x0
.LBB127_2:
	s_and_not1_b32 vcc_lo, exec_lo, s2
	s_cbranch_vccnz .LBB127_4
; %bb.3:
	s_load_b32 s20, s[20:21], 0x0
.LBB127_4:
	s_waitcnt lgkmcnt(0)
	v_cmp_neq_f32_e64 s2, s18, 0
	v_cmp_neq_f32_e64 s3, s20, 1.0
	s_delay_alu instid0(VALU_DEP_1)
	s_or_b32 s2, s2, s3
	s_mov_b32 s3, 0
	s_and_not1_b32 vcc_lo, exec_lo, s2
	s_cbranch_vccnz .LBB127_39
; %bb.5:
	s_clause 0x1
	s_load_b32 s2, s[0:1], 0x28
	s_load_b64 s[4:5], s[0:1], 0x20
	v_mov_b32_e32 v7, 0
	s_mov_b32 s21, exec_lo
	s_waitcnt lgkmcnt(0)
	s_lshl_b64 s[6:7], s[2:3], 2
	s_delay_alu instid0(SALU_CYCLE_1)
	s_add_u32 s4, s4, s6
	s_addc_u32 s5, s5, s7
	s_lshl_b32 s2, -1, s2
	s_load_b32 s10, s[4:5], 0x0
	s_not_b32 s2, s2
	s_load_b128 s[4:7], s[0:1], 0x10
	s_mul_hi_u32 s2, s2, 0x2aaaaaab
	s_delay_alu instid0(SALU_CYCLE_1) | instskip(NEXT) | instid1(SALU_CYCLE_1)
	s_lshr_b32 s2, s2, 7
	s_add_i32 s9, s2, 1
	s_not_b32 s2, s2
	v_cvt_f32_u32_e32 v1, s9
	s_delay_alu instid0(VALU_DEP_1) | instskip(SKIP_2) | instid1(VALU_DEP_1)
	v_rcp_iflag_f32_e32 v1, v1
	s_waitcnt_depctr 0xfff
	v_mul_f32_e32 v1, 0x4f7ffffe, v1
	v_cvt_u32_f32_e32 v1, v1
	s_delay_alu instid0(VALU_DEP_1) | instskip(NEXT) | instid1(VALU_DEP_1)
	v_readfirstlane_b32 s3, v1
	s_mul_i32 s2, s2, s3
	s_delay_alu instid0(SALU_CYCLE_1) | instskip(NEXT) | instid1(SALU_CYCLE_1)
	s_mul_hi_u32 s2, s3, s2
	s_add_i32 s3, s3, s2
	s_delay_alu instid0(SALU_CYCLE_1) | instskip(NEXT) | instid1(SALU_CYCLE_1)
	s_mul_hi_u32 s2, s8, s3
	s_mul_i32 s3, s2, s9
	s_add_i32 s11, s2, 1
	s_sub_i32 s3, s8, s3
	s_delay_alu instid0(SALU_CYCLE_1)
	s_sub_i32 s12, s3, s9
	s_cmp_ge_u32 s3, s9
	s_cselect_b32 s2, s11, s2
	s_cselect_b32 s3, s12, s3
	s_add_i32 s11, s2, 1
	s_cmp_ge_u32 s3, s9
	s_cselect_b32 s11, s11, s2
	s_waitcnt lgkmcnt(0)
	s_add_i32 s2, s11, s10
	s_mul_i32 s14, s11, s9
	s_ashr_i32 s3, s2, 31
	s_sub_i32 s19, s8, s14
	s_lshl_b64 s[2:3], s[2:3], 2
	v_or_b32_e32 v1, s19, v0
	s_add_u32 s2, s6, s2
	s_addc_u32 s3, s7, s3
	s_load_b32 s2, s[2:3], 0x0
	s_load_b64 s[6:7], s[0:1], 0x38
	s_waitcnt lgkmcnt(0)
	s_ashr_i32 s3, s2, 31
	s_delay_alu instid0(SALU_CYCLE_1) | instskip(NEXT) | instid1(SALU_CYCLE_1)
	s_lshl_b64 s[10:11], s[2:3], 3
	s_add_u32 s10, s6, s10
	s_addc_u32 s11, s7, s11
	s_ashr_i32 s9, s8, 31
	s_load_b64 s[6:7], s[0:1], 0x60
	s_lshl_b64 s[8:9], s[8:9], 2
	s_delay_alu instid0(SALU_CYCLE_1)
	s_add_u32 s12, s4, s8
	s_addc_u32 s13, s5, s9
	s_load_b128 s[8:11], s[10:11], 0x0
	s_load_b32 s17, s[12:13], 0x0
	v_cmpx_eq_u32_e32 0, v1
	s_cbranch_execz .LBB127_9
; %bb.6:
	s_lshl_b64 s[24:25], s[2:3], 2
	s_mov_b32 s23, exec_lo
	s_waitcnt lgkmcnt(0)
	s_add_u32 s24, s6, s24
	s_addc_u32 s25, s7, s25
	v_mbcnt_lo_u32_b32 v2, s23, 0
	s_load_b32 s22, s[24:25], 0x0
	v_add_f32_e64 v1, s20, -1.0
	s_mov_b32 s20, exec_lo
	s_waitcnt vmcnt(0) expcnt(0) lgkmcnt(0)
	v_cmpx_eq_u32_e32 0, v2
	s_cbranch_execz .LBB127_8
; %bb.7:
	s_ashr_i32 s15, s14, 31
	s_delay_alu instid0(SALU_CYCLE_1) | instskip(NEXT) | instid1(SALU_CYCLE_1)
	s_lshl_b64 s[24:25], s[14:15], 2
	s_add_u32 s24, s4, s24
	s_addc_u32 s25, s5, s25
	s_bcnt1_i32_b32 s15, s23
	s_delay_alu instid0(SALU_CYCLE_1) | instskip(NEXT) | instid1(SALU_CYCLE_1)
	s_and_b32 s15, s15, 1
	v_dual_mov_b32 v2, 0 :: v_dual_mov_b32 v3, s15
	global_atomic_xor_b32 v2, v3, s[24:25]
.LBB127_8:
	s_or_b32 exec_lo, exec_lo, s20
	v_mul_f32_e32 v7, s22, v1
.LBB127_9:
	s_or_b32 exec_lo, exec_lo, s21
	s_mul_i32 s20, s19, 3
	s_mov_b32 s21, 0
	s_delay_alu instid0(SALU_CYCLE_1)
	s_lshl_b64 s[22:23], s[20:21], 8
	s_waitcnt lgkmcnt(0)
	s_sub_u32 s8, s8, s16
	s_subb_u32 s9, s9, 0
	s_add_u32 s15, s8, s22
	s_addc_u32 s20, s9, s23
	s_sub_u32 s8, s10, s16
	s_subb_u32 s9, s11, 0
	s_add_u32 s10, s15, 0x300
	s_addc_u32 s11, s20, 0
	v_add_co_u32 v1, s15, s15, v0
	v_cmp_lt_i64_e64 s22, s[10:11], s[8:9]
	v_add_co_ci_u32_e64 v2, null, s20, 0, s15
	s_delay_alu instid0(VALU_DEP_2)
	s_and_b32 s15, s22, exec_lo
	s_cselect_b32 s9, s11, s9
	s_cselect_b32 s8, s10, s8
	s_mov_b32 s15, exec_lo
	v_cmpx_gt_i64_e64 s[8:9], v[1:2]
	s_cbranch_execz .LBB127_13
; %bb.10:
	s_clause 0x1
	s_load_b128 s[24:27], s[0:1], 0x40
	s_load_b64 s[10:11], s[0:1], 0x50
	v_lshlrev_b64 v[3:4], 1, v[1:2]
	v_lshlrev_b64 v[5:6], 2, v[1:2]
	s_waitcnt lgkmcnt(0)
	s_delay_alu instid0(VALU_DEP_2) | instskip(NEXT) | instid1(VALU_DEP_3)
	v_add_co_u32 v3, vcc_lo, s26, v3
	v_add_co_ci_u32_e32 v4, vcc_lo, s27, v4, vcc_lo
	s_delay_alu instid0(VALU_DEP_3) | instskip(NEXT) | instid1(VALU_DEP_4)
	v_add_co_u32 v5, vcc_lo, s24, v5
	v_add_co_ci_u32_e32 v6, vcc_lo, s25, v6, vcc_lo
	s_set_inst_prefetch_distance 0x1
	.p2align	6
.LBB127_11:                             ; =>This Inner Loop Header: Depth=1
	global_load_b32 v8, v[5:6], off
	global_load_u16 v10, v[3:4], off
	v_add_co_u32 v5, s0, 0x400, v5
	s_delay_alu instid0(VALU_DEP_1) | instskip(SKIP_2) | instid1(VALU_DEP_1)
	v_add_co_ci_u32_e64 v6, s0, 0, v6, s0
	s_waitcnt vmcnt(1)
	v_subrev_nc_u32_e32 v8, s16, v8
	v_ashrrev_i32_e32 v9, 31, v8
	s_delay_alu instid0(VALU_DEP_1) | instskip(NEXT) | instid1(VALU_DEP_1)
	v_lshlrev_b64 v[8:9], 1, v[8:9]
	v_add_co_u32 v8, vcc_lo, s10, v8
	s_delay_alu instid0(VALU_DEP_2)
	v_add_co_ci_u32_e32 v9, vcc_lo, s11, v9, vcc_lo
	v_add_co_u32 v1, vcc_lo, 0x100, v1
	v_add_co_ci_u32_e32 v2, vcc_lo, 0, v2, vcc_lo
	global_load_u16 v8, v[8:9], off
	s_waitcnt vmcnt(1)
	v_cvt_f32_f16_e32 v9, v10
	v_add_co_u32 v3, vcc_lo, 0x200, v3
	v_add_co_ci_u32_e32 v4, vcc_lo, 0, v4, vcc_lo
	s_delay_alu instid0(VALU_DEP_3) | instskip(SKIP_3) | instid1(VALU_DEP_2)
	v_mul_f32_e32 v9, s18, v9
	v_cmp_le_i64_e32 vcc_lo, s[8:9], v[1:2]
	s_or_b32 s21, vcc_lo, s21
	s_waitcnt vmcnt(0)
	v_fma_mix_f32 v7, v9, v8, v7 op_sel_hi:[0,1,0]
	s_and_not1_b32 exec_lo, exec_lo, s21
	s_cbranch_execnz .LBB127_11
; %bb.12:
	s_set_inst_prefetch_distance 0x2
	s_or_b32 exec_lo, exec_lo, s21
.LBB127_13:
	s_delay_alu instid0(SALU_CYCLE_1)
	s_or_b32 exec_lo, exec_lo, s15
	v_lshlrev_b32_e32 v1, 2, v0
	s_mov_b32 s0, exec_lo
	ds_store_b32 v1, v7
	s_waitcnt lgkmcnt(0)
	s_waitcnt_vscnt null, 0x0
	s_barrier
	buffer_gl0_inv
	v_cmpx_gt_u32_e32 0x80, v0
	s_cbranch_execz .LBB127_15
; %bb.14:
	ds_load_2addr_stride64_b32 v[2:3], v1 offset1:2
	s_waitcnt lgkmcnt(0)
	v_add_f32_e32 v2, v2, v3
	ds_store_b32 v1, v2
.LBB127_15:
	s_or_b32 exec_lo, exec_lo, s0
	s_delay_alu instid0(SALU_CYCLE_1)
	s_mov_b32 s0, exec_lo
	s_waitcnt lgkmcnt(0)
	s_barrier
	buffer_gl0_inv
	v_cmpx_gt_u32_e32 64, v0
	s_cbranch_execz .LBB127_17
; %bb.16:
	ds_load_2addr_stride64_b32 v[2:3], v1 offset1:1
	s_waitcnt lgkmcnt(0)
	v_add_f32_e32 v2, v2, v3
	ds_store_b32 v1, v2
.LBB127_17:
	s_or_b32 exec_lo, exec_lo, s0
	s_delay_alu instid0(SALU_CYCLE_1)
	s_mov_b32 s0, exec_lo
	s_waitcnt lgkmcnt(0)
	s_barrier
	buffer_gl0_inv
	v_cmpx_gt_u32_e32 32, v0
	s_cbranch_execz .LBB127_19
; %bb.18:
	ds_load_2addr_b32 v[2:3], v1 offset1:32
	s_waitcnt lgkmcnt(0)
	v_add_f32_e32 v2, v2, v3
	ds_store_b32 v1, v2
.LBB127_19:
	s_or_b32 exec_lo, exec_lo, s0
	s_delay_alu instid0(SALU_CYCLE_1)
	s_mov_b32 s0, exec_lo
	s_waitcnt lgkmcnt(0)
	s_barrier
	buffer_gl0_inv
	v_cmpx_gt_u32_e32 16, v0
	s_cbranch_execz .LBB127_21
; %bb.20:
	ds_load_2addr_b32 v[2:3], v1 offset1:16
	s_waitcnt lgkmcnt(0)
	v_add_f32_e32 v2, v2, v3
	ds_store_b32 v1, v2
.LBB127_21:
	;; [unrolled: 14-line block ×5, first 2 shown]
	s_or_b32 exec_lo, exec_lo, s0
	v_cmp_eq_u32_e32 vcc_lo, 0, v0
	s_waitcnt lgkmcnt(0)
	s_barrier
	buffer_gl0_inv
	s_and_saveexec_b32 s0, vcc_lo
	s_cbranch_execz .LBB127_29
; %bb.28:
	v_mov_b32_e32 v2, 0
	ds_load_b64 v[0:1], v2
	s_waitcnt lgkmcnt(0)
	v_add_f32_e32 v0, v0, v1
	ds_store_b32 v2, v0
.LBB127_29:
	s_or_b32 exec_lo, exec_lo, s0
	s_waitcnt lgkmcnt(0)
	s_barrier
	buffer_gl0_inv
	s_and_saveexec_b32 s0, vcc_lo
	s_cbranch_execz .LBB127_39
; %bb.30:
	s_cmp_eq_u32 s19, 0
	s_cbranch_scc1 .LBB127_36
; %bb.31:
	s_ashr_i32 s15, s14, 31
	v_mov_b32_e32 v0, 0
	s_lshl_b64 s[0:1], s[14:15], 2
	s_delay_alu instid0(SALU_CYCLE_1)
	s_add_u32 s0, s4, s0
	s_addc_u32 s1, s5, s1
	s_branch .LBB127_33
.LBB127_32:                             ;   in Loop: Header=BB127_33 Depth=1
	s_or_b32 exec_lo, exec_lo, s4
	s_waitcnt vmcnt(0)
	v_readfirstlane_b32 s4, v1
	s_delay_alu instid0(VALU_DEP_1)
	s_cmp_eq_u32 s4, s17
	s_cbranch_scc0 .LBB127_35
.LBB127_33:                             ; =>This Inner Loop Header: Depth=1
	v_mbcnt_lo_u32_b32 v1, exec_lo, 0
	s_delay_alu instid0(VALU_DEP_1)
	v_cmp_eq_u32_e32 vcc_lo, 0, v1
                                        ; implicit-def: $vgpr1
	s_and_saveexec_b32 s4, vcc_lo
	s_cbranch_execz .LBB127_32
; %bb.34:                               ;   in Loop: Header=BB127_33 Depth=1
	global_load_b32 v1, v0, s[0:1] glc
	s_branch .LBB127_32
.LBB127_35:
	v_mov_b32_e32 v0, 0
	global_load_b32 v1, v0, s[12:13]
	s_waitcnt vmcnt(0)
	v_xor_b32_e32 v1, 1, v1
	global_store_b32 v0, v1, s[12:13]
.LBB127_36:
	s_mov_b32 s4, exec_lo
	s_delay_alu instid0(SALU_CYCLE_1) | instskip(NEXT) | instid1(VALU_DEP_1)
	v_mbcnt_lo_u32_b32 v0, s4, 0
	v_cmp_eq_u32_e32 vcc_lo, 0, v0
	s_and_b32 s0, exec_lo, vcc_lo
	s_delay_alu instid0(SALU_CYCLE_1)
	s_mov_b32 exec_lo, s0
	s_cbranch_execz .LBB127_39
; %bb.37:
	s_lshl_b64 s[0:1], s[2:3], 2
	s_delay_alu instid0(SALU_CYCLE_1) | instskip(SKIP_2) | instid1(SALU_CYCLE_1)
	s_add_u32 s0, s6, s0
	s_addc_u32 s1, s7, s1
	s_bcnt1_i32_b32 s2, s4
	v_cvt_f32_ubyte0_e32 v3, s2
	v_mov_b32_e32 v2, 0
	s_mov_b32 s2, 0
	global_load_b32 v1, v2, s[0:1]
	ds_load_b32 v0, v2
	s_waitcnt lgkmcnt(0)
	v_mul_f32_e32 v3, v0, v3
.LBB127_38:                             ; =>This Inner Loop Header: Depth=1
	s_waitcnt vmcnt(0)
	s_delay_alu instid0(VALU_DEP_1)
	v_add_f32_e32 v0, v1, v3
	global_atomic_cmpswap_b32 v0, v2, v[0:1], s[0:1] glc
	s_waitcnt vmcnt(0)
	v_cmp_eq_u32_e32 vcc_lo, v0, v1
	v_mov_b32_e32 v1, v0
	s_or_b32 s2, vcc_lo, s2
	s_delay_alu instid0(SALU_CYCLE_1)
	s_and_not1_b32 exec_lo, exec_lo, s2
	s_cbranch_execnz .LBB127_38
.LBB127_39:
	s_nop 0
	s_sendmsg sendmsg(MSG_DEALLOC_VGPRS)
	s_endpgm
	.section	.rodata,"a",@progbits
	.p2align	6, 0x0
	.amdhsa_kernel _ZN9rocsparseL27csrmvn_lrb_long_rows_kernelIliDF16_DF16_ffEEvbT_PjPT0_S4_jNS_24const_host_device_scalarIT4_EEPKS1_PKS3_PKT1_PKT2_S7_PT3_21rocsparse_index_base_b
		.amdhsa_group_segment_fixed_size 1024
		.amdhsa_private_segment_fixed_size 0
		.amdhsa_kernarg_size 112
		.amdhsa_user_sgpr_count 15
		.amdhsa_user_sgpr_dispatch_ptr 0
		.amdhsa_user_sgpr_queue_ptr 0
		.amdhsa_user_sgpr_kernarg_segment_ptr 1
		.amdhsa_user_sgpr_dispatch_id 0
		.amdhsa_user_sgpr_private_segment_size 0
		.amdhsa_wavefront_size32 1
		.amdhsa_uses_dynamic_stack 0
		.amdhsa_enable_private_segment 0
		.amdhsa_system_sgpr_workgroup_id_x 1
		.amdhsa_system_sgpr_workgroup_id_y 0
		.amdhsa_system_sgpr_workgroup_id_z 0
		.amdhsa_system_sgpr_workgroup_info 0
		.amdhsa_system_vgpr_workitem_id 0
		.amdhsa_next_free_vgpr 11
		.amdhsa_next_free_sgpr 28
		.amdhsa_reserve_vcc 1
		.amdhsa_float_round_mode_32 0
		.amdhsa_float_round_mode_16_64 0
		.amdhsa_float_denorm_mode_32 3
		.amdhsa_float_denorm_mode_16_64 3
		.amdhsa_dx10_clamp 1
		.amdhsa_ieee_mode 1
		.amdhsa_fp16_overflow 0
		.amdhsa_workgroup_processor_mode 1
		.amdhsa_memory_ordered 1
		.amdhsa_forward_progress 0
		.amdhsa_shared_vgpr_count 0
		.amdhsa_exception_fp_ieee_invalid_op 0
		.amdhsa_exception_fp_denorm_src 0
		.amdhsa_exception_fp_ieee_div_zero 0
		.amdhsa_exception_fp_ieee_overflow 0
		.amdhsa_exception_fp_ieee_underflow 0
		.amdhsa_exception_fp_ieee_inexact 0
		.amdhsa_exception_int_div_zero 0
	.end_amdhsa_kernel
	.section	.text._ZN9rocsparseL27csrmvn_lrb_long_rows_kernelIliDF16_DF16_ffEEvbT_PjPT0_S4_jNS_24const_host_device_scalarIT4_EEPKS1_PKS3_PKT1_PKT2_S7_PT3_21rocsparse_index_base_b,"axG",@progbits,_ZN9rocsparseL27csrmvn_lrb_long_rows_kernelIliDF16_DF16_ffEEvbT_PjPT0_S4_jNS_24const_host_device_scalarIT4_EEPKS1_PKS3_PKT1_PKT2_S7_PT3_21rocsparse_index_base_b,comdat
.Lfunc_end127:
	.size	_ZN9rocsparseL27csrmvn_lrb_long_rows_kernelIliDF16_DF16_ffEEvbT_PjPT0_S4_jNS_24const_host_device_scalarIT4_EEPKS1_PKS3_PKT1_PKT2_S7_PT3_21rocsparse_index_base_b, .Lfunc_end127-_ZN9rocsparseL27csrmvn_lrb_long_rows_kernelIliDF16_DF16_ffEEvbT_PjPT0_S4_jNS_24const_host_device_scalarIT4_EEPKS1_PKS3_PKT1_PKT2_S7_PT3_21rocsparse_index_base_b
                                        ; -- End function
	.section	.AMDGPU.csdata,"",@progbits
; Kernel info:
; codeLenInByte = 1736
; NumSgprs: 30
; NumVgprs: 11
; ScratchSize: 0
; MemoryBound: 0
; FloatMode: 240
; IeeeMode: 1
; LDSByteSize: 1024 bytes/workgroup (compile time only)
; SGPRBlocks: 3
; VGPRBlocks: 1
; NumSGPRsForWavesPerEU: 30
; NumVGPRsForWavesPerEU: 11
; Occupancy: 16
; WaveLimiterHint : 1
; COMPUTE_PGM_RSRC2:SCRATCH_EN: 0
; COMPUTE_PGM_RSRC2:USER_SGPR: 15
; COMPUTE_PGM_RSRC2:TRAP_HANDLER: 0
; COMPUTE_PGM_RSRC2:TGID_X_EN: 1
; COMPUTE_PGM_RSRC2:TGID_Y_EN: 0
; COMPUTE_PGM_RSRC2:TGID_Z_EN: 0
; COMPUTE_PGM_RSRC2:TIDIG_COMP_CNT: 0
	.section	.text._ZN9rocsparseL28csrmvn_lrb_short_rows_kernelIllDF16_DF16_ffEEvbT_PT0_S3_jNS_24const_host_device_scalarIT4_EEPKS1_PKS2_PKT1_PKT2_S6_PT3_21rocsparse_index_base_b,"axG",@progbits,_ZN9rocsparseL28csrmvn_lrb_short_rows_kernelIllDF16_DF16_ffEEvbT_PT0_S3_jNS_24const_host_device_scalarIT4_EEPKS1_PKS2_PKT1_PKT2_S6_PT3_21rocsparse_index_base_b,comdat
	.globl	_ZN9rocsparseL28csrmvn_lrb_short_rows_kernelIllDF16_DF16_ffEEvbT_PT0_S3_jNS_24const_host_device_scalarIT4_EEPKS1_PKS2_PKT1_PKT2_S6_PT3_21rocsparse_index_base_b ; -- Begin function _ZN9rocsparseL28csrmvn_lrb_short_rows_kernelIllDF16_DF16_ffEEvbT_PT0_S3_jNS_24const_host_device_scalarIT4_EEPKS1_PKS2_PKT1_PKT2_S6_PT3_21rocsparse_index_base_b
	.p2align	8
	.type	_ZN9rocsparseL28csrmvn_lrb_short_rows_kernelIllDF16_DF16_ffEEvbT_PT0_S3_jNS_24const_host_device_scalarIT4_EEPKS1_PKS2_PKT1_PKT2_S6_PT3_21rocsparse_index_base_b,@function
_ZN9rocsparseL28csrmvn_lrb_short_rows_kernelIllDF16_DF16_ffEEvbT_PT0_S3_jNS_24const_host_device_scalarIT4_EEPKS1_PKS2_PKT1_PKT2_S6_PT3_21rocsparse_index_base_b: ; @_ZN9rocsparseL28csrmvn_lrb_short_rows_kernelIllDF16_DF16_ffEEvbT_PT0_S3_jNS_24const_host_device_scalarIT4_EEPKS1_PKS2_PKT1_PKT2_S6_PT3_21rocsparse_index_base_b
; %bb.0:
	s_clause 0x2
	s_load_b64 s[20:21], s[0:1], 0x60
	s_load_b64 s[22:23], s[0:1], 0x28
	;; [unrolled: 1-line block ×3, first 2 shown]
	s_waitcnt lgkmcnt(0)
	s_bitcmp1_b32 s21, 0
	s_cselect_b32 s4, -1, 0
	s_delay_alu instid0(SALU_CYCLE_1)
	s_and_b32 vcc_lo, exec_lo, s4
	s_xor_b32 s4, s4, -1
	s_cbranch_vccnz .LBB128_2
; %bb.1:
	s_load_b32 s22, s[22:23], 0x0
.LBB128_2:
	s_and_not1_b32 vcc_lo, exec_lo, s4
	s_cbranch_vccnz .LBB128_4
; %bb.3:
	s_load_b32 s2, s[2:3], 0x0
.LBB128_4:
	s_waitcnt lgkmcnt(0)
	v_cmp_neq_f32_e64 s3, s22, 0
	v_cmp_neq_f32_e64 s4, s2, 1.0
	s_mov_b32 s13, 0
	s_delay_alu instid0(VALU_DEP_1) | instskip(NEXT) | instid1(SALU_CYCLE_1)
	s_or_b32 s3, s3, s4
	s_and_not1_b32 vcc_lo, exec_lo, s3
	s_cbranch_vccnz .LBB128_18
; %bb.5:
	s_clause 0x1
	s_load_b32 s12, s[0:1], 0x20
	s_load_b128 s[16:19], s[0:1], 0x10
	s_mov_b32 s7, s13
	s_waitcnt lgkmcnt(0)
	s_lshl_b64 s[4:5], s[12:13], 3
	s_delay_alu instid0(SALU_CYCLE_1) | instskip(SKIP_2) | instid1(SALU_CYCLE_1)
	s_add_u32 s4, s18, s4
	s_addc_u32 s5, s19, s5
	s_add_i32 s6, s12, 1
	s_lshl_b64 s[6:7], s[6:7], 3
	s_delay_alu instid0(SALU_CYCLE_1)
	s_add_u32 s6, s18, s6
	s_addc_u32 s7, s19, s7
	s_clause 0x1
	s_load_b64 s[18:19], s[4:5], 0x0
	s_load_b32 s3, s[6:7], 0x0
	s_lshl_b32 s14, s15, 8
	s_delay_alu instid0(SALU_CYCLE_1) | instskip(SKIP_2) | instid1(SALU_CYCLE_1)
	s_add_i32 s4, s14, 0x100
	s_waitcnt lgkmcnt(0)
	s_sub_i32 s3, s3, s18
	s_min_u32 s3, s3, s4
	s_cmp_gt_u32 s12, 23
	s_cbranch_scc1 .LBB128_12
; %bb.6:
	s_load_b256 s[4:11], s[0:1], 0x30
	v_mov_b32_e32 v5, 0
	s_lshl_b64 s[24:25], s[18:19], 3
	v_bfe_u32 v6, v0, 0, s12
	v_lshl_add_u32 v8, v0, 2, 0
	s_lshl_b32 s13, 0x100, s12
	v_mov_b32_e32 v7, v5
	s_add_u32 s15, s16, s24
	s_addc_u32 s21, s17, s25
	s_mov_b32 s23, 0
	s_branch .LBB128_9
.LBB128_7:                              ;   in Loop: Header=BB128_9 Depth=1
	s_or_b32 exec_lo, exec_lo, s25
	ds_store_b32 v8, v3
.LBB128_8:                              ;   in Loop: Header=BB128_9 Depth=1
	s_or_b32 exec_lo, exec_lo, s24
	v_add_nc_u32_e32 v8, 0x400, v8
	s_addk_i32 s23, 0x100
	s_delay_alu instid0(SALU_CYCLE_1)
	s_cmp_ge_u32 s23, s13
	s_cbranch_scc1 .LBB128_12
.LBB128_9:                              ; =>This Inner Loop Header: Depth=1
	v_add_nc_u32_e32 v1, s23, v0
	s_mov_b32 s24, exec_lo
	s_delay_alu instid0(VALU_DEP_1) | instskip(NEXT) | instid1(VALU_DEP_1)
	v_lshrrev_b32_e32 v1, s12, v1
	v_add_nc_u32_e32 v4, s14, v1
	s_delay_alu instid0(VALU_DEP_1)
	v_cmpx_gt_u32_e64 s3, v4
	s_cbranch_execz .LBB128_8
; %bb.10:                               ;   in Loop: Header=BB128_9 Depth=1
	v_lshlrev_b64 v[1:2], 3, v[4:5]
	s_delay_alu instid0(VALU_DEP_1) | instskip(NEXT) | instid1(VALU_DEP_2)
	v_add_co_u32 v1, vcc_lo, s15, v1
	v_add_co_ci_u32_e32 v2, vcc_lo, s21, v2, vcc_lo
	global_load_b64 v[1:2], v[1:2], off
	s_waitcnt vmcnt(0)
	v_lshlrev_b64 v[1:2], 3, v[1:2]
	s_waitcnt lgkmcnt(0)
	s_delay_alu instid0(VALU_DEP_1) | instskip(NEXT) | instid1(VALU_DEP_2)
	v_add_co_u32 v1, vcc_lo, s4, v1
	v_add_co_ci_u32_e32 v2, vcc_lo, s5, v2, vcc_lo
	global_load_b128 v[1:4], v[1:2], off
	s_waitcnt vmcnt(0)
	v_sub_co_u32 v3, vcc_lo, v3, v1
	v_sub_co_ci_u32_e32 v4, vcc_lo, v4, v2, vcc_lo
	s_delay_alu instid0(VALU_DEP_1)
	v_cmp_gt_i64_e32 vcc_lo, v[3:4], v[6:7]
	v_mov_b32_e32 v3, 0
	s_and_saveexec_b32 s25, vcc_lo
	s_cbranch_execz .LBB128_7
; %bb.11:                               ;   in Loop: Header=BB128_9 Depth=1
	v_sub_co_u32 v1, vcc_lo, v1, s20
	v_subrev_co_ci_u32_e32 v2, vcc_lo, 0, v2, vcc_lo
	s_delay_alu instid0(VALU_DEP_2) | instskip(NEXT) | instid1(VALU_DEP_2)
	v_add_co_u32 v1, vcc_lo, v1, v6
	v_add_co_ci_u32_e32 v2, vcc_lo, 0, v2, vcc_lo
	s_delay_alu instid0(VALU_DEP_1) | instskip(SKIP_1) | instid1(VALU_DEP_2)
	v_lshlrev_b64 v[3:4], 3, v[1:2]
	v_lshlrev_b64 v[1:2], 1, v[1:2]
	v_add_co_u32 v3, vcc_lo, s6, v3
	s_delay_alu instid0(VALU_DEP_3)
	v_add_co_ci_u32_e32 v4, vcc_lo, s7, v4, vcc_lo
	global_load_b64 v[3:4], v[3:4], off
	s_waitcnt vmcnt(0)
	v_sub_co_u32 v3, vcc_lo, v3, s20
	v_subrev_co_ci_u32_e32 v4, vcc_lo, 0, v4, vcc_lo
	v_add_co_u32 v1, vcc_lo, s8, v1
	v_add_co_ci_u32_e32 v2, vcc_lo, s9, v2, vcc_lo
	s_delay_alu instid0(VALU_DEP_3)
	v_lshlrev_b64 v[3:4], 1, v[3:4]
	global_load_u16 v9, v[1:2], off
	v_add_co_u32 v1, vcc_lo, s10, v3
	v_add_co_ci_u32_e32 v2, vcc_lo, s11, v4, vcc_lo
	global_load_u16 v1, v[1:2], off
	s_waitcnt vmcnt(1)
	v_cvt_f32_f16_e32 v2, v9
	s_delay_alu instid0(VALU_DEP_1) | instskip(SKIP_2) | instid1(VALU_DEP_1)
	v_mul_f32_e32 v2, s22, v2
	s_waitcnt vmcnt(0)
	v_cvt_f32_f16_e32 v1, v1
	v_mul_f32_e32 v3, v2, v1
	s_branch .LBB128_7
.LBB128_12:
	s_sub_i32 s3, s3, s14
	s_waitcnt lgkmcnt(0)
	v_cmp_gt_u32_e32 vcc_lo, s3, v0
	s_barrier
	buffer_gl0_inv
	s_and_saveexec_b32 s3, vcc_lo
	s_cbranch_execz .LBB128_18
; %bb.13:
	s_lshl_b64 s[4:5], s[18:19], 3
	s_mov_b32 s15, 0
	s_add_u32 s3, s16, s4
	s_addc_u32 s6, s17, s5
	s_lshl_b64 s[4:5], s[14:15], 3
	v_lshlrev_b32_e32 v1, 3, v0
	s_add_u32 s4, s3, s4
	s_addc_u32 s5, s6, s5
	s_load_b64 s[0:1], s[0:1], 0x58
	v_dual_mov_b32 v3, 0 :: v_dual_lshlrev_b32 v0, s12, v0
	global_load_b64 v[1:2], v1, s[4:5]
	s_mov_b32 s3, 1
	v_lshl_add_u32 v0, v0, 2, 0
.LBB128_14:                             ; =>This Inner Loop Header: Depth=1
	ds_load_b32 v4, v0
	v_add_nc_u32_e32 v0, 4, v0
	s_lshr_b32 s4, s3, s12
	s_add_i32 s3, s3, 1
	s_cmp_lg_u32 s4, 0
	s_waitcnt lgkmcnt(0)
	v_add_f32_e32 v3, v3, v4
	s_cbranch_scc0 .LBB128_14
; %bb.15:
	v_cmp_neq_f32_e64 s3, s2, 0
	s_waitcnt vmcnt(0)
	v_lshlrev_b64 v[0:1], 2, v[1:2]
	s_delay_alu instid0(VALU_DEP_2)
	s_and_b32 vcc_lo, exec_lo, s3
	s_cbranch_vccz .LBB128_17
; %bb.16:
	s_delay_alu instid0(VALU_DEP_1) | instskip(NEXT) | instid1(VALU_DEP_2)
	v_add_co_u32 v4, vcc_lo, s0, v0
	v_add_co_ci_u32_e32 v5, vcc_lo, s1, v1, vcc_lo
	global_load_b32 v2, v[4:5], off
	s_waitcnt vmcnt(0)
	v_fmac_f32_e32 v3, s2, v2
.LBB128_17:
	s_delay_alu instid0(VALU_DEP_1) | instskip(NEXT) | instid1(VALU_DEP_2)
	v_add_co_u32 v0, vcc_lo, s0, v0
	v_add_co_ci_u32_e32 v1, vcc_lo, s1, v1, vcc_lo
	global_store_b32 v[0:1], v3, off
.LBB128_18:
	s_nop 0
	s_sendmsg sendmsg(MSG_DEALLOC_VGPRS)
	s_endpgm
	.section	.rodata,"a",@progbits
	.p2align	6, 0x0
	.amdhsa_kernel _ZN9rocsparseL28csrmvn_lrb_short_rows_kernelIllDF16_DF16_ffEEvbT_PT0_S3_jNS_24const_host_device_scalarIT4_EEPKS1_PKS2_PKT1_PKT2_S6_PT3_21rocsparse_index_base_b
		.amdhsa_group_segment_fixed_size 0
		.amdhsa_private_segment_fixed_size 0
		.amdhsa_kernarg_size 104
		.amdhsa_user_sgpr_count 15
		.amdhsa_user_sgpr_dispatch_ptr 0
		.amdhsa_user_sgpr_queue_ptr 0
		.amdhsa_user_sgpr_kernarg_segment_ptr 1
		.amdhsa_user_sgpr_dispatch_id 0
		.amdhsa_user_sgpr_private_segment_size 0
		.amdhsa_wavefront_size32 1
		.amdhsa_uses_dynamic_stack 0
		.amdhsa_enable_private_segment 0
		.amdhsa_system_sgpr_workgroup_id_x 1
		.amdhsa_system_sgpr_workgroup_id_y 0
		.amdhsa_system_sgpr_workgroup_id_z 0
		.amdhsa_system_sgpr_workgroup_info 0
		.amdhsa_system_vgpr_workitem_id 0
		.amdhsa_next_free_vgpr 10
		.amdhsa_next_free_sgpr 26
		.amdhsa_reserve_vcc 1
		.amdhsa_float_round_mode_32 0
		.amdhsa_float_round_mode_16_64 0
		.amdhsa_float_denorm_mode_32 3
		.amdhsa_float_denorm_mode_16_64 3
		.amdhsa_dx10_clamp 1
		.amdhsa_ieee_mode 1
		.amdhsa_fp16_overflow 0
		.amdhsa_workgroup_processor_mode 1
		.amdhsa_memory_ordered 1
		.amdhsa_forward_progress 0
		.amdhsa_shared_vgpr_count 0
		.amdhsa_exception_fp_ieee_invalid_op 0
		.amdhsa_exception_fp_denorm_src 0
		.amdhsa_exception_fp_ieee_div_zero 0
		.amdhsa_exception_fp_ieee_overflow 0
		.amdhsa_exception_fp_ieee_underflow 0
		.amdhsa_exception_fp_ieee_inexact 0
		.amdhsa_exception_int_div_zero 0
	.end_amdhsa_kernel
	.section	.text._ZN9rocsparseL28csrmvn_lrb_short_rows_kernelIllDF16_DF16_ffEEvbT_PT0_S3_jNS_24const_host_device_scalarIT4_EEPKS1_PKS2_PKT1_PKT2_S6_PT3_21rocsparse_index_base_b,"axG",@progbits,_ZN9rocsparseL28csrmvn_lrb_short_rows_kernelIllDF16_DF16_ffEEvbT_PT0_S3_jNS_24const_host_device_scalarIT4_EEPKS1_PKS2_PKT1_PKT2_S6_PT3_21rocsparse_index_base_b,comdat
.Lfunc_end128:
	.size	_ZN9rocsparseL28csrmvn_lrb_short_rows_kernelIllDF16_DF16_ffEEvbT_PT0_S3_jNS_24const_host_device_scalarIT4_EEPKS1_PKS2_PKT1_PKT2_S6_PT3_21rocsparse_index_base_b, .Lfunc_end128-_ZN9rocsparseL28csrmvn_lrb_short_rows_kernelIllDF16_DF16_ffEEvbT_PT0_S3_jNS_24const_host_device_scalarIT4_EEPKS1_PKS2_PKT1_PKT2_S6_PT3_21rocsparse_index_base_b
                                        ; -- End function
	.section	.AMDGPU.csdata,"",@progbits
; Kernel info:
; codeLenInByte = 892
; NumSgprs: 28
; NumVgprs: 10
; ScratchSize: 0
; MemoryBound: 0
; FloatMode: 240
; IeeeMode: 1
; LDSByteSize: 0 bytes/workgroup (compile time only)
; SGPRBlocks: 3
; VGPRBlocks: 1
; NumSGPRsForWavesPerEU: 28
; NumVGPRsForWavesPerEU: 10
; Occupancy: 16
; WaveLimiterHint : 1
; COMPUTE_PGM_RSRC2:SCRATCH_EN: 0
; COMPUTE_PGM_RSRC2:USER_SGPR: 15
; COMPUTE_PGM_RSRC2:TRAP_HANDLER: 0
; COMPUTE_PGM_RSRC2:TGID_X_EN: 1
; COMPUTE_PGM_RSRC2:TGID_Y_EN: 0
; COMPUTE_PGM_RSRC2:TGID_Z_EN: 0
; COMPUTE_PGM_RSRC2:TIDIG_COMP_CNT: 0
	.section	.text._ZN9rocsparseL30csrmvn_lrb_short_rows_2_kernelIllDF16_DF16_ffEEvbT_PT0_S3_jNS_24const_host_device_scalarIT4_EEPKS1_PKS2_PKT1_PKT2_S6_PT3_21rocsparse_index_base_b,"axG",@progbits,_ZN9rocsparseL30csrmvn_lrb_short_rows_2_kernelIllDF16_DF16_ffEEvbT_PT0_S3_jNS_24const_host_device_scalarIT4_EEPKS1_PKS2_PKT1_PKT2_S6_PT3_21rocsparse_index_base_b,comdat
	.globl	_ZN9rocsparseL30csrmvn_lrb_short_rows_2_kernelIllDF16_DF16_ffEEvbT_PT0_S3_jNS_24const_host_device_scalarIT4_EEPKS1_PKS2_PKT1_PKT2_S6_PT3_21rocsparse_index_base_b ; -- Begin function _ZN9rocsparseL30csrmvn_lrb_short_rows_2_kernelIllDF16_DF16_ffEEvbT_PT0_S3_jNS_24const_host_device_scalarIT4_EEPKS1_PKS2_PKT1_PKT2_S6_PT3_21rocsparse_index_base_b
	.p2align	8
	.type	_ZN9rocsparseL30csrmvn_lrb_short_rows_2_kernelIllDF16_DF16_ffEEvbT_PT0_S3_jNS_24const_host_device_scalarIT4_EEPKS1_PKS2_PKT1_PKT2_S6_PT3_21rocsparse_index_base_b,@function
_ZN9rocsparseL30csrmvn_lrb_short_rows_2_kernelIllDF16_DF16_ffEEvbT_PT0_S3_jNS_24const_host_device_scalarIT4_EEPKS1_PKS2_PKT1_PKT2_S6_PT3_21rocsparse_index_base_b: ; @_ZN9rocsparseL30csrmvn_lrb_short_rows_2_kernelIllDF16_DF16_ffEEvbT_PT0_S3_jNS_24const_host_device_scalarIT4_EEPKS1_PKS2_PKT1_PKT2_S6_PT3_21rocsparse_index_base_b
; %bb.0:
	s_clause 0x2
	s_load_b64 s[18:19], s[0:1], 0x60
	s_load_b64 s[16:17], s[0:1], 0x28
	s_load_b64 s[8:9], s[0:1], 0x50
	s_waitcnt lgkmcnt(0)
	s_bitcmp1_b32 s19, 0
	s_cselect_b32 s2, -1, 0
	s_delay_alu instid0(SALU_CYCLE_1)
	s_and_b32 vcc_lo, exec_lo, s2
	s_xor_b32 s2, s2, -1
	s_cbranch_vccnz .LBB129_2
; %bb.1:
	s_load_b32 s16, s[16:17], 0x0
.LBB129_2:
	s_and_not1_b32 vcc_lo, exec_lo, s2
	s_cbranch_vccnz .LBB129_4
; %bb.3:
	s_load_b32 s8, s[8:9], 0x0
.LBB129_4:
	s_waitcnt lgkmcnt(0)
	v_cmp_neq_f32_e64 s2, s16, 0
	v_cmp_neq_f32_e64 s3, s8, 1.0
	s_mov_b32 s11, 0
	s_delay_alu instid0(VALU_DEP_1) | instskip(NEXT) | instid1(SALU_CYCLE_1)
	s_or_b32 s2, s2, s3
	s_and_not1_b32 vcc_lo, exec_lo, s2
	s_cbranch_vccnz .LBB129_30
; %bb.5:
	s_clause 0x1
	s_load_b32 s10, s[0:1], 0x20
	s_load_b128 s[20:23], s[0:1], 0x10
	s_mov_b32 s5, s11
	v_mov_b32_e32 v6, 0
	s_waitcnt lgkmcnt(0)
	s_lshl_b64 s[2:3], s[10:11], 3
	v_lshrrev_b32_e32 v1, s10, v0
	s_add_u32 s2, s22, s2
	s_addc_u32 s3, s23, s3
	s_add_i32 s4, s10, 1
	v_bfe_u32 v5, v0, 0, s10
	s_lshl_b64 s[4:5], s[4:5], 3
	s_delay_alu instid0(SALU_CYCLE_1)
	s_add_u32 s4, s22, s4
	s_addc_u32 s5, s23, s5
	s_clause 0x1
	s_load_b64 s[22:23], s[2:3], 0x0
	s_load_b32 s11, s[4:5], 0x0
	s_clause 0x1
	s_load_b64 s[12:13], s[0:1], 0x58
	s_load_b256 s[0:7], s[0:1], 0x30
	s_lshr_b32 s9, 0x400, s10
	s_delay_alu instid0(SALU_CYCLE_1) | instskip(NEXT) | instid1(SALU_CYCLE_1)
	s_mul_i32 s14, s9, s15
	s_add_i32 s15, s14, s9
	v_add_nc_u32_e32 v1, s14, v1
	s_waitcnt lgkmcnt(0)
	s_sub_i32 s11, s11, s22
	s_lshl_b64 s[22:23], s[22:23], 3
	s_min_u32 s11, s11, s15
	s_add_u32 s17, s20, s22
	s_addc_u32 s19, s21, s23
	s_mov_b32 s15, exec_lo
	v_cmpx_gt_u32_e64 s11, v1
	s_cbranch_execz .LBB129_9
; %bb.6:
	v_mov_b32_e32 v2, v6
	s_delay_alu instid0(VALU_DEP_1) | instskip(NEXT) | instid1(VALU_DEP_1)
	v_lshlrev_b64 v[1:2], 3, v[1:2]
	v_add_co_u32 v1, vcc_lo, s17, v1
	s_delay_alu instid0(VALU_DEP_2) | instskip(SKIP_3) | instid1(VALU_DEP_1)
	v_add_co_ci_u32_e32 v2, vcc_lo, s19, v2, vcc_lo
	global_load_b64 v[1:2], v[1:2], off
	s_waitcnt vmcnt(0)
	v_lshlrev_b64 v[1:2], 3, v[1:2]
	v_add_co_u32 v1, vcc_lo, s0, v1
	s_delay_alu instid0(VALU_DEP_2) | instskip(SKIP_4) | instid1(VALU_DEP_1)
	v_add_co_ci_u32_e32 v2, vcc_lo, s1, v2, vcc_lo
	global_load_b128 v[1:4], v[1:2], off
	s_waitcnt vmcnt(0)
	v_sub_co_u32 v3, vcc_lo, v3, v1
	v_sub_co_ci_u32_e32 v4, vcc_lo, v4, v2, vcc_lo
	v_cmp_gt_i64_e32 vcc_lo, v[3:4], v[5:6]
	v_mov_b32_e32 v3, v6
	s_and_saveexec_b32 s20, vcc_lo
	s_cbranch_execz .LBB129_8
; %bb.7:
	v_sub_co_u32 v1, vcc_lo, v1, s18
	v_subrev_co_ci_u32_e32 v2, vcc_lo, 0, v2, vcc_lo
	s_delay_alu instid0(VALU_DEP_2) | instskip(NEXT) | instid1(VALU_DEP_2)
	v_add_co_u32 v1, vcc_lo, v1, v5
	v_add_co_ci_u32_e32 v2, vcc_lo, 0, v2, vcc_lo
	s_delay_alu instid0(VALU_DEP_1) | instskip(SKIP_1) | instid1(VALU_DEP_2)
	v_lshlrev_b64 v[3:4], 3, v[1:2]
	v_lshlrev_b64 v[1:2], 1, v[1:2]
	v_add_co_u32 v3, vcc_lo, s2, v3
	s_delay_alu instid0(VALU_DEP_3)
	v_add_co_ci_u32_e32 v4, vcc_lo, s3, v4, vcc_lo
	global_load_b64 v[3:4], v[3:4], off
	s_waitcnt vmcnt(0)
	v_sub_co_u32 v3, vcc_lo, v3, s18
	v_subrev_co_ci_u32_e32 v4, vcc_lo, 0, v4, vcc_lo
	v_add_co_u32 v1, vcc_lo, s4, v1
	v_add_co_ci_u32_e32 v2, vcc_lo, s5, v2, vcc_lo
	s_delay_alu instid0(VALU_DEP_3)
	v_lshlrev_b64 v[3:4], 1, v[3:4]
	global_load_u16 v7, v[1:2], off
	v_add_co_u32 v1, vcc_lo, s6, v3
	v_add_co_ci_u32_e32 v2, vcc_lo, s7, v4, vcc_lo
	global_load_u16 v1, v[1:2], off
	s_waitcnt vmcnt(1)
	v_cvt_f32_f16_e32 v2, v7
	s_delay_alu instid0(VALU_DEP_1) | instskip(SKIP_2) | instid1(VALU_DEP_1)
	v_mul_f32_e32 v2, s16, v2
	s_waitcnt vmcnt(0)
	v_cvt_f32_f16_e32 v1, v1
	v_mul_f32_e32 v3, v2, v1
.LBB129_8:
	s_or_b32 exec_lo, exec_lo, s20
	v_lshlrev_b32_e32 v1, 2, v0
	ds_store_b32 v1, v3
.LBB129_9:
	s_or_b32 exec_lo, exec_lo, s15
	v_or_b32_e32 v1, 0x100, v0
	s_mov_b32 s15, exec_lo
	s_delay_alu instid0(VALU_DEP_1) | instskip(NEXT) | instid1(VALU_DEP_1)
	v_lshrrev_b32_e32 v1, s10, v1
	v_add_nc_u32_e32 v7, s14, v1
	s_delay_alu instid0(VALU_DEP_1)
	v_cmpx_gt_u32_e64 s11, v7
	s_cbranch_execz .LBB129_13
; %bb.10:
	v_mov_b32_e32 v8, 0
	s_mov_b32 s20, exec_lo
	s_delay_alu instid0(VALU_DEP_1) | instskip(NEXT) | instid1(VALU_DEP_1)
	v_lshlrev_b64 v[1:2], 3, v[7:8]
	v_add_co_u32 v1, vcc_lo, s17, v1
	s_delay_alu instid0(VALU_DEP_2) | instskip(SKIP_3) | instid1(VALU_DEP_1)
	v_add_co_ci_u32_e32 v2, vcc_lo, s19, v2, vcc_lo
	global_load_b64 v[1:2], v[1:2], off
	s_waitcnt vmcnt(0)
	v_lshlrev_b64 v[1:2], 3, v[1:2]
	v_add_co_u32 v1, vcc_lo, s0, v1
	s_delay_alu instid0(VALU_DEP_2) | instskip(SKIP_4) | instid1(VALU_DEP_1)
	v_add_co_ci_u32_e32 v2, vcc_lo, s1, v2, vcc_lo
	global_load_b128 v[1:4], v[1:2], off
	s_waitcnt vmcnt(0)
	v_sub_co_u32 v3, vcc_lo, v3, v1
	v_sub_co_ci_u32_e32 v4, vcc_lo, v4, v2, vcc_lo
	v_cmpx_gt_i64_e64 v[3:4], v[5:6]
	s_cbranch_execz .LBB129_12
; %bb.11:
	v_sub_co_u32 v1, vcc_lo, v1, s18
	v_subrev_co_ci_u32_e32 v2, vcc_lo, 0, v2, vcc_lo
	s_delay_alu instid0(VALU_DEP_2) | instskip(NEXT) | instid1(VALU_DEP_2)
	v_add_co_u32 v1, vcc_lo, v1, v5
	v_add_co_ci_u32_e32 v2, vcc_lo, 0, v2, vcc_lo
	s_delay_alu instid0(VALU_DEP_1) | instskip(SKIP_1) | instid1(VALU_DEP_2)
	v_lshlrev_b64 v[3:4], 3, v[1:2]
	v_lshlrev_b64 v[1:2], 1, v[1:2]
	v_add_co_u32 v3, vcc_lo, s2, v3
	s_delay_alu instid0(VALU_DEP_3)
	v_add_co_ci_u32_e32 v4, vcc_lo, s3, v4, vcc_lo
	global_load_b64 v[3:4], v[3:4], off
	s_waitcnt vmcnt(0)
	v_sub_co_u32 v3, vcc_lo, v3, s18
	v_subrev_co_ci_u32_e32 v4, vcc_lo, 0, v4, vcc_lo
	v_add_co_u32 v1, vcc_lo, s4, v1
	v_add_co_ci_u32_e32 v2, vcc_lo, s5, v2, vcc_lo
	s_delay_alu instid0(VALU_DEP_3)
	v_lshlrev_b64 v[3:4], 1, v[3:4]
	global_load_u16 v7, v[1:2], off
	v_add_co_u32 v1, vcc_lo, s6, v3
	v_add_co_ci_u32_e32 v2, vcc_lo, s7, v4, vcc_lo
	global_load_u16 v1, v[1:2], off
	s_waitcnt vmcnt(1)
	v_cvt_f32_f16_e32 v2, v7
	s_delay_alu instid0(VALU_DEP_1) | instskip(SKIP_2) | instid1(VALU_DEP_1)
	v_mul_f32_e32 v2, s16, v2
	s_waitcnt vmcnt(0)
	v_cvt_f32_f16_e32 v1, v1
	v_mul_f32_e32 v8, v2, v1
.LBB129_12:
	s_or_b32 exec_lo, exec_lo, s20
	v_lshlrev_b32_e32 v1, 2, v0
	ds_store_b32 v1, v8 offset:1024
.LBB129_13:
	s_or_b32 exec_lo, exec_lo, s15
	v_or_b32_e32 v1, 0x200, v0
	s_mov_b32 s15, exec_lo
	s_delay_alu instid0(VALU_DEP_1) | instskip(NEXT) | instid1(VALU_DEP_1)
	v_lshrrev_b32_e32 v1, s10, v1
	v_add_nc_u32_e32 v7, s14, v1
	s_delay_alu instid0(VALU_DEP_1)
	v_cmpx_gt_u32_e64 s11, v7
	s_cbranch_execz .LBB129_17
; %bb.14:
	v_mov_b32_e32 v8, 0
	s_mov_b32 s20, exec_lo
	s_delay_alu instid0(VALU_DEP_1) | instskip(NEXT) | instid1(VALU_DEP_1)
	v_lshlrev_b64 v[1:2], 3, v[7:8]
	v_add_co_u32 v1, vcc_lo, s17, v1
	s_delay_alu instid0(VALU_DEP_2) | instskip(SKIP_3) | instid1(VALU_DEP_1)
	v_add_co_ci_u32_e32 v2, vcc_lo, s19, v2, vcc_lo
	global_load_b64 v[1:2], v[1:2], off
	s_waitcnt vmcnt(0)
	v_lshlrev_b64 v[1:2], 3, v[1:2]
	v_add_co_u32 v1, vcc_lo, s0, v1
	s_delay_alu instid0(VALU_DEP_2) | instskip(SKIP_4) | instid1(VALU_DEP_1)
	v_add_co_ci_u32_e32 v2, vcc_lo, s1, v2, vcc_lo
	global_load_b128 v[1:4], v[1:2], off
	s_waitcnt vmcnt(0)
	v_sub_co_u32 v3, vcc_lo, v3, v1
	v_sub_co_ci_u32_e32 v4, vcc_lo, v4, v2, vcc_lo
	v_cmpx_gt_i64_e64 v[3:4], v[5:6]
	s_cbranch_execz .LBB129_16
; %bb.15:
	v_sub_co_u32 v1, vcc_lo, v1, s18
	v_subrev_co_ci_u32_e32 v2, vcc_lo, 0, v2, vcc_lo
	s_delay_alu instid0(VALU_DEP_2) | instskip(NEXT) | instid1(VALU_DEP_2)
	v_add_co_u32 v1, vcc_lo, v1, v5
	v_add_co_ci_u32_e32 v2, vcc_lo, 0, v2, vcc_lo
	s_delay_alu instid0(VALU_DEP_1) | instskip(SKIP_1) | instid1(VALU_DEP_2)
	v_lshlrev_b64 v[3:4], 3, v[1:2]
	v_lshlrev_b64 v[1:2], 1, v[1:2]
	v_add_co_u32 v3, vcc_lo, s2, v3
	s_delay_alu instid0(VALU_DEP_3)
	v_add_co_ci_u32_e32 v4, vcc_lo, s3, v4, vcc_lo
	global_load_b64 v[3:4], v[3:4], off
	s_waitcnt vmcnt(0)
	v_sub_co_u32 v3, vcc_lo, v3, s18
	v_subrev_co_ci_u32_e32 v4, vcc_lo, 0, v4, vcc_lo
	v_add_co_u32 v1, vcc_lo, s4, v1
	v_add_co_ci_u32_e32 v2, vcc_lo, s5, v2, vcc_lo
	s_delay_alu instid0(VALU_DEP_3)
	v_lshlrev_b64 v[3:4], 1, v[3:4]
	global_load_u16 v7, v[1:2], off
	v_add_co_u32 v1, vcc_lo, s6, v3
	v_add_co_ci_u32_e32 v2, vcc_lo, s7, v4, vcc_lo
	global_load_u16 v1, v[1:2], off
	s_waitcnt vmcnt(1)
	v_cvt_f32_f16_e32 v2, v7
	s_delay_alu instid0(VALU_DEP_1) | instskip(SKIP_2) | instid1(VALU_DEP_1)
	v_mul_f32_e32 v2, s16, v2
	s_waitcnt vmcnt(0)
	v_cvt_f32_f16_e32 v1, v1
	v_mul_f32_e32 v8, v2, v1
.LBB129_16:
	s_or_b32 exec_lo, exec_lo, s20
	v_lshlrev_b32_e32 v1, 2, v0
	ds_store_b32 v1, v8 offset:2048
.LBB129_17:
	s_or_b32 exec_lo, exec_lo, s15
	v_or_b32_e32 v1, 0x300, v0
	s_mov_b32 s15, exec_lo
	s_delay_alu instid0(VALU_DEP_1) | instskip(NEXT) | instid1(VALU_DEP_1)
	v_lshrrev_b32_e32 v1, s10, v1
	v_add_nc_u32_e32 v7, s14, v1
	s_delay_alu instid0(VALU_DEP_1)
	v_cmpx_gt_u32_e64 s11, v7
	s_cbranch_execz .LBB129_21
; %bb.18:
	v_mov_b32_e32 v8, 0
	s_delay_alu instid0(VALU_DEP_1) | instskip(NEXT) | instid1(VALU_DEP_1)
	v_lshlrev_b64 v[1:2], 3, v[7:8]
	v_add_co_u32 v1, vcc_lo, s17, v1
	s_delay_alu instid0(VALU_DEP_2) | instskip(SKIP_3) | instid1(VALU_DEP_1)
	v_add_co_ci_u32_e32 v2, vcc_lo, s19, v2, vcc_lo
	global_load_b64 v[1:2], v[1:2], off
	s_waitcnt vmcnt(0)
	v_lshlrev_b64 v[1:2], 3, v[1:2]
	v_add_co_u32 v1, vcc_lo, s0, v1
	s_delay_alu instid0(VALU_DEP_2)
	v_add_co_ci_u32_e32 v2, vcc_lo, s1, v2, vcc_lo
	s_mov_b32 s0, exec_lo
	global_load_b128 v[1:4], v[1:2], off
	s_waitcnt vmcnt(0)
	v_sub_co_u32 v3, vcc_lo, v3, v1
	v_sub_co_ci_u32_e32 v4, vcc_lo, v4, v2, vcc_lo
	s_delay_alu instid0(VALU_DEP_1)
	v_cmpx_gt_i64_e64 v[3:4], v[5:6]
	s_cbranch_execz .LBB129_20
; %bb.19:
	v_sub_co_u32 v1, vcc_lo, v1, s18
	v_subrev_co_ci_u32_e32 v2, vcc_lo, 0, v2, vcc_lo
	s_delay_alu instid0(VALU_DEP_2) | instskip(NEXT) | instid1(VALU_DEP_2)
	v_add_co_u32 v1, vcc_lo, v1, v5
	v_add_co_ci_u32_e32 v2, vcc_lo, 0, v2, vcc_lo
	s_delay_alu instid0(VALU_DEP_1) | instskip(SKIP_1) | instid1(VALU_DEP_2)
	v_lshlrev_b64 v[3:4], 3, v[1:2]
	v_lshlrev_b64 v[1:2], 1, v[1:2]
	v_add_co_u32 v3, vcc_lo, s2, v3
	s_delay_alu instid0(VALU_DEP_3)
	v_add_co_ci_u32_e32 v4, vcc_lo, s3, v4, vcc_lo
	global_load_b64 v[3:4], v[3:4], off
	s_waitcnt vmcnt(0)
	v_sub_co_u32 v3, vcc_lo, v3, s18
	v_subrev_co_ci_u32_e32 v4, vcc_lo, 0, v4, vcc_lo
	v_add_co_u32 v1, vcc_lo, s4, v1
	v_add_co_ci_u32_e32 v2, vcc_lo, s5, v2, vcc_lo
	s_delay_alu instid0(VALU_DEP_3)
	v_lshlrev_b64 v[3:4], 1, v[3:4]
	global_load_u16 v5, v[1:2], off
	v_add_co_u32 v1, vcc_lo, s6, v3
	v_add_co_ci_u32_e32 v2, vcc_lo, s7, v4, vcc_lo
	global_load_u16 v1, v[1:2], off
	s_waitcnt vmcnt(1)
	v_cvt_f32_f16_e32 v2, v5
	s_delay_alu instid0(VALU_DEP_1) | instskip(SKIP_2) | instid1(VALU_DEP_1)
	v_mul_f32_e32 v2, s16, v2
	s_waitcnt vmcnt(0)
	v_cvt_f32_f16_e32 v1, v1
	v_mul_f32_e32 v8, v2, v1
.LBB129_20:
	s_or_b32 exec_lo, exec_lo, s0
	v_lshlrev_b32_e32 v1, 2, v0
	ds_store_b32 v1, v8 offset:3072
.LBB129_21:
	s_or_b32 exec_lo, exec_lo, s15
	s_cmp_lt_u32 s10, 11
	s_waitcnt lgkmcnt(0)
	s_barrier
	buffer_gl0_inv
	s_cbranch_scc0 .LBB129_30
; %bb.22:
	s_mov_b32 s15, 0
	v_cmp_neq_f32_e64 s0, s8, 0
	s_lshl_b64 s[2:3], s[14:15], 3
	v_mov_b32_e32 v2, 0
	s_sub_i32 s1, s11, s14
	s_add_u32 s2, s17, s2
	s_addc_u32 s3, s19, s3
	s_set_inst_prefetch_distance 0x1
	s_branch .LBB129_25
	.p2align	6
.LBB129_23:                             ;   in Loop: Header=BB129_25 Depth=1
	s_delay_alu instid0(VALU_DEP_1) | instskip(NEXT) | instid1(VALU_DEP_2)
	v_add_co_u32 v3, vcc_lo, s12, v3
	v_add_co_ci_u32_e32 v4, vcc_lo, s13, v4, vcc_lo
	global_store_b32 v[3:4], v1, off
.LBB129_24:                             ;   in Loop: Header=BB129_25 Depth=1
	s_or_b32 exec_lo, exec_lo, s4
	s_addk_i32 s15, 0x100
	s_delay_alu instid0(SALU_CYCLE_1)
	s_cmp_lt_u32 s15, s9
	s_cbranch_scc0 .LBB129_30
.LBB129_25:                             ; =>This Loop Header: Depth=1
                                        ;     Child Loop BB129_27 Depth 2
	v_add_nc_u32_e32 v1, s15, v0
	s_mov_b32 s4, exec_lo
	s_delay_alu instid0(VALU_DEP_1)
	v_cmpx_gt_u32_e64 s1, v1
	s_cbranch_execz .LBB129_24
; %bb.26:                               ;   in Loop: Header=BB129_25 Depth=1
	v_lshlrev_b64 v[3:4], 3, v[1:2]
	v_lshlrev_b32_e32 v1, s10, v1
	s_mov_b32 s5, 1
	s_delay_alu instid0(VALU_DEP_1) | instskip(NEXT) | instid1(VALU_DEP_3)
	v_lshlrev_b32_e32 v5, 2, v1
	v_add_co_u32 v3, vcc_lo, s2, v3
	s_delay_alu instid0(VALU_DEP_4)
	v_add_co_ci_u32_e32 v4, vcc_lo, s3, v4, vcc_lo
	v_mov_b32_e32 v1, 0
	global_load_b64 v[3:4], v[3:4], off
.LBB129_27:                             ;   Parent Loop BB129_25 Depth=1
                                        ; =>  This Inner Loop Header: Depth=2
	ds_load_b32 v6, v5
	v_add_nc_u32_e32 v5, 4, v5
	s_lshr_b32 s6, s5, s10
	s_add_i32 s5, s5, 1
	s_cmp_lg_u32 s6, 0
	s_waitcnt lgkmcnt(0)
	v_add_f32_e32 v1, v1, v6
	s_cbranch_scc0 .LBB129_27
; %bb.28:                               ;   in Loop: Header=BB129_25 Depth=1
	s_waitcnt vmcnt(0)
	v_lshlrev_b64 v[3:4], 2, v[3:4]
	s_and_b32 vcc_lo, exec_lo, s0
	s_cbranch_vccz .LBB129_23
; %bb.29:                               ;   in Loop: Header=BB129_25 Depth=1
	s_delay_alu instid0(VALU_DEP_1) | instskip(NEXT) | instid1(VALU_DEP_2)
	v_add_co_u32 v5, vcc_lo, s12, v3
	v_add_co_ci_u32_e32 v6, vcc_lo, s13, v4, vcc_lo
	global_load_b32 v5, v[5:6], off
	s_waitcnt vmcnt(0)
	v_fmac_f32_e32 v1, s8, v5
	s_branch .LBB129_23
.LBB129_30:
	s_set_inst_prefetch_distance 0x2
	s_nop 0
	s_sendmsg sendmsg(MSG_DEALLOC_VGPRS)
	s_endpgm
	.section	.rodata,"a",@progbits
	.p2align	6, 0x0
	.amdhsa_kernel _ZN9rocsparseL30csrmvn_lrb_short_rows_2_kernelIllDF16_DF16_ffEEvbT_PT0_S3_jNS_24const_host_device_scalarIT4_EEPKS1_PKS2_PKT1_PKT2_S6_PT3_21rocsparse_index_base_b
		.amdhsa_group_segment_fixed_size 4096
		.amdhsa_private_segment_fixed_size 0
		.amdhsa_kernarg_size 104
		.amdhsa_user_sgpr_count 15
		.amdhsa_user_sgpr_dispatch_ptr 0
		.amdhsa_user_sgpr_queue_ptr 0
		.amdhsa_user_sgpr_kernarg_segment_ptr 1
		.amdhsa_user_sgpr_dispatch_id 0
		.amdhsa_user_sgpr_private_segment_size 0
		.amdhsa_wavefront_size32 1
		.amdhsa_uses_dynamic_stack 0
		.amdhsa_enable_private_segment 0
		.amdhsa_system_sgpr_workgroup_id_x 1
		.amdhsa_system_sgpr_workgroup_id_y 0
		.amdhsa_system_sgpr_workgroup_id_z 0
		.amdhsa_system_sgpr_workgroup_info 0
		.amdhsa_system_vgpr_workitem_id 0
		.amdhsa_next_free_vgpr 9
		.amdhsa_next_free_sgpr 24
		.amdhsa_reserve_vcc 1
		.amdhsa_float_round_mode_32 0
		.amdhsa_float_round_mode_16_64 0
		.amdhsa_float_denorm_mode_32 3
		.amdhsa_float_denorm_mode_16_64 3
		.amdhsa_dx10_clamp 1
		.amdhsa_ieee_mode 1
		.amdhsa_fp16_overflow 0
		.amdhsa_workgroup_processor_mode 1
		.amdhsa_memory_ordered 1
		.amdhsa_forward_progress 0
		.amdhsa_shared_vgpr_count 0
		.amdhsa_exception_fp_ieee_invalid_op 0
		.amdhsa_exception_fp_denorm_src 0
		.amdhsa_exception_fp_ieee_div_zero 0
		.amdhsa_exception_fp_ieee_overflow 0
		.amdhsa_exception_fp_ieee_underflow 0
		.amdhsa_exception_fp_ieee_inexact 0
		.amdhsa_exception_int_div_zero 0
	.end_amdhsa_kernel
	.section	.text._ZN9rocsparseL30csrmvn_lrb_short_rows_2_kernelIllDF16_DF16_ffEEvbT_PT0_S3_jNS_24const_host_device_scalarIT4_EEPKS1_PKS2_PKT1_PKT2_S6_PT3_21rocsparse_index_base_b,"axG",@progbits,_ZN9rocsparseL30csrmvn_lrb_short_rows_2_kernelIllDF16_DF16_ffEEvbT_PT0_S3_jNS_24const_host_device_scalarIT4_EEPKS1_PKS2_PKT1_PKT2_S6_PT3_21rocsparse_index_base_b,comdat
.Lfunc_end129:
	.size	_ZN9rocsparseL30csrmvn_lrb_short_rows_2_kernelIllDF16_DF16_ffEEvbT_PT0_S3_jNS_24const_host_device_scalarIT4_EEPKS1_PKS2_PKT1_PKT2_S6_PT3_21rocsparse_index_base_b, .Lfunc_end129-_ZN9rocsparseL30csrmvn_lrb_short_rows_2_kernelIllDF16_DF16_ffEEvbT_PT0_S3_jNS_24const_host_device_scalarIT4_EEPKS1_PKS2_PKT1_PKT2_S6_PT3_21rocsparse_index_base_b
                                        ; -- End function
	.section	.AMDGPU.csdata,"",@progbits
; Kernel info:
; codeLenInByte = 1900
; NumSgprs: 26
; NumVgprs: 9
; ScratchSize: 0
; MemoryBound: 0
; FloatMode: 240
; IeeeMode: 1
; LDSByteSize: 4096 bytes/workgroup (compile time only)
; SGPRBlocks: 3
; VGPRBlocks: 1
; NumSGPRsForWavesPerEU: 26
; NumVGPRsForWavesPerEU: 9
; Occupancy: 16
; WaveLimiterHint : 1
; COMPUTE_PGM_RSRC2:SCRATCH_EN: 0
; COMPUTE_PGM_RSRC2:USER_SGPR: 15
; COMPUTE_PGM_RSRC2:TRAP_HANDLER: 0
; COMPUTE_PGM_RSRC2:TGID_X_EN: 1
; COMPUTE_PGM_RSRC2:TGID_Y_EN: 0
; COMPUTE_PGM_RSRC2:TGID_Z_EN: 0
; COMPUTE_PGM_RSRC2:TIDIG_COMP_CNT: 0
	.section	.text._ZN9rocsparseL41csrmvn_lrb_medium_rows_warp_reduce_kernelILj256ELj32EllDF16_DF16_ffEEvbT1_lPT2_S3_jNS_24const_host_device_scalarIT6_EEPKS1_PKS2_PKT3_PKT4_S6_PT5_21rocsparse_index_base_b,"axG",@progbits,_ZN9rocsparseL41csrmvn_lrb_medium_rows_warp_reduce_kernelILj256ELj32EllDF16_DF16_ffEEvbT1_lPT2_S3_jNS_24const_host_device_scalarIT6_EEPKS1_PKS2_PKT3_PKT4_S6_PT5_21rocsparse_index_base_b,comdat
	.globl	_ZN9rocsparseL41csrmvn_lrb_medium_rows_warp_reduce_kernelILj256ELj32EllDF16_DF16_ffEEvbT1_lPT2_S3_jNS_24const_host_device_scalarIT6_EEPKS1_PKS2_PKT3_PKT4_S6_PT5_21rocsparse_index_base_b ; -- Begin function _ZN9rocsparseL41csrmvn_lrb_medium_rows_warp_reduce_kernelILj256ELj32EllDF16_DF16_ffEEvbT1_lPT2_S3_jNS_24const_host_device_scalarIT6_EEPKS1_PKS2_PKT3_PKT4_S6_PT5_21rocsparse_index_base_b
	.p2align	8
	.type	_ZN9rocsparseL41csrmvn_lrb_medium_rows_warp_reduce_kernelILj256ELj32EllDF16_DF16_ffEEvbT1_lPT2_S3_jNS_24const_host_device_scalarIT6_EEPKS1_PKS2_PKT3_PKT4_S6_PT5_21rocsparse_index_base_b,@function
_ZN9rocsparseL41csrmvn_lrb_medium_rows_warp_reduce_kernelILj256ELj32EllDF16_DF16_ffEEvbT1_lPT2_S3_jNS_24const_host_device_scalarIT6_EEPKS1_PKS2_PKT3_PKT4_S6_PT5_21rocsparse_index_base_b: ; @_ZN9rocsparseL41csrmvn_lrb_medium_rows_warp_reduce_kernelILj256ELj32EllDF16_DF16_ffEEvbT1_lPT2_S3_jNS_24const_host_device_scalarIT6_EEPKS1_PKS2_PKT3_PKT4_S6_PT5_21rocsparse_index_base_b
; %bb.0:
	s_clause 0x2
	s_load_b64 s[4:5], s[0:1], 0x68
	s_load_b64 s[6:7], s[0:1], 0x30
	;; [unrolled: 1-line block ×3, first 2 shown]
	s_waitcnt lgkmcnt(0)
	s_bitcmp1_b32 s5, 0
	s_cselect_b32 s5, -1, 0
	s_delay_alu instid0(SALU_CYCLE_1)
	s_and_b32 vcc_lo, exec_lo, s5
	s_xor_b32 s5, s5, -1
	s_cbranch_vccnz .LBB130_2
; %bb.1:
	s_load_b32 s6, s[6:7], 0x0
.LBB130_2:
	s_and_not1_b32 vcc_lo, exec_lo, s5
	s_cbranch_vccnz .LBB130_4
; %bb.3:
	s_load_b32 s2, s[2:3], 0x0
.LBB130_4:
	s_waitcnt lgkmcnt(0)
	v_cmp_neq_f32_e64 s3, s6, 0
	v_cmp_neq_f32_e64 s5, s2, 1.0
	s_delay_alu instid0(VALU_DEP_1) | instskip(NEXT) | instid1(SALU_CYCLE_1)
	s_or_b32 s3, s3, s5
	s_and_not1_b32 vcc_lo, exec_lo, s3
	s_cbranch_vccnz .LBB130_14
; %bb.5:
	s_load_b64 s[8:9], s[0:1], 0x10
	v_lshrrev_b32_e32 v1, 5, v0
	s_mov_b32 s3, exec_lo
	s_delay_alu instid0(VALU_DEP_1) | instskip(NEXT) | instid1(VALU_DEP_1)
	v_lshl_or_b32 v1, s15, 3, v1
	v_ashrrev_i32_e32 v2, 31, v1
	s_waitcnt lgkmcnt(0)
	s_delay_alu instid0(VALU_DEP_1)
	v_cmpx_gt_i64_e64 s[8:9], v[1:2]
	s_cbranch_execz .LBB130_14
; %bb.6:
	s_clause 0x1
	s_load_b32 s10, s[0:1], 0x28
	s_load_b128 s[12:15], s[0:1], 0x18
	s_mov_b32 s11, 0
	v_lshlrev_b64 v[1:2], 3, v[1:2]
	v_dual_mov_b32 v11, 0 :: v_dual_and_b32 v0, 31, v0
	s_waitcnt lgkmcnt(0)
	s_lshl_b64 s[8:9], s[10:11], 3
	s_delay_alu instid0(SALU_CYCLE_1) | instskip(SKIP_4) | instid1(SALU_CYCLE_1)
	s_add_u32 s8, s14, s8
	s_addc_u32 s9, s15, s9
	s_load_b64 s[8:9], s[8:9], 0x0
	s_waitcnt lgkmcnt(0)
	s_lshl_b64 s[8:9], s[8:9], 3
	s_add_u32 s3, s12, s8
	s_addc_u32 s5, s13, s9
	v_add_co_u32 v1, vcc_lo, s3, v1
	v_add_co_ci_u32_e32 v2, vcc_lo, s5, v2, vcc_lo
	s_load_b64 s[8:9], s[0:1], 0x38
	v_sub_co_u32 v9, s3, v0, s4
	global_load_b64 v[1:2], v[1:2], off
	v_sub_co_ci_u32_e64 v10, null, 0, 0, s3
	s_mov_b32 s3, exec_lo
	s_waitcnt vmcnt(0)
	v_lshlrev_b64 v[3:4], 3, v[1:2]
	s_waitcnt lgkmcnt(0)
	s_delay_alu instid0(VALU_DEP_1) | instskip(NEXT) | instid1(VALU_DEP_2)
	v_add_co_u32 v3, vcc_lo, s8, v3
	v_add_co_ci_u32_e32 v4, vcc_lo, s9, v4, vcc_lo
	s_load_b64 s[8:9], s[0:1], 0x60
	global_load_b128 v[5:8], v[3:4], off
	s_waitcnt vmcnt(0)
	v_sub_co_u32 v3, vcc_lo, v7, s4
	v_subrev_co_ci_u32_e32 v4, vcc_lo, 0, v8, vcc_lo
	v_add_co_u32 v5, vcc_lo, v5, v9
	v_add_co_ci_u32_e32 v6, vcc_lo, v6, v10, vcc_lo
	s_delay_alu instid0(VALU_DEP_1)
	v_cmpx_lt_i64_e64 v[5:6], v[3:4]
	s_cbranch_execz .LBB130_10
; %bb.7:
	s_clause 0x1
	s_load_b128 s[16:19], s[0:1], 0x40
	s_load_b64 s[12:13], s[0:1], 0x50
	v_lshlrev_b64 v[7:8], 1, v[5:6]
	v_lshlrev_b64 v[9:10], 3, v[5:6]
	v_mov_b32_e32 v11, 0
	s_waitcnt lgkmcnt(0)
	s_delay_alu instid0(VALU_DEP_3) | instskip(NEXT) | instid1(VALU_DEP_4)
	v_add_co_u32 v7, vcc_lo, s18, v7
	v_add_co_ci_u32_e32 v8, vcc_lo, s19, v8, vcc_lo
	s_delay_alu instid0(VALU_DEP_4)
	v_add_co_u32 v9, vcc_lo, s16, v9
	v_add_co_ci_u32_e32 v10, vcc_lo, s17, v10, vcc_lo
	s_set_inst_prefetch_distance 0x1
	.p2align	6
.LBB130_8:                              ; =>This Inner Loop Header: Depth=1
	global_load_b64 v[12:13], v[9:10], off
	global_load_u16 v14, v[7:8], off
	v_add_co_u32 v9, s0, 0x100, v9
	s_delay_alu instid0(VALU_DEP_1) | instskip(SKIP_3) | instid1(VALU_DEP_1)
	v_add_co_ci_u32_e64 v10, s0, 0, v10, s0
	s_waitcnt vmcnt(1)
	v_sub_co_u32 v12, vcc_lo, v12, s4
	v_subrev_co_ci_u32_e32 v13, vcc_lo, 0, v13, vcc_lo
	v_lshlrev_b64 v[12:13], 1, v[12:13]
	s_delay_alu instid0(VALU_DEP_1) | instskip(NEXT) | instid1(VALU_DEP_2)
	v_add_co_u32 v12, vcc_lo, s12, v12
	v_add_co_ci_u32_e32 v13, vcc_lo, s13, v13, vcc_lo
	v_add_co_u32 v5, vcc_lo, v5, 32
	v_add_co_ci_u32_e32 v6, vcc_lo, 0, v6, vcc_lo
	global_load_u16 v12, v[12:13], off
	s_waitcnt vmcnt(1)
	v_cvt_f32_f16_e32 v13, v14
	v_add_co_u32 v7, vcc_lo, v7, 64
	v_add_co_ci_u32_e32 v8, vcc_lo, 0, v8, vcc_lo
	s_delay_alu instid0(VALU_DEP_3) | instskip(SKIP_3) | instid1(VALU_DEP_2)
	v_mul_f32_e32 v13, s6, v13
	v_cmp_ge_i64_e32 vcc_lo, v[5:6], v[3:4]
	s_or_b32 s11, vcc_lo, s11
	s_waitcnt vmcnt(0)
	v_fma_mix_f32 v11, v13, v12, v11 op_sel_hi:[0,1,0]
	s_and_not1_b32 exec_lo, exec_lo, s11
	s_cbranch_execnz .LBB130_8
; %bb.9:
	s_set_inst_prefetch_distance 0x2
	s_or_b32 exec_lo, exec_lo, s11
.LBB130_10:
	s_delay_alu instid0(SALU_CYCLE_1) | instskip(SKIP_1) | instid1(VALU_DEP_1)
	s_or_b32 exec_lo, exec_lo, s3
	v_mbcnt_lo_u32_b32 v3, -1, 0
	v_xor_b32_e32 v4, 16, v3
	v_xor_b32_e32 v5, 8, v3
	;; [unrolled: 1-line block ×3, first 2 shown]
	s_delay_alu instid0(VALU_DEP_3) | instskip(SKIP_1) | instid1(VALU_DEP_4)
	v_cmp_gt_i32_e32 vcc_lo, 32, v4
	v_cndmask_b32_e32 v4, v3, v4, vcc_lo
	v_cmp_gt_i32_e32 vcc_lo, 32, v5
	v_cndmask_b32_e32 v5, v3, v5, vcc_lo
	;; [unrolled: 2-line block ×3, first 2 shown]
	s_delay_alu instid0(VALU_DEP_1) | instskip(NEXT) | instid1(VALU_DEP_4)
	v_lshlrev_b32_e32 v6, 2, v6
	v_lshlrev_b32_e32 v5, 2, v5
	;; [unrolled: 1-line block ×3, first 2 shown]
	ds_bpermute_b32 v4, v4, v11
	s_waitcnt lgkmcnt(0)
	v_add_f32_e32 v4, v11, v4
	ds_bpermute_b32 v5, v5, v4
	s_waitcnt lgkmcnt(0)
	v_add_f32_e32 v4, v4, v5
	ds_bpermute_b32 v5, v6, v4
	v_xor_b32_e32 v6, 2, v3
	s_delay_alu instid0(VALU_DEP_1) | instskip(SKIP_1) | instid1(VALU_DEP_1)
	v_cmp_gt_i32_e32 vcc_lo, 32, v6
	v_cndmask_b32_e32 v6, v3, v6, vcc_lo
	v_lshlrev_b32_e32 v6, 2, v6
	s_waitcnt lgkmcnt(0)
	v_add_f32_e32 v4, v4, v5
	ds_bpermute_b32 v5, v6, v4
	v_xor_b32_e32 v6, 1, v3
	s_delay_alu instid0(VALU_DEP_1) | instskip(SKIP_3) | instid1(VALU_DEP_2)
	v_cmp_gt_i32_e32 vcc_lo, 32, v6
	v_cndmask_b32_e32 v6, v3, v6, vcc_lo
	v_cmp_eq_u32_e32 vcc_lo, 31, v0
	s_waitcnt lgkmcnt(0)
	v_dual_add_f32 v3, v4, v5 :: v_dual_lshlrev_b32 v4, 2, v6
	ds_bpermute_b32 v4, v4, v3
	s_and_b32 exec_lo, exec_lo, vcc_lo
	s_cbranch_execz .LBB130_14
; %bb.11:
	v_cmp_eq_f32_e64 s0, s2, 0
	v_lshlrev_b64 v[0:1], 2, v[1:2]
	s_waitcnt lgkmcnt(0)
	v_add_f32_e32 v3, v3, v4
	s_delay_alu instid0(VALU_DEP_3)
	s_and_b32 vcc_lo, exec_lo, s0
	s_cbranch_vccnz .LBB130_13
; %bb.12:
	s_delay_alu instid0(VALU_DEP_2)
	v_add_co_u32 v4, vcc_lo, s8, v0
	v_add_co_ci_u32_e32 v5, vcc_lo, s9, v1, vcc_lo
	global_load_b32 v2, v[4:5], off
	s_waitcnt vmcnt(0)
	v_fmac_f32_e32 v3, s2, v2
.LBB130_13:
	s_delay_alu instid0(VALU_DEP_2)
	v_add_co_u32 v0, vcc_lo, s8, v0
	v_add_co_ci_u32_e32 v1, vcc_lo, s9, v1, vcc_lo
	global_store_b32 v[0:1], v3, off
.LBB130_14:
	s_nop 0
	s_sendmsg sendmsg(MSG_DEALLOC_VGPRS)
	s_endpgm
	.section	.rodata,"a",@progbits
	.p2align	6, 0x0
	.amdhsa_kernel _ZN9rocsparseL41csrmvn_lrb_medium_rows_warp_reduce_kernelILj256ELj32EllDF16_DF16_ffEEvbT1_lPT2_S3_jNS_24const_host_device_scalarIT6_EEPKS1_PKS2_PKT3_PKT4_S6_PT5_21rocsparse_index_base_b
		.amdhsa_group_segment_fixed_size 0
		.amdhsa_private_segment_fixed_size 0
		.amdhsa_kernarg_size 112
		.amdhsa_user_sgpr_count 15
		.amdhsa_user_sgpr_dispatch_ptr 0
		.amdhsa_user_sgpr_queue_ptr 0
		.amdhsa_user_sgpr_kernarg_segment_ptr 1
		.amdhsa_user_sgpr_dispatch_id 0
		.amdhsa_user_sgpr_private_segment_size 0
		.amdhsa_wavefront_size32 1
		.amdhsa_uses_dynamic_stack 0
		.amdhsa_enable_private_segment 0
		.amdhsa_system_sgpr_workgroup_id_x 1
		.amdhsa_system_sgpr_workgroup_id_y 0
		.amdhsa_system_sgpr_workgroup_id_z 0
		.amdhsa_system_sgpr_workgroup_info 0
		.amdhsa_system_vgpr_workitem_id 0
		.amdhsa_next_free_vgpr 15
		.amdhsa_next_free_sgpr 20
		.amdhsa_reserve_vcc 1
		.amdhsa_float_round_mode_32 0
		.amdhsa_float_round_mode_16_64 0
		.amdhsa_float_denorm_mode_32 3
		.amdhsa_float_denorm_mode_16_64 3
		.amdhsa_dx10_clamp 1
		.amdhsa_ieee_mode 1
		.amdhsa_fp16_overflow 0
		.amdhsa_workgroup_processor_mode 1
		.amdhsa_memory_ordered 1
		.amdhsa_forward_progress 0
		.amdhsa_shared_vgpr_count 0
		.amdhsa_exception_fp_ieee_invalid_op 0
		.amdhsa_exception_fp_denorm_src 0
		.amdhsa_exception_fp_ieee_div_zero 0
		.amdhsa_exception_fp_ieee_overflow 0
		.amdhsa_exception_fp_ieee_underflow 0
		.amdhsa_exception_fp_ieee_inexact 0
		.amdhsa_exception_int_div_zero 0
	.end_amdhsa_kernel
	.section	.text._ZN9rocsparseL41csrmvn_lrb_medium_rows_warp_reduce_kernelILj256ELj32EllDF16_DF16_ffEEvbT1_lPT2_S3_jNS_24const_host_device_scalarIT6_EEPKS1_PKS2_PKT3_PKT4_S6_PT5_21rocsparse_index_base_b,"axG",@progbits,_ZN9rocsparseL41csrmvn_lrb_medium_rows_warp_reduce_kernelILj256ELj32EllDF16_DF16_ffEEvbT1_lPT2_S3_jNS_24const_host_device_scalarIT6_EEPKS1_PKS2_PKT3_PKT4_S6_PT5_21rocsparse_index_base_b,comdat
.Lfunc_end130:
	.size	_ZN9rocsparseL41csrmvn_lrb_medium_rows_warp_reduce_kernelILj256ELj32EllDF16_DF16_ffEEvbT1_lPT2_S3_jNS_24const_host_device_scalarIT6_EEPKS1_PKS2_PKT3_PKT4_S6_PT5_21rocsparse_index_base_b, .Lfunc_end130-_ZN9rocsparseL41csrmvn_lrb_medium_rows_warp_reduce_kernelILj256ELj32EllDF16_DF16_ffEEvbT1_lPT2_S3_jNS_24const_host_device_scalarIT6_EEPKS1_PKS2_PKT3_PKT4_S6_PT5_21rocsparse_index_base_b
                                        ; -- End function
	.section	.AMDGPU.csdata,"",@progbits
; Kernel info:
; codeLenInByte = 936
; NumSgprs: 22
; NumVgprs: 15
; ScratchSize: 0
; MemoryBound: 0
; FloatMode: 240
; IeeeMode: 1
; LDSByteSize: 0 bytes/workgroup (compile time only)
; SGPRBlocks: 2
; VGPRBlocks: 1
; NumSGPRsForWavesPerEU: 22
; NumVGPRsForWavesPerEU: 15
; Occupancy: 16
; WaveLimiterHint : 1
; COMPUTE_PGM_RSRC2:SCRATCH_EN: 0
; COMPUTE_PGM_RSRC2:USER_SGPR: 15
; COMPUTE_PGM_RSRC2:TRAP_HANDLER: 0
; COMPUTE_PGM_RSRC2:TGID_X_EN: 1
; COMPUTE_PGM_RSRC2:TGID_Y_EN: 0
; COMPUTE_PGM_RSRC2:TGID_Z_EN: 0
; COMPUTE_PGM_RSRC2:TIDIG_COMP_CNT: 0
	.section	.text._ZN9rocsparseL41csrmvn_lrb_medium_rows_warp_reduce_kernelILj256ELj64EllDF16_DF16_ffEEvbT1_lPT2_S3_jNS_24const_host_device_scalarIT6_EEPKS1_PKS2_PKT3_PKT4_S6_PT5_21rocsparse_index_base_b,"axG",@progbits,_ZN9rocsparseL41csrmvn_lrb_medium_rows_warp_reduce_kernelILj256ELj64EllDF16_DF16_ffEEvbT1_lPT2_S3_jNS_24const_host_device_scalarIT6_EEPKS1_PKS2_PKT3_PKT4_S6_PT5_21rocsparse_index_base_b,comdat
	.globl	_ZN9rocsparseL41csrmvn_lrb_medium_rows_warp_reduce_kernelILj256ELj64EllDF16_DF16_ffEEvbT1_lPT2_S3_jNS_24const_host_device_scalarIT6_EEPKS1_PKS2_PKT3_PKT4_S6_PT5_21rocsparse_index_base_b ; -- Begin function _ZN9rocsparseL41csrmvn_lrb_medium_rows_warp_reduce_kernelILj256ELj64EllDF16_DF16_ffEEvbT1_lPT2_S3_jNS_24const_host_device_scalarIT6_EEPKS1_PKS2_PKT3_PKT4_S6_PT5_21rocsparse_index_base_b
	.p2align	8
	.type	_ZN9rocsparseL41csrmvn_lrb_medium_rows_warp_reduce_kernelILj256ELj64EllDF16_DF16_ffEEvbT1_lPT2_S3_jNS_24const_host_device_scalarIT6_EEPKS1_PKS2_PKT3_PKT4_S6_PT5_21rocsparse_index_base_b,@function
_ZN9rocsparseL41csrmvn_lrb_medium_rows_warp_reduce_kernelILj256ELj64EllDF16_DF16_ffEEvbT1_lPT2_S3_jNS_24const_host_device_scalarIT6_EEPKS1_PKS2_PKT3_PKT4_S6_PT5_21rocsparse_index_base_b: ; @_ZN9rocsparseL41csrmvn_lrb_medium_rows_warp_reduce_kernelILj256ELj64EllDF16_DF16_ffEEvbT1_lPT2_S3_jNS_24const_host_device_scalarIT6_EEPKS1_PKS2_PKT3_PKT4_S6_PT5_21rocsparse_index_base_b
; %bb.0:
	s_clause 0x2
	s_load_b64 s[4:5], s[0:1], 0x68
	s_load_b64 s[6:7], s[0:1], 0x30
	;; [unrolled: 1-line block ×3, first 2 shown]
	s_waitcnt lgkmcnt(0)
	s_bitcmp1_b32 s5, 0
	s_cselect_b32 s5, -1, 0
	s_delay_alu instid0(SALU_CYCLE_1)
	s_and_b32 vcc_lo, exec_lo, s5
	s_xor_b32 s5, s5, -1
	s_cbranch_vccnz .LBB131_2
; %bb.1:
	s_load_b32 s6, s[6:7], 0x0
.LBB131_2:
	s_and_not1_b32 vcc_lo, exec_lo, s5
	s_cbranch_vccnz .LBB131_4
; %bb.3:
	s_load_b32 s2, s[2:3], 0x0
.LBB131_4:
	s_waitcnt lgkmcnt(0)
	v_cmp_neq_f32_e64 s3, s6, 0
	v_cmp_neq_f32_e64 s5, s2, 1.0
	s_delay_alu instid0(VALU_DEP_1) | instskip(NEXT) | instid1(SALU_CYCLE_1)
	s_or_b32 s3, s3, s5
	s_and_not1_b32 vcc_lo, exec_lo, s3
	s_cbranch_vccnz .LBB131_14
; %bb.5:
	s_load_b64 s[8:9], s[0:1], 0x10
	v_lshrrev_b32_e32 v1, 6, v0
	s_mov_b32 s3, exec_lo
	s_delay_alu instid0(VALU_DEP_1) | instskip(NEXT) | instid1(VALU_DEP_1)
	v_lshl_or_b32 v1, s15, 2, v1
	v_ashrrev_i32_e32 v2, 31, v1
	s_waitcnt lgkmcnt(0)
	s_delay_alu instid0(VALU_DEP_1)
	v_cmpx_gt_i64_e64 s[8:9], v[1:2]
	s_cbranch_execz .LBB131_14
; %bb.6:
	s_clause 0x1
	s_load_b32 s10, s[0:1], 0x28
	s_load_b128 s[12:15], s[0:1], 0x18
	s_mov_b32 s11, 0
	v_lshlrev_b64 v[1:2], 3, v[1:2]
	v_dual_mov_b32 v11, 0 :: v_dual_and_b32 v0, 63, v0
	s_waitcnt lgkmcnt(0)
	s_lshl_b64 s[8:9], s[10:11], 3
	s_delay_alu instid0(SALU_CYCLE_1) | instskip(SKIP_4) | instid1(SALU_CYCLE_1)
	s_add_u32 s8, s14, s8
	s_addc_u32 s9, s15, s9
	s_load_b64 s[8:9], s[8:9], 0x0
	s_waitcnt lgkmcnt(0)
	s_lshl_b64 s[8:9], s[8:9], 3
	s_add_u32 s3, s12, s8
	s_addc_u32 s5, s13, s9
	v_add_co_u32 v1, vcc_lo, s3, v1
	v_add_co_ci_u32_e32 v2, vcc_lo, s5, v2, vcc_lo
	s_load_b64 s[8:9], s[0:1], 0x38
	v_sub_co_u32 v9, s3, v0, s4
	global_load_b64 v[1:2], v[1:2], off
	v_sub_co_ci_u32_e64 v10, null, 0, 0, s3
	s_mov_b32 s3, exec_lo
	s_waitcnt vmcnt(0)
	v_lshlrev_b64 v[3:4], 3, v[1:2]
	s_waitcnt lgkmcnt(0)
	s_delay_alu instid0(VALU_DEP_1) | instskip(NEXT) | instid1(VALU_DEP_2)
	v_add_co_u32 v3, vcc_lo, s8, v3
	v_add_co_ci_u32_e32 v4, vcc_lo, s9, v4, vcc_lo
	s_load_b64 s[8:9], s[0:1], 0x60
	global_load_b128 v[5:8], v[3:4], off
	s_waitcnt vmcnt(0)
	v_sub_co_u32 v3, vcc_lo, v7, s4
	v_subrev_co_ci_u32_e32 v4, vcc_lo, 0, v8, vcc_lo
	v_add_co_u32 v5, vcc_lo, v5, v9
	v_add_co_ci_u32_e32 v6, vcc_lo, v6, v10, vcc_lo
	s_delay_alu instid0(VALU_DEP_1)
	v_cmpx_lt_i64_e64 v[5:6], v[3:4]
	s_cbranch_execz .LBB131_10
; %bb.7:
	s_clause 0x1
	s_load_b128 s[16:19], s[0:1], 0x40
	s_load_b64 s[12:13], s[0:1], 0x50
	v_lshlrev_b64 v[7:8], 1, v[5:6]
	v_lshlrev_b64 v[9:10], 3, v[5:6]
	v_mov_b32_e32 v11, 0
	s_waitcnt lgkmcnt(0)
	s_delay_alu instid0(VALU_DEP_3) | instskip(NEXT) | instid1(VALU_DEP_4)
	v_add_co_u32 v7, vcc_lo, s18, v7
	v_add_co_ci_u32_e32 v8, vcc_lo, s19, v8, vcc_lo
	s_delay_alu instid0(VALU_DEP_4)
	v_add_co_u32 v9, vcc_lo, s16, v9
	v_add_co_ci_u32_e32 v10, vcc_lo, s17, v10, vcc_lo
	s_set_inst_prefetch_distance 0x1
	.p2align	6
.LBB131_8:                              ; =>This Inner Loop Header: Depth=1
	global_load_b64 v[12:13], v[9:10], off
	global_load_u16 v14, v[7:8], off
	v_add_co_u32 v9, s0, 0x200, v9
	s_delay_alu instid0(VALU_DEP_1) | instskip(SKIP_3) | instid1(VALU_DEP_1)
	v_add_co_ci_u32_e64 v10, s0, 0, v10, s0
	s_waitcnt vmcnt(1)
	v_sub_co_u32 v12, vcc_lo, v12, s4
	v_subrev_co_ci_u32_e32 v13, vcc_lo, 0, v13, vcc_lo
	v_lshlrev_b64 v[12:13], 1, v[12:13]
	s_delay_alu instid0(VALU_DEP_1) | instskip(NEXT) | instid1(VALU_DEP_2)
	v_add_co_u32 v12, vcc_lo, s12, v12
	v_add_co_ci_u32_e32 v13, vcc_lo, s13, v13, vcc_lo
	v_add_co_u32 v5, vcc_lo, v5, 64
	v_add_co_ci_u32_e32 v6, vcc_lo, 0, v6, vcc_lo
	global_load_u16 v12, v[12:13], off
	s_waitcnt vmcnt(1)
	v_cvt_f32_f16_e32 v13, v14
	v_add_co_u32 v7, vcc_lo, 0x80, v7
	v_add_co_ci_u32_e32 v8, vcc_lo, 0, v8, vcc_lo
	s_delay_alu instid0(VALU_DEP_3) | instskip(SKIP_3) | instid1(VALU_DEP_2)
	v_mul_f32_e32 v13, s6, v13
	v_cmp_ge_i64_e32 vcc_lo, v[5:6], v[3:4]
	s_or_b32 s11, vcc_lo, s11
	s_waitcnt vmcnt(0)
	v_fma_mix_f32 v11, v13, v12, v11 op_sel_hi:[0,1,0]
	s_and_not1_b32 exec_lo, exec_lo, s11
	s_cbranch_execnz .LBB131_8
; %bb.9:
	s_set_inst_prefetch_distance 0x2
	s_or_b32 exec_lo, exec_lo, s11
.LBB131_10:
	s_delay_alu instid0(SALU_CYCLE_1) | instskip(SKIP_1) | instid1(VALU_DEP_1)
	s_or_b32 exec_lo, exec_lo, s3
	v_mbcnt_lo_u32_b32 v3, -1, 0
	v_or_b32_e32 v4, 32, v3
	v_xor_b32_e32 v5, 16, v3
	v_xor_b32_e32 v6, 8, v3
	s_delay_alu instid0(VALU_DEP_3) | instskip(SKIP_1) | instid1(VALU_DEP_4)
	v_cmp_gt_i32_e32 vcc_lo, 32, v4
	v_cndmask_b32_e32 v4, v3, v4, vcc_lo
	v_cmp_gt_i32_e32 vcc_lo, 32, v5
	v_cndmask_b32_e32 v5, v3, v5, vcc_lo
	;; [unrolled: 2-line block ×3, first 2 shown]
	s_delay_alu instid0(VALU_DEP_1) | instskip(NEXT) | instid1(VALU_DEP_4)
	v_lshlrev_b32_e32 v6, 2, v6
	v_lshlrev_b32_e32 v5, 2, v5
	;; [unrolled: 1-line block ×3, first 2 shown]
	ds_bpermute_b32 v4, v4, v11
	s_waitcnt lgkmcnt(0)
	v_add_f32_e32 v4, v11, v4
	ds_bpermute_b32 v5, v5, v4
	s_waitcnt lgkmcnt(0)
	v_add_f32_e32 v4, v4, v5
	ds_bpermute_b32 v5, v6, v4
	v_xor_b32_e32 v6, 4, v3
	s_delay_alu instid0(VALU_DEP_1) | instskip(SKIP_1) | instid1(VALU_DEP_1)
	v_cmp_gt_i32_e32 vcc_lo, 32, v6
	v_cndmask_b32_e32 v6, v3, v6, vcc_lo
	v_lshlrev_b32_e32 v6, 2, v6
	s_waitcnt lgkmcnt(0)
	v_add_f32_e32 v4, v4, v5
	ds_bpermute_b32 v5, v6, v4
	v_xor_b32_e32 v6, 2, v3
	s_delay_alu instid0(VALU_DEP_1) | instskip(SKIP_1) | instid1(VALU_DEP_1)
	v_cmp_gt_i32_e32 vcc_lo, 32, v6
	v_cndmask_b32_e32 v6, v3, v6, vcc_lo
	v_lshlrev_b32_e32 v6, 2, v6
	s_waitcnt lgkmcnt(0)
	v_add_f32_e32 v4, v4, v5
	ds_bpermute_b32 v5, v6, v4
	v_xor_b32_e32 v6, 1, v3
	s_delay_alu instid0(VALU_DEP_1) | instskip(SKIP_3) | instid1(VALU_DEP_2)
	v_cmp_gt_i32_e32 vcc_lo, 32, v6
	v_cndmask_b32_e32 v6, v3, v6, vcc_lo
	v_cmp_eq_u32_e32 vcc_lo, 63, v0
	s_waitcnt lgkmcnt(0)
	v_dual_add_f32 v3, v4, v5 :: v_dual_lshlrev_b32 v4, 2, v6
	ds_bpermute_b32 v4, v4, v3
	s_and_b32 exec_lo, exec_lo, vcc_lo
	s_cbranch_execz .LBB131_14
; %bb.11:
	v_cmp_eq_f32_e64 s0, s2, 0
	v_lshlrev_b64 v[0:1], 2, v[1:2]
	s_waitcnt lgkmcnt(0)
	v_add_f32_e32 v3, v3, v4
	s_delay_alu instid0(VALU_DEP_3)
	s_and_b32 vcc_lo, exec_lo, s0
	s_cbranch_vccnz .LBB131_13
; %bb.12:
	s_delay_alu instid0(VALU_DEP_2)
	v_add_co_u32 v4, vcc_lo, s8, v0
	v_add_co_ci_u32_e32 v5, vcc_lo, s9, v1, vcc_lo
	global_load_b32 v2, v[4:5], off
	s_waitcnt vmcnt(0)
	v_fmac_f32_e32 v3, s2, v2
.LBB131_13:
	s_delay_alu instid0(VALU_DEP_2)
	v_add_co_u32 v0, vcc_lo, s8, v0
	v_add_co_ci_u32_e32 v1, vcc_lo, s9, v1, vcc_lo
	global_store_b32 v[0:1], v3, off
.LBB131_14:
	s_nop 0
	s_sendmsg sendmsg(MSG_DEALLOC_VGPRS)
	s_endpgm
	.section	.rodata,"a",@progbits
	.p2align	6, 0x0
	.amdhsa_kernel _ZN9rocsparseL41csrmvn_lrb_medium_rows_warp_reduce_kernelILj256ELj64EllDF16_DF16_ffEEvbT1_lPT2_S3_jNS_24const_host_device_scalarIT6_EEPKS1_PKS2_PKT3_PKT4_S6_PT5_21rocsparse_index_base_b
		.amdhsa_group_segment_fixed_size 0
		.amdhsa_private_segment_fixed_size 0
		.amdhsa_kernarg_size 112
		.amdhsa_user_sgpr_count 15
		.amdhsa_user_sgpr_dispatch_ptr 0
		.amdhsa_user_sgpr_queue_ptr 0
		.amdhsa_user_sgpr_kernarg_segment_ptr 1
		.amdhsa_user_sgpr_dispatch_id 0
		.amdhsa_user_sgpr_private_segment_size 0
		.amdhsa_wavefront_size32 1
		.amdhsa_uses_dynamic_stack 0
		.amdhsa_enable_private_segment 0
		.amdhsa_system_sgpr_workgroup_id_x 1
		.amdhsa_system_sgpr_workgroup_id_y 0
		.amdhsa_system_sgpr_workgroup_id_z 0
		.amdhsa_system_sgpr_workgroup_info 0
		.amdhsa_system_vgpr_workitem_id 0
		.amdhsa_next_free_vgpr 15
		.amdhsa_next_free_sgpr 20
		.amdhsa_reserve_vcc 1
		.amdhsa_float_round_mode_32 0
		.amdhsa_float_round_mode_16_64 0
		.amdhsa_float_denorm_mode_32 3
		.amdhsa_float_denorm_mode_16_64 3
		.amdhsa_dx10_clamp 1
		.amdhsa_ieee_mode 1
		.amdhsa_fp16_overflow 0
		.amdhsa_workgroup_processor_mode 1
		.amdhsa_memory_ordered 1
		.amdhsa_forward_progress 0
		.amdhsa_shared_vgpr_count 0
		.amdhsa_exception_fp_ieee_invalid_op 0
		.amdhsa_exception_fp_denorm_src 0
		.amdhsa_exception_fp_ieee_div_zero 0
		.amdhsa_exception_fp_ieee_overflow 0
		.amdhsa_exception_fp_ieee_underflow 0
		.amdhsa_exception_fp_ieee_inexact 0
		.amdhsa_exception_int_div_zero 0
	.end_amdhsa_kernel
	.section	.text._ZN9rocsparseL41csrmvn_lrb_medium_rows_warp_reduce_kernelILj256ELj64EllDF16_DF16_ffEEvbT1_lPT2_S3_jNS_24const_host_device_scalarIT6_EEPKS1_PKS2_PKT3_PKT4_S6_PT5_21rocsparse_index_base_b,"axG",@progbits,_ZN9rocsparseL41csrmvn_lrb_medium_rows_warp_reduce_kernelILj256ELj64EllDF16_DF16_ffEEvbT1_lPT2_S3_jNS_24const_host_device_scalarIT6_EEPKS1_PKS2_PKT3_PKT4_S6_PT5_21rocsparse_index_base_b,comdat
.Lfunc_end131:
	.size	_ZN9rocsparseL41csrmvn_lrb_medium_rows_warp_reduce_kernelILj256ELj64EllDF16_DF16_ffEEvbT1_lPT2_S3_jNS_24const_host_device_scalarIT6_EEPKS1_PKS2_PKT3_PKT4_S6_PT5_21rocsparse_index_base_b, .Lfunc_end131-_ZN9rocsparseL41csrmvn_lrb_medium_rows_warp_reduce_kernelILj256ELj64EllDF16_DF16_ffEEvbT1_lPT2_S3_jNS_24const_host_device_scalarIT6_EEPKS1_PKS2_PKT3_PKT4_S6_PT5_21rocsparse_index_base_b
                                        ; -- End function
	.section	.AMDGPU.csdata,"",@progbits
; Kernel info:
; codeLenInByte = 976
; NumSgprs: 22
; NumVgprs: 15
; ScratchSize: 0
; MemoryBound: 0
; FloatMode: 240
; IeeeMode: 1
; LDSByteSize: 0 bytes/workgroup (compile time only)
; SGPRBlocks: 2
; VGPRBlocks: 1
; NumSGPRsForWavesPerEU: 22
; NumVGPRsForWavesPerEU: 15
; Occupancy: 16
; WaveLimiterHint : 1
; COMPUTE_PGM_RSRC2:SCRATCH_EN: 0
; COMPUTE_PGM_RSRC2:USER_SGPR: 15
; COMPUTE_PGM_RSRC2:TRAP_HANDLER: 0
; COMPUTE_PGM_RSRC2:TGID_X_EN: 1
; COMPUTE_PGM_RSRC2:TGID_Y_EN: 0
; COMPUTE_PGM_RSRC2:TGID_Z_EN: 0
; COMPUTE_PGM_RSRC2:TIDIG_COMP_CNT: 0
	.section	.text._ZN9rocsparseL29csrmvn_lrb_medium_rows_kernelILj256EllDF16_DF16_ffEEvbT0_PT1_S3_jNS_24const_host_device_scalarIT5_EEPKS1_PKS2_PKT2_PKT3_S6_PT4_21rocsparse_index_base_b,"axG",@progbits,_ZN9rocsparseL29csrmvn_lrb_medium_rows_kernelILj256EllDF16_DF16_ffEEvbT0_PT1_S3_jNS_24const_host_device_scalarIT5_EEPKS1_PKS2_PKT2_PKT3_S6_PT4_21rocsparse_index_base_b,comdat
	.globl	_ZN9rocsparseL29csrmvn_lrb_medium_rows_kernelILj256EllDF16_DF16_ffEEvbT0_PT1_S3_jNS_24const_host_device_scalarIT5_EEPKS1_PKS2_PKT2_PKT3_S6_PT4_21rocsparse_index_base_b ; -- Begin function _ZN9rocsparseL29csrmvn_lrb_medium_rows_kernelILj256EllDF16_DF16_ffEEvbT0_PT1_S3_jNS_24const_host_device_scalarIT5_EEPKS1_PKS2_PKT2_PKT3_S6_PT4_21rocsparse_index_base_b
	.p2align	8
	.type	_ZN9rocsparseL29csrmvn_lrb_medium_rows_kernelILj256EllDF16_DF16_ffEEvbT0_PT1_S3_jNS_24const_host_device_scalarIT5_EEPKS1_PKS2_PKT2_PKT3_S6_PT4_21rocsparse_index_base_b,@function
_ZN9rocsparseL29csrmvn_lrb_medium_rows_kernelILj256EllDF16_DF16_ffEEvbT0_PT1_S3_jNS_24const_host_device_scalarIT5_EEPKS1_PKS2_PKT2_PKT3_S6_PT4_21rocsparse_index_base_b: ; @_ZN9rocsparseL29csrmvn_lrb_medium_rows_kernelILj256EllDF16_DF16_ffEEvbT0_PT1_S3_jNS_24const_host_device_scalarIT5_EEPKS1_PKS2_PKT2_PKT3_S6_PT4_21rocsparse_index_base_b
; %bb.0:
	s_clause 0x2
	s_load_b64 s[8:9], s[0:1], 0x60
	s_load_b64 s[10:11], s[0:1], 0x28
	;; [unrolled: 1-line block ×3, first 2 shown]
	s_mov_b32 s4, s15
	s_waitcnt lgkmcnt(0)
	s_bitcmp1_b32 s9, 0
	s_cselect_b32 s5, -1, 0
	s_delay_alu instid0(SALU_CYCLE_1)
	s_and_b32 vcc_lo, exec_lo, s5
	s_xor_b32 s5, s5, -1
	s_cbranch_vccnz .LBB132_2
; %bb.1:
	s_load_b32 s10, s[10:11], 0x0
.LBB132_2:
	s_and_not1_b32 vcc_lo, exec_lo, s5
	s_cbranch_vccnz .LBB132_4
; %bb.3:
	s_load_b32 s2, s[2:3], 0x0
.LBB132_4:
	s_waitcnt lgkmcnt(0)
	v_cmp_neq_f32_e64 s3, s10, 0
	v_cmp_neq_f32_e64 s5, s2, 1.0
	s_mov_b32 s7, 0
	s_delay_alu instid0(VALU_DEP_1) | instskip(NEXT) | instid1(SALU_CYCLE_1)
	s_or_b32 s3, s3, s5
	s_and_not1_b32 vcc_lo, exec_lo, s3
	s_cbranch_vccnz .LBB132_29
; %bb.5:
	s_clause 0x1
	s_load_b32 s6, s[0:1], 0x20
	s_load_b128 s[12:15], s[0:1], 0x10
	v_mov_b32_e32 v7, 0
	s_waitcnt lgkmcnt(0)
	s_lshl_b64 s[6:7], s[6:7], 3
	s_delay_alu instid0(SALU_CYCLE_1)
	s_add_u32 s6, s14, s6
	s_addc_u32 s7, s15, s7
	s_ashr_i32 s5, s4, 31
	s_load_b64 s[6:7], s[6:7], 0x0
	s_waitcnt lgkmcnt(0)
	s_lshl_b64 s[6:7], s[6:7], 3
	s_delay_alu instid0(SALU_CYCLE_1) | instskip(SKIP_2) | instid1(SALU_CYCLE_1)
	s_add_u32 s3, s12, s6
	s_addc_u32 s6, s13, s7
	s_lshl_b64 s[4:5], s[4:5], 3
	s_add_u32 s4, s3, s4
	s_addc_u32 s5, s6, s5
	s_load_b64 s[4:5], s[4:5], 0x0
	s_load_b64 s[6:7], s[0:1], 0x30
	v_sub_co_u32 v1, s3, v0, s8
	s_delay_alu instid0(VALU_DEP_1) | instskip(SKIP_3) | instid1(SALU_CYCLE_1)
	v_sub_co_ci_u32_e64 v2, null, 0, 0, s3
	s_mov_b32 s3, exec_lo
	s_waitcnt lgkmcnt(0)
	s_lshl_b64 s[12:13], s[4:5], 3
	s_add_u32 s6, s6, s12
	s_addc_u32 s7, s7, s13
	s_load_b128 s[12:15], s[6:7], 0x0
	s_load_b64 s[6:7], s[0:1], 0x58
	s_waitcnt lgkmcnt(0)
	v_add_co_u32 v1, vcc_lo, s12, v1
	v_add_co_ci_u32_e32 v2, vcc_lo, s13, v2, vcc_lo
	s_sub_u32 s12, s14, s8
	s_subb_u32 s13, s15, 0
	s_delay_alu instid0(VALU_DEP_1) | instid1(SALU_CYCLE_1)
	v_cmpx_gt_i64_e64 s[12:13], v[1:2]
	s_cbranch_execz .LBB132_9
; %bb.6:
	s_clause 0x1
	s_load_b128 s[16:19], s[0:1], 0x38
	s_load_b64 s[14:15], s[0:1], 0x48
	v_lshlrev_b64 v[3:4], 1, v[1:2]
	v_lshlrev_b64 v[5:6], 3, v[1:2]
	v_mov_b32_e32 v7, 0
	s_mov_b32 s1, 0
	s_waitcnt lgkmcnt(0)
	s_delay_alu instid0(VALU_DEP_3)
	v_add_co_u32 v3, vcc_lo, s18, v3
	v_add_co_ci_u32_e32 v4, vcc_lo, s19, v4, vcc_lo
	v_add_co_u32 v5, vcc_lo, s16, v5
	v_add_co_ci_u32_e32 v6, vcc_lo, s17, v6, vcc_lo
	s_set_inst_prefetch_distance 0x1
	.p2align	6
.LBB132_7:                              ; =>This Inner Loop Header: Depth=1
	global_load_b64 v[8:9], v[5:6], off
	global_load_u16 v10, v[3:4], off
	v_add_co_u32 v5, s0, 0x800, v5
	s_delay_alu instid0(VALU_DEP_1) | instskip(SKIP_3) | instid1(VALU_DEP_1)
	v_add_co_ci_u32_e64 v6, s0, 0, v6, s0
	s_waitcnt vmcnt(1)
	v_sub_co_u32 v8, vcc_lo, v8, s8
	v_subrev_co_ci_u32_e32 v9, vcc_lo, 0, v9, vcc_lo
	v_lshlrev_b64 v[8:9], 1, v[8:9]
	s_delay_alu instid0(VALU_DEP_1) | instskip(NEXT) | instid1(VALU_DEP_2)
	v_add_co_u32 v8, vcc_lo, s14, v8
	v_add_co_ci_u32_e32 v9, vcc_lo, s15, v9, vcc_lo
	v_add_co_u32 v1, vcc_lo, 0x100, v1
	v_add_co_ci_u32_e32 v2, vcc_lo, 0, v2, vcc_lo
	global_load_u16 v8, v[8:9], off
	s_waitcnt vmcnt(1)
	v_cvt_f32_f16_e32 v9, v10
	v_add_co_u32 v3, vcc_lo, 0x200, v3
	v_add_co_ci_u32_e32 v4, vcc_lo, 0, v4, vcc_lo
	s_delay_alu instid0(VALU_DEP_3) | instskip(SKIP_3) | instid1(VALU_DEP_2)
	v_mul_f32_e32 v9, s10, v9
	v_cmp_le_i64_e32 vcc_lo, s[12:13], v[1:2]
	s_or_b32 s1, vcc_lo, s1
	s_waitcnt vmcnt(0)
	v_fma_mix_f32 v7, v9, v8, v7 op_sel_hi:[0,1,0]
	s_and_not1_b32 exec_lo, exec_lo, s1
	s_cbranch_execnz .LBB132_7
; %bb.8:
	s_set_inst_prefetch_distance 0x2
	s_or_b32 exec_lo, exec_lo, s1
.LBB132_9:
	s_delay_alu instid0(SALU_CYCLE_1)
	s_or_b32 exec_lo, exec_lo, s3
	v_lshlrev_b32_e32 v1, 2, v0
	s_mov_b32 s0, exec_lo
	ds_store_b32 v1, v7
	s_waitcnt lgkmcnt(0)
	s_barrier
	buffer_gl0_inv
	v_cmpx_gt_u32_e32 0x80, v0
	s_cbranch_execz .LBB132_11
; %bb.10:
	ds_load_2addr_stride64_b32 v[2:3], v1 offset1:2
	s_waitcnt lgkmcnt(0)
	v_add_f32_e32 v2, v2, v3
	ds_store_b32 v1, v2
.LBB132_11:
	s_or_b32 exec_lo, exec_lo, s0
	s_delay_alu instid0(SALU_CYCLE_1)
	s_mov_b32 s0, exec_lo
	s_waitcnt lgkmcnt(0)
	s_barrier
	buffer_gl0_inv
	v_cmpx_gt_u32_e32 64, v0
	s_cbranch_execz .LBB132_13
; %bb.12:
	ds_load_2addr_stride64_b32 v[2:3], v1 offset1:1
	s_waitcnt lgkmcnt(0)
	v_add_f32_e32 v2, v2, v3
	ds_store_b32 v1, v2
.LBB132_13:
	s_or_b32 exec_lo, exec_lo, s0
	s_delay_alu instid0(SALU_CYCLE_1)
	s_mov_b32 s0, exec_lo
	s_waitcnt lgkmcnt(0)
	s_barrier
	buffer_gl0_inv
	v_cmpx_gt_u32_e32 32, v0
	s_cbranch_execz .LBB132_15
; %bb.14:
	ds_load_2addr_b32 v[2:3], v1 offset1:32
	s_waitcnt lgkmcnt(0)
	v_add_f32_e32 v2, v2, v3
	ds_store_b32 v1, v2
.LBB132_15:
	s_or_b32 exec_lo, exec_lo, s0
	s_delay_alu instid0(SALU_CYCLE_1)
	s_mov_b32 s0, exec_lo
	s_waitcnt lgkmcnt(0)
	s_barrier
	buffer_gl0_inv
	v_cmpx_gt_u32_e32 16, v0
	s_cbranch_execz .LBB132_17
; %bb.16:
	ds_load_2addr_b32 v[2:3], v1 offset1:16
	s_waitcnt lgkmcnt(0)
	v_add_f32_e32 v2, v2, v3
	ds_store_b32 v1, v2
.LBB132_17:
	;; [unrolled: 14-line block ×5, first 2 shown]
	s_or_b32 exec_lo, exec_lo, s0
	v_cmp_eq_u32_e32 vcc_lo, 0, v0
	s_waitcnt lgkmcnt(0)
	s_barrier
	buffer_gl0_inv
	s_and_saveexec_b32 s0, vcc_lo
	s_cbranch_execz .LBB132_25
; %bb.24:
	v_mov_b32_e32 v2, 0
	ds_load_b64 v[0:1], v2
	s_waitcnt lgkmcnt(0)
	v_add_f32_e32 v0, v0, v1
	ds_store_b32 v2, v0
.LBB132_25:
	s_or_b32 exec_lo, exec_lo, s0
	s_waitcnt lgkmcnt(0)
	s_barrier
	buffer_gl0_inv
	s_and_saveexec_b32 s0, vcc_lo
	s_cbranch_execz .LBB132_29
; %bb.26:
	v_mov_b32_e32 v0, 0
	v_cmp_eq_f32_e64 s0, s2, 0
	ds_load_b32 v1, v0
	s_and_b32 vcc_lo, exec_lo, s0
	s_cbranch_vccnz .LBB132_28
; %bb.27:
	s_lshl_b64 s[0:1], s[4:5], 2
	s_delay_alu instid0(SALU_CYCLE_1)
	s_add_u32 s0, s6, s0
	s_addc_u32 s1, s7, s1
	s_load_b32 s0, s[0:1], 0x0
	s_waitcnt lgkmcnt(0)
	v_fmac_f32_e64 v1, s2, s0
.LBB132_28:
	s_lshl_b64 s[0:1], s[4:5], 2
	s_delay_alu instid0(SALU_CYCLE_1)
	s_add_u32 s0, s6, s0
	s_addc_u32 s1, s7, s1
	s_waitcnt lgkmcnt(0)
	global_store_b32 v0, v1, s[0:1]
.LBB132_29:
	s_nop 0
	s_sendmsg sendmsg(MSG_DEALLOC_VGPRS)
	s_endpgm
	.section	.rodata,"a",@progbits
	.p2align	6, 0x0
	.amdhsa_kernel _ZN9rocsparseL29csrmvn_lrb_medium_rows_kernelILj256EllDF16_DF16_ffEEvbT0_PT1_S3_jNS_24const_host_device_scalarIT5_EEPKS1_PKS2_PKT2_PKT3_S6_PT4_21rocsparse_index_base_b
		.amdhsa_group_segment_fixed_size 1024
		.amdhsa_private_segment_fixed_size 0
		.amdhsa_kernarg_size 104
		.amdhsa_user_sgpr_count 15
		.amdhsa_user_sgpr_dispatch_ptr 0
		.amdhsa_user_sgpr_queue_ptr 0
		.amdhsa_user_sgpr_kernarg_segment_ptr 1
		.amdhsa_user_sgpr_dispatch_id 0
		.amdhsa_user_sgpr_private_segment_size 0
		.amdhsa_wavefront_size32 1
		.amdhsa_uses_dynamic_stack 0
		.amdhsa_enable_private_segment 0
		.amdhsa_system_sgpr_workgroup_id_x 1
		.amdhsa_system_sgpr_workgroup_id_y 0
		.amdhsa_system_sgpr_workgroup_id_z 0
		.amdhsa_system_sgpr_workgroup_info 0
		.amdhsa_system_vgpr_workitem_id 0
		.amdhsa_next_free_vgpr 11
		.amdhsa_next_free_sgpr 20
		.amdhsa_reserve_vcc 1
		.amdhsa_float_round_mode_32 0
		.amdhsa_float_round_mode_16_64 0
		.amdhsa_float_denorm_mode_32 3
		.amdhsa_float_denorm_mode_16_64 3
		.amdhsa_dx10_clamp 1
		.amdhsa_ieee_mode 1
		.amdhsa_fp16_overflow 0
		.amdhsa_workgroup_processor_mode 1
		.amdhsa_memory_ordered 1
		.amdhsa_forward_progress 0
		.amdhsa_shared_vgpr_count 0
		.amdhsa_exception_fp_ieee_invalid_op 0
		.amdhsa_exception_fp_denorm_src 0
		.amdhsa_exception_fp_ieee_div_zero 0
		.amdhsa_exception_fp_ieee_overflow 0
		.amdhsa_exception_fp_ieee_underflow 0
		.amdhsa_exception_fp_ieee_inexact 0
		.amdhsa_exception_int_div_zero 0
	.end_amdhsa_kernel
	.section	.text._ZN9rocsparseL29csrmvn_lrb_medium_rows_kernelILj256EllDF16_DF16_ffEEvbT0_PT1_S3_jNS_24const_host_device_scalarIT5_EEPKS1_PKS2_PKT2_PKT3_S6_PT4_21rocsparse_index_base_b,"axG",@progbits,_ZN9rocsparseL29csrmvn_lrb_medium_rows_kernelILj256EllDF16_DF16_ffEEvbT0_PT1_S3_jNS_24const_host_device_scalarIT5_EEPKS1_PKS2_PKT2_PKT3_S6_PT4_21rocsparse_index_base_b,comdat
.Lfunc_end132:
	.size	_ZN9rocsparseL29csrmvn_lrb_medium_rows_kernelILj256EllDF16_DF16_ffEEvbT0_PT1_S3_jNS_24const_host_device_scalarIT5_EEPKS1_PKS2_PKT2_PKT3_S6_PT4_21rocsparse_index_base_b, .Lfunc_end132-_ZN9rocsparseL29csrmvn_lrb_medium_rows_kernelILj256EllDF16_DF16_ffEEvbT0_PT1_S3_jNS_24const_host_device_scalarIT5_EEPKS1_PKS2_PKT2_PKT3_S6_PT4_21rocsparse_index_base_b
                                        ; -- End function
	.section	.AMDGPU.csdata,"",@progbits
; Kernel info:
; codeLenInByte = 1204
; NumSgprs: 22
; NumVgprs: 11
; ScratchSize: 0
; MemoryBound: 0
; FloatMode: 240
; IeeeMode: 1
; LDSByteSize: 1024 bytes/workgroup (compile time only)
; SGPRBlocks: 2
; VGPRBlocks: 1
; NumSGPRsForWavesPerEU: 22
; NumVGPRsForWavesPerEU: 11
; Occupancy: 16
; WaveLimiterHint : 1
; COMPUTE_PGM_RSRC2:SCRATCH_EN: 0
; COMPUTE_PGM_RSRC2:USER_SGPR: 15
; COMPUTE_PGM_RSRC2:TRAP_HANDLER: 0
; COMPUTE_PGM_RSRC2:TGID_X_EN: 1
; COMPUTE_PGM_RSRC2:TGID_Y_EN: 0
; COMPUTE_PGM_RSRC2:TGID_Z_EN: 0
; COMPUTE_PGM_RSRC2:TIDIG_COMP_CNT: 0
	.section	.text._ZN9rocsparseL27csrmvn_lrb_long_rows_kernelIllDF16_DF16_ffEEvbT_PjPT0_S4_jNS_24const_host_device_scalarIT4_EEPKS1_PKS3_PKT1_PKT2_S7_PT3_21rocsparse_index_base_b,"axG",@progbits,_ZN9rocsparseL27csrmvn_lrb_long_rows_kernelIllDF16_DF16_ffEEvbT_PjPT0_S4_jNS_24const_host_device_scalarIT4_EEPKS1_PKS3_PKT1_PKT2_S7_PT3_21rocsparse_index_base_b,comdat
	.globl	_ZN9rocsparseL27csrmvn_lrb_long_rows_kernelIllDF16_DF16_ffEEvbT_PjPT0_S4_jNS_24const_host_device_scalarIT4_EEPKS1_PKS3_PKT1_PKT2_S7_PT3_21rocsparse_index_base_b ; -- Begin function _ZN9rocsparseL27csrmvn_lrb_long_rows_kernelIllDF16_DF16_ffEEvbT_PjPT0_S4_jNS_24const_host_device_scalarIT4_EEPKS1_PKS3_PKT1_PKT2_S7_PT3_21rocsparse_index_base_b
	.p2align	8
	.type	_ZN9rocsparseL27csrmvn_lrb_long_rows_kernelIllDF16_DF16_ffEEvbT_PjPT0_S4_jNS_24const_host_device_scalarIT4_EEPKS1_PKS3_PKT1_PKT2_S7_PT3_21rocsparse_index_base_b,@function
_ZN9rocsparseL27csrmvn_lrb_long_rows_kernelIllDF16_DF16_ffEEvbT_PjPT0_S4_jNS_24const_host_device_scalarIT4_EEPKS1_PKS3_PKT1_PKT2_S7_PT3_21rocsparse_index_base_b: ; @_ZN9rocsparseL27csrmvn_lrb_long_rows_kernelIllDF16_DF16_ffEEvbT_PjPT0_S4_jNS_24const_host_device_scalarIT4_EEPKS1_PKS3_PKT1_PKT2_S7_PT3_21rocsparse_index_base_b
; %bb.0:
	s_clause 0x2
	s_load_b64 s[16:17], s[0:1], 0x68
	s_load_b64 s[18:19], s[0:1], 0x30
	;; [unrolled: 1-line block ×3, first 2 shown]
	s_mov_b32 s8, s15
	s_waitcnt lgkmcnt(0)
	s_bitcmp1_b32 s17, 0
	s_cselect_b32 s2, -1, 0
	s_delay_alu instid0(SALU_CYCLE_1)
	s_and_b32 vcc_lo, exec_lo, s2
	s_xor_b32 s2, s2, -1
	s_cbranch_vccnz .LBB133_2
; %bb.1:
	s_load_b32 s18, s[18:19], 0x0
.LBB133_2:
	s_and_not1_b32 vcc_lo, exec_lo, s2
	s_cbranch_vccnz .LBB133_4
; %bb.3:
	s_load_b32 s20, s[20:21], 0x0
.LBB133_4:
	s_waitcnt lgkmcnt(0)
	v_cmp_neq_f32_e64 s2, s18, 0
	v_cmp_neq_f32_e64 s3, s20, 1.0
	s_delay_alu instid0(VALU_DEP_1)
	s_or_b32 s2, s2, s3
	s_mov_b32 s3, 0
	s_and_not1_b32 vcc_lo, exec_lo, s2
	s_cbranch_vccnz .LBB133_39
; %bb.5:
	s_clause 0x1
	s_load_b32 s2, s[0:1], 0x28
	s_load_b64 s[4:5], s[0:1], 0x20
	v_mov_b32_e32 v7, 0
	s_mov_b32 s21, exec_lo
	s_waitcnt lgkmcnt(0)
	s_lshl_b64 s[6:7], s[2:3], 3
	s_delay_alu instid0(SALU_CYCLE_1) | instskip(SKIP_4) | instid1(SALU_CYCLE_1)
	s_add_u32 s4, s4, s6
	s_addc_u32 s5, s5, s7
	s_lshl_b32 s2, -1, s2
	s_load_b64 s[10:11], s[4:5], 0x0
	s_not_b32 s2, s2
	s_mul_hi_u32 s2, s2, 0x2aaaaaab
	s_delay_alu instid0(SALU_CYCLE_1) | instskip(NEXT) | instid1(SALU_CYCLE_1)
	s_lshr_b32 s2, s2, 7
	s_add_i32 s9, s2, 1
	s_not_b32 s2, s2
	v_cvt_f32_u32_e32 v1, s9
	s_delay_alu instid0(VALU_DEP_1) | instskip(SKIP_2) | instid1(VALU_DEP_1)
	v_rcp_iflag_f32_e32 v1, v1
	s_waitcnt_depctr 0xfff
	v_mul_f32_e32 v1, 0x4f7ffffe, v1
	v_cvt_u32_f32_e32 v1, v1
	s_delay_alu instid0(VALU_DEP_1) | instskip(NEXT) | instid1(VALU_DEP_1)
	v_readfirstlane_b32 s6, v1
	s_mul_i32 s2, s2, s6
	s_delay_alu instid0(SALU_CYCLE_1) | instskip(NEXT) | instid1(SALU_CYCLE_1)
	s_mul_hi_u32 s2, s6, s2
	s_add_i32 s2, s6, s2
	s_load_b128 s[4:7], s[0:1], 0x10
	s_mul_hi_u32 s2, s8, s2
	s_delay_alu instid0(SALU_CYCLE_1) | instskip(SKIP_2) | instid1(SALU_CYCLE_1)
	s_mul_i32 s12, s2, s9
	s_add_i32 s13, s2, 1
	s_sub_i32 s12, s8, s12
	s_sub_i32 s14, s12, s9
	s_cmp_ge_u32 s12, s9
	s_cselect_b32 s2, s13, s2
	s_cselect_b32 s12, s14, s12
	s_add_i32 s13, s2, 1
	s_cmp_ge_u32 s12, s9
	s_cselect_b32 s2, s13, s2
	s_waitcnt lgkmcnt(0)
	s_lshl_b64 s[10:11], s[10:11], 3
	s_mul_i32 s9, s2, s9
	s_delay_alu instid0(SALU_CYCLE_1)
	s_sub_i32 s19, s8, s9
	s_add_u32 s6, s6, s10
	s_addc_u32 s7, s7, s11
	s_lshl_b64 s[2:3], s[2:3], 3
	v_or_b32_e32 v1, s19, v0
	s_add_u32 s2, s6, s2
	s_addc_u32 s3, s7, s3
	s_load_b64 s[2:3], s[2:3], 0x0
	s_load_b64 s[6:7], s[0:1], 0x38
	s_waitcnt lgkmcnt(0)
	s_lshl_b64 s[10:11], s[2:3], 3
	s_delay_alu instid0(SALU_CYCLE_1)
	s_add_u32 s10, s6, s10
	s_addc_u32 s11, s7, s11
	s_ashr_i32 s9, s8, 31
	s_sub_u32 s14, s8, s19
	s_subb_u32 s15, s9, 0
	s_lshl_b64 s[8:9], s[8:9], 2
	s_load_b64 s[6:7], s[0:1], 0x60
	s_add_u32 s12, s4, s8
	s_addc_u32 s13, s5, s9
	s_load_b128 s[8:11], s[10:11], 0x0
	s_load_b32 s17, s[12:13], 0x0
	v_cmpx_eq_u32_e32 0, v1
	s_cbranch_execz .LBB133_9
; %bb.6:
	s_lshl_b64 s[24:25], s[2:3], 2
	s_mov_b32 s23, exec_lo
	s_waitcnt lgkmcnt(0)
	s_add_u32 s24, s6, s24
	s_addc_u32 s25, s7, s25
	v_mbcnt_lo_u32_b32 v2, s23, 0
	s_load_b32 s22, s[24:25], 0x0
	v_add_f32_e64 v1, s20, -1.0
	s_mov_b32 s20, exec_lo
	s_waitcnt vmcnt(0) expcnt(0) lgkmcnt(0)
	v_cmpx_eq_u32_e32 0, v2
	s_cbranch_execz .LBB133_8
; %bb.7:
	s_lshl_b64 s[24:25], s[14:15], 2
	s_delay_alu instid0(SALU_CYCLE_1) | instskip(SKIP_2) | instid1(SALU_CYCLE_1)
	s_add_u32 s24, s4, s24
	s_addc_u32 s25, s5, s25
	s_bcnt1_i32_b32 s23, s23
	s_and_b32 s23, s23, 1
	s_delay_alu instid0(SALU_CYCLE_1)
	v_dual_mov_b32 v2, 0 :: v_dual_mov_b32 v3, s23
	global_atomic_xor_b32 v2, v3, s[24:25]
.LBB133_8:
	s_or_b32 exec_lo, exec_lo, s20
	v_mul_f32_e32 v7, s22, v1
.LBB133_9:
	s_or_b32 exec_lo, exec_lo, s21
	s_mul_i32 s21, s19, 0x300
	s_waitcnt lgkmcnt(0)
	s_sub_u32 s8, s8, s16
	s_mul_hi_u32 s20, s19, 0x300
	s_subb_u32 s9, s9, 0
	s_add_u32 s21, s8, s21
	s_addc_u32 s20, s9, s20
	s_sub_u32 s8, s10, s16
	s_subb_u32 s9, s11, 0
	s_add_u32 s10, s21, 0x300
	s_addc_u32 s11, s20, 0
	v_add_co_u32 v1, s21, s21, v0
	v_cmp_lt_i64_e64 s22, s[10:11], s[8:9]
	v_add_co_ci_u32_e64 v2, null, s20, 0, s21
	s_mov_b32 s21, 0
	s_delay_alu instid0(VALU_DEP_2)
	s_and_b32 s20, s22, exec_lo
	s_cselect_b32 s9, s11, s9
	s_cselect_b32 s8, s10, s8
	s_mov_b32 s20, exec_lo
	v_cmpx_gt_i64_e64 s[8:9], v[1:2]
	s_cbranch_execz .LBB133_13
; %bb.10:
	s_clause 0x1
	s_load_b128 s[24:27], s[0:1], 0x40
	s_load_b64 s[10:11], s[0:1], 0x50
	v_lshlrev_b64 v[3:4], 1, v[1:2]
	v_lshlrev_b64 v[5:6], 3, v[1:2]
	s_waitcnt lgkmcnt(0)
	s_delay_alu instid0(VALU_DEP_2) | instskip(NEXT) | instid1(VALU_DEP_3)
	v_add_co_u32 v3, vcc_lo, s26, v3
	v_add_co_ci_u32_e32 v4, vcc_lo, s27, v4, vcc_lo
	s_delay_alu instid0(VALU_DEP_3) | instskip(NEXT) | instid1(VALU_DEP_4)
	v_add_co_u32 v5, vcc_lo, s24, v5
	v_add_co_ci_u32_e32 v6, vcc_lo, s25, v6, vcc_lo
	s_set_inst_prefetch_distance 0x1
	.p2align	6
.LBB133_11:                             ; =>This Inner Loop Header: Depth=1
	global_load_b64 v[8:9], v[5:6], off
	global_load_u16 v10, v[3:4], off
	v_add_co_u32 v5, s0, 0x800, v5
	s_delay_alu instid0(VALU_DEP_1) | instskip(SKIP_3) | instid1(VALU_DEP_1)
	v_add_co_ci_u32_e64 v6, s0, 0, v6, s0
	s_waitcnt vmcnt(1)
	v_sub_co_u32 v8, vcc_lo, v8, s16
	v_subrev_co_ci_u32_e32 v9, vcc_lo, 0, v9, vcc_lo
	v_lshlrev_b64 v[8:9], 1, v[8:9]
	s_delay_alu instid0(VALU_DEP_1) | instskip(NEXT) | instid1(VALU_DEP_2)
	v_add_co_u32 v8, vcc_lo, s10, v8
	v_add_co_ci_u32_e32 v9, vcc_lo, s11, v9, vcc_lo
	v_add_co_u32 v1, vcc_lo, 0x100, v1
	v_add_co_ci_u32_e32 v2, vcc_lo, 0, v2, vcc_lo
	global_load_u16 v8, v[8:9], off
	s_waitcnt vmcnt(1)
	v_cvt_f32_f16_e32 v9, v10
	v_add_co_u32 v3, vcc_lo, 0x200, v3
	v_add_co_ci_u32_e32 v4, vcc_lo, 0, v4, vcc_lo
	s_delay_alu instid0(VALU_DEP_3) | instskip(SKIP_3) | instid1(VALU_DEP_2)
	v_mul_f32_e32 v9, s18, v9
	v_cmp_le_i64_e32 vcc_lo, s[8:9], v[1:2]
	s_or_b32 s21, vcc_lo, s21
	s_waitcnt vmcnt(0)
	v_fma_mix_f32 v7, v9, v8, v7 op_sel_hi:[0,1,0]
	s_and_not1_b32 exec_lo, exec_lo, s21
	s_cbranch_execnz .LBB133_11
; %bb.12:
	s_set_inst_prefetch_distance 0x2
	s_or_b32 exec_lo, exec_lo, s21
.LBB133_13:
	s_delay_alu instid0(SALU_CYCLE_1)
	s_or_b32 exec_lo, exec_lo, s20
	v_lshlrev_b32_e32 v1, 2, v0
	s_mov_b32 s0, exec_lo
	ds_store_b32 v1, v7
	s_waitcnt lgkmcnt(0)
	s_waitcnt_vscnt null, 0x0
	s_barrier
	buffer_gl0_inv
	v_cmpx_gt_u32_e32 0x80, v0
	s_cbranch_execz .LBB133_15
; %bb.14:
	ds_load_2addr_stride64_b32 v[2:3], v1 offset1:2
	s_waitcnt lgkmcnt(0)
	v_add_f32_e32 v2, v2, v3
	ds_store_b32 v1, v2
.LBB133_15:
	s_or_b32 exec_lo, exec_lo, s0
	s_delay_alu instid0(SALU_CYCLE_1)
	s_mov_b32 s0, exec_lo
	s_waitcnt lgkmcnt(0)
	s_barrier
	buffer_gl0_inv
	v_cmpx_gt_u32_e32 64, v0
	s_cbranch_execz .LBB133_17
; %bb.16:
	ds_load_2addr_stride64_b32 v[2:3], v1 offset1:1
	s_waitcnt lgkmcnt(0)
	v_add_f32_e32 v2, v2, v3
	ds_store_b32 v1, v2
.LBB133_17:
	s_or_b32 exec_lo, exec_lo, s0
	s_delay_alu instid0(SALU_CYCLE_1)
	s_mov_b32 s0, exec_lo
	s_waitcnt lgkmcnt(0)
	s_barrier
	buffer_gl0_inv
	v_cmpx_gt_u32_e32 32, v0
	s_cbranch_execz .LBB133_19
; %bb.18:
	ds_load_2addr_b32 v[2:3], v1 offset1:32
	s_waitcnt lgkmcnt(0)
	v_add_f32_e32 v2, v2, v3
	ds_store_b32 v1, v2
.LBB133_19:
	s_or_b32 exec_lo, exec_lo, s0
	s_delay_alu instid0(SALU_CYCLE_1)
	s_mov_b32 s0, exec_lo
	s_waitcnt lgkmcnt(0)
	s_barrier
	buffer_gl0_inv
	v_cmpx_gt_u32_e32 16, v0
	s_cbranch_execz .LBB133_21
; %bb.20:
	ds_load_2addr_b32 v[2:3], v1 offset1:16
	s_waitcnt lgkmcnt(0)
	v_add_f32_e32 v2, v2, v3
	ds_store_b32 v1, v2
.LBB133_21:
	;; [unrolled: 14-line block ×5, first 2 shown]
	s_or_b32 exec_lo, exec_lo, s0
	v_cmp_eq_u32_e32 vcc_lo, 0, v0
	s_waitcnt lgkmcnt(0)
	s_barrier
	buffer_gl0_inv
	s_and_saveexec_b32 s0, vcc_lo
	s_cbranch_execz .LBB133_29
; %bb.28:
	v_mov_b32_e32 v2, 0
	ds_load_b64 v[0:1], v2
	s_waitcnt lgkmcnt(0)
	v_add_f32_e32 v0, v0, v1
	ds_store_b32 v2, v0
.LBB133_29:
	s_or_b32 exec_lo, exec_lo, s0
	s_waitcnt lgkmcnt(0)
	s_barrier
	buffer_gl0_inv
	s_and_saveexec_b32 s0, vcc_lo
	s_cbranch_execz .LBB133_39
; %bb.30:
	s_cmp_eq_u32 s19, 0
	s_cbranch_scc1 .LBB133_36
; %bb.31:
	s_lshl_b64 s[0:1], s[14:15], 2
	v_mov_b32_e32 v0, 0
	s_add_u32 s0, s4, s0
	s_addc_u32 s1, s5, s1
	s_branch .LBB133_33
.LBB133_32:                             ;   in Loop: Header=BB133_33 Depth=1
	s_or_b32 exec_lo, exec_lo, s4
	s_waitcnt vmcnt(0)
	v_readfirstlane_b32 s4, v1
	s_delay_alu instid0(VALU_DEP_1)
	s_cmp_eq_u32 s4, s17
	s_cbranch_scc0 .LBB133_35
.LBB133_33:                             ; =>This Inner Loop Header: Depth=1
	v_mbcnt_lo_u32_b32 v1, exec_lo, 0
	s_delay_alu instid0(VALU_DEP_1)
	v_cmp_eq_u32_e32 vcc_lo, 0, v1
                                        ; implicit-def: $vgpr1
	s_and_saveexec_b32 s4, vcc_lo
	s_cbranch_execz .LBB133_32
; %bb.34:                               ;   in Loop: Header=BB133_33 Depth=1
	global_load_b32 v1, v0, s[0:1] glc
	s_branch .LBB133_32
.LBB133_35:
	v_mov_b32_e32 v0, 0
	global_load_b32 v1, v0, s[12:13]
	s_waitcnt vmcnt(0)
	v_xor_b32_e32 v1, 1, v1
	global_store_b32 v0, v1, s[12:13]
.LBB133_36:
	s_mov_b32 s4, exec_lo
	s_delay_alu instid0(SALU_CYCLE_1) | instskip(NEXT) | instid1(VALU_DEP_1)
	v_mbcnt_lo_u32_b32 v0, s4, 0
	v_cmp_eq_u32_e32 vcc_lo, 0, v0
	s_and_b32 s0, exec_lo, vcc_lo
	s_delay_alu instid0(SALU_CYCLE_1)
	s_mov_b32 exec_lo, s0
	s_cbranch_execz .LBB133_39
; %bb.37:
	s_lshl_b64 s[0:1], s[2:3], 2
	s_delay_alu instid0(SALU_CYCLE_1) | instskip(SKIP_2) | instid1(SALU_CYCLE_1)
	s_add_u32 s0, s6, s0
	s_addc_u32 s1, s7, s1
	s_bcnt1_i32_b32 s2, s4
	v_cvt_f32_ubyte0_e32 v3, s2
	v_mov_b32_e32 v2, 0
	s_mov_b32 s2, 0
	global_load_b32 v1, v2, s[0:1]
	ds_load_b32 v0, v2
	s_waitcnt lgkmcnt(0)
	v_mul_f32_e32 v3, v0, v3
.LBB133_38:                             ; =>This Inner Loop Header: Depth=1
	s_waitcnt vmcnt(0)
	s_delay_alu instid0(VALU_DEP_1)
	v_add_f32_e32 v0, v1, v3
	global_atomic_cmpswap_b32 v0, v2, v[0:1], s[0:1] glc
	s_waitcnt vmcnt(0)
	v_cmp_eq_u32_e32 vcc_lo, v0, v1
	v_mov_b32_e32 v1, v0
	s_or_b32 s2, vcc_lo, s2
	s_delay_alu instid0(SALU_CYCLE_1)
	s_and_not1_b32 exec_lo, exec_lo, s2
	s_cbranch_execnz .LBB133_38
.LBB133_39:
	s_nop 0
	s_sendmsg sendmsg(MSG_DEALLOC_VGPRS)
	s_endpgm
	.section	.rodata,"a",@progbits
	.p2align	6, 0x0
	.amdhsa_kernel _ZN9rocsparseL27csrmvn_lrb_long_rows_kernelIllDF16_DF16_ffEEvbT_PjPT0_S4_jNS_24const_host_device_scalarIT4_EEPKS1_PKS3_PKT1_PKT2_S7_PT3_21rocsparse_index_base_b
		.amdhsa_group_segment_fixed_size 1024
		.amdhsa_private_segment_fixed_size 0
		.amdhsa_kernarg_size 112
		.amdhsa_user_sgpr_count 15
		.amdhsa_user_sgpr_dispatch_ptr 0
		.amdhsa_user_sgpr_queue_ptr 0
		.amdhsa_user_sgpr_kernarg_segment_ptr 1
		.amdhsa_user_sgpr_dispatch_id 0
		.amdhsa_user_sgpr_private_segment_size 0
		.amdhsa_wavefront_size32 1
		.amdhsa_uses_dynamic_stack 0
		.amdhsa_enable_private_segment 0
		.amdhsa_system_sgpr_workgroup_id_x 1
		.amdhsa_system_sgpr_workgroup_id_y 0
		.amdhsa_system_sgpr_workgroup_id_z 0
		.amdhsa_system_sgpr_workgroup_info 0
		.amdhsa_system_vgpr_workitem_id 0
		.amdhsa_next_free_vgpr 11
		.amdhsa_next_free_sgpr 28
		.amdhsa_reserve_vcc 1
		.amdhsa_float_round_mode_32 0
		.amdhsa_float_round_mode_16_64 0
		.amdhsa_float_denorm_mode_32 3
		.amdhsa_float_denorm_mode_16_64 3
		.amdhsa_dx10_clamp 1
		.amdhsa_ieee_mode 1
		.amdhsa_fp16_overflow 0
		.amdhsa_workgroup_processor_mode 1
		.amdhsa_memory_ordered 1
		.amdhsa_forward_progress 0
		.amdhsa_shared_vgpr_count 0
		.amdhsa_exception_fp_ieee_invalid_op 0
		.amdhsa_exception_fp_denorm_src 0
		.amdhsa_exception_fp_ieee_div_zero 0
		.amdhsa_exception_fp_ieee_overflow 0
		.amdhsa_exception_fp_ieee_underflow 0
		.amdhsa_exception_fp_ieee_inexact 0
		.amdhsa_exception_int_div_zero 0
	.end_amdhsa_kernel
	.section	.text._ZN9rocsparseL27csrmvn_lrb_long_rows_kernelIllDF16_DF16_ffEEvbT_PjPT0_S4_jNS_24const_host_device_scalarIT4_EEPKS1_PKS3_PKT1_PKT2_S7_PT3_21rocsparse_index_base_b,"axG",@progbits,_ZN9rocsparseL27csrmvn_lrb_long_rows_kernelIllDF16_DF16_ffEEvbT_PjPT0_S4_jNS_24const_host_device_scalarIT4_EEPKS1_PKS3_PKT1_PKT2_S7_PT3_21rocsparse_index_base_b,comdat
.Lfunc_end133:
	.size	_ZN9rocsparseL27csrmvn_lrb_long_rows_kernelIllDF16_DF16_ffEEvbT_PjPT0_S4_jNS_24const_host_device_scalarIT4_EEPKS1_PKS3_PKT1_PKT2_S7_PT3_21rocsparse_index_base_b, .Lfunc_end133-_ZN9rocsparseL27csrmvn_lrb_long_rows_kernelIllDF16_DF16_ffEEvbT_PjPT0_S4_jNS_24const_host_device_scalarIT4_EEPKS1_PKS3_PKT1_PKT2_S7_PT3_21rocsparse_index_base_b
                                        ; -- End function
	.section	.AMDGPU.csdata,"",@progbits
; Kernel info:
; codeLenInByte = 1732
; NumSgprs: 30
; NumVgprs: 11
; ScratchSize: 0
; MemoryBound: 0
; FloatMode: 240
; IeeeMode: 1
; LDSByteSize: 1024 bytes/workgroup (compile time only)
; SGPRBlocks: 3
; VGPRBlocks: 1
; NumSGPRsForWavesPerEU: 30
; NumVGPRsForWavesPerEU: 11
; Occupancy: 16
; WaveLimiterHint : 1
; COMPUTE_PGM_RSRC2:SCRATCH_EN: 0
; COMPUTE_PGM_RSRC2:USER_SGPR: 15
; COMPUTE_PGM_RSRC2:TRAP_HANDLER: 0
; COMPUTE_PGM_RSRC2:TGID_X_EN: 1
; COMPUTE_PGM_RSRC2:TGID_Y_EN: 0
; COMPUTE_PGM_RSRC2:TGID_Z_EN: 0
; COMPUTE_PGM_RSRC2:TIDIG_COMP_CNT: 0
	.section	.text._ZN9rocsparseL28csrmvn_lrb_short_rows_kernelIii18rocsparse_bfloat16S1_ffEEvbT_PT0_S4_jNS_24const_host_device_scalarIT4_EEPKS2_PKS3_PKT1_PKT2_S7_PT3_21rocsparse_index_base_b,"axG",@progbits,_ZN9rocsparseL28csrmvn_lrb_short_rows_kernelIii18rocsparse_bfloat16S1_ffEEvbT_PT0_S4_jNS_24const_host_device_scalarIT4_EEPKS2_PKS3_PKT1_PKT2_S7_PT3_21rocsparse_index_base_b,comdat
	.globl	_ZN9rocsparseL28csrmvn_lrb_short_rows_kernelIii18rocsparse_bfloat16S1_ffEEvbT_PT0_S4_jNS_24const_host_device_scalarIT4_EEPKS2_PKS3_PKT1_PKT2_S7_PT3_21rocsparse_index_base_b ; -- Begin function _ZN9rocsparseL28csrmvn_lrb_short_rows_kernelIii18rocsparse_bfloat16S1_ffEEvbT_PT0_S4_jNS_24const_host_device_scalarIT4_EEPKS2_PKS3_PKT1_PKT2_S7_PT3_21rocsparse_index_base_b
	.p2align	8
	.type	_ZN9rocsparseL28csrmvn_lrb_short_rows_kernelIii18rocsparse_bfloat16S1_ffEEvbT_PT0_S4_jNS_24const_host_device_scalarIT4_EEPKS2_PKS3_PKT1_PKT2_S7_PT3_21rocsparse_index_base_b,@function
_ZN9rocsparseL28csrmvn_lrb_short_rows_kernelIii18rocsparse_bfloat16S1_ffEEvbT_PT0_S4_jNS_24const_host_device_scalarIT4_EEPKS2_PKS3_PKT1_PKT2_S7_PT3_21rocsparse_index_base_b: ; @_ZN9rocsparseL28csrmvn_lrb_short_rows_kernelIii18rocsparse_bfloat16S1_ffEEvbT_PT0_S4_jNS_24const_host_device_scalarIT4_EEPKS2_PKS3_PKT1_PKT2_S7_PT3_21rocsparse_index_base_b
; %bb.0:
	s_clause 0x2
	s_load_b64 s[20:21], s[0:1], 0x58
	s_load_b64 s[22:23], s[0:1], 0x20
	;; [unrolled: 1-line block ×3, first 2 shown]
	s_waitcnt lgkmcnt(0)
	s_bitcmp1_b32 s21, 0
	s_cselect_b32 s4, -1, 0
	s_delay_alu instid0(SALU_CYCLE_1)
	s_and_b32 vcc_lo, exec_lo, s4
	s_xor_b32 s4, s4, -1
	s_cbranch_vccnz .LBB134_2
; %bb.1:
	s_load_b32 s22, s[22:23], 0x0
.LBB134_2:
	s_and_not1_b32 vcc_lo, exec_lo, s4
	s_cbranch_vccnz .LBB134_4
; %bb.3:
	s_load_b32 s2, s[2:3], 0x0
.LBB134_4:
	s_waitcnt lgkmcnt(0)
	v_cmp_neq_f32_e64 s3, s22, 0
	v_cmp_neq_f32_e64 s4, s2, 1.0
	s_mov_b32 s13, 0
	s_delay_alu instid0(VALU_DEP_1) | instskip(NEXT) | instid1(SALU_CYCLE_1)
	s_or_b32 s3, s3, s4
	s_and_not1_b32 vcc_lo, exec_lo, s3
	s_cbranch_vccnz .LBB134_18
; %bb.5:
	s_clause 0x1
	s_load_b32 s12, s[0:1], 0x18
	s_load_b128 s[16:19], s[0:1], 0x8
	s_mov_b32 s7, s13
	s_waitcnt lgkmcnt(0)
	s_lshl_b64 s[4:5], s[12:13], 2
	s_delay_alu instid0(SALU_CYCLE_1) | instskip(SKIP_2) | instid1(SALU_CYCLE_1)
	s_add_u32 s4, s18, s4
	s_addc_u32 s5, s19, s5
	s_add_i32 s6, s12, 1
	s_lshl_b64 s[6:7], s[6:7], 2
	s_delay_alu instid0(SALU_CYCLE_1)
	s_add_u32 s6, s18, s6
	s_addc_u32 s7, s19, s7
	s_clause 0x1
	s_load_b32 s3, s[4:5], 0x0
	s_load_b32 s4, s[6:7], 0x0
	s_lshl_b32 s13, s15, 8
	s_delay_alu instid0(SALU_CYCLE_1) | instskip(SKIP_2) | instid1(SALU_CYCLE_1)
	s_add_i32 s5, s13, 0x100
	s_waitcnt lgkmcnt(0)
	s_sub_i32 s4, s4, s3
	s_min_u32 s14, s4, s5
	s_cmp_gt_u32 s12, 23
	s_cbranch_scc1 .LBB134_12
; %bb.6:
	s_load_b256 s[4:11], s[0:1], 0x28
	v_bfe_u32 v5, v0, 0, s12
	v_lshl_add_u32 v7, v0, 2, 0
	v_mov_b32_e32 v2, 0
	s_lshl_b32 s15, 0x100, s12
	s_mov_b32 s18, 0
	v_subrev_nc_u32_e32 v6, s20, v5
	s_branch .LBB134_9
.LBB134_7:                              ;   in Loop: Header=BB134_9 Depth=1
	s_or_b32 exec_lo, exec_lo, s21
	ds_store_b32 v7, v1
.LBB134_8:                              ;   in Loop: Header=BB134_9 Depth=1
	s_or_b32 exec_lo, exec_lo, s19
	v_add_nc_u32_e32 v7, 0x400, v7
	s_addk_i32 s18, 0x100
	s_delay_alu instid0(SALU_CYCLE_1)
	s_cmp_ge_u32 s18, s15
	s_cbranch_scc1 .LBB134_12
.LBB134_9:                              ; =>This Inner Loop Header: Depth=1
	v_add_nc_u32_e32 v1, s18, v0
	s_mov_b32 s19, exec_lo
	s_delay_alu instid0(VALU_DEP_1) | instskip(NEXT) | instid1(VALU_DEP_1)
	v_lshrrev_b32_e32 v1, s12, v1
	v_add_nc_u32_e32 v1, s13, v1
	s_delay_alu instid0(VALU_DEP_1)
	v_cmpx_gt_u32_e64 s14, v1
	s_cbranch_execz .LBB134_8
; %bb.10:                               ;   in Loop: Header=BB134_9 Depth=1
	v_add_nc_u32_e32 v1, s3, v1
	s_delay_alu instid0(VALU_DEP_1) | instskip(NEXT) | instid1(VALU_DEP_1)
	v_lshlrev_b64 v[3:4], 2, v[1:2]
	v_add_co_u32 v3, vcc_lo, s16, v3
	s_delay_alu instid0(VALU_DEP_2) | instskip(SKIP_3) | instid1(VALU_DEP_1)
	v_add_co_ci_u32_e32 v4, vcc_lo, s17, v4, vcc_lo
	global_load_b32 v3, v[3:4], off
	s_waitcnt vmcnt(0)
	v_ashrrev_i32_e32 v4, 31, v3
	v_lshlrev_b64 v[3:4], 2, v[3:4]
	s_waitcnt lgkmcnt(0)
	s_delay_alu instid0(VALU_DEP_1) | instskip(NEXT) | instid1(VALU_DEP_2)
	v_add_co_u32 v3, vcc_lo, s4, v3
	v_add_co_ci_u32_e32 v4, vcc_lo, s5, v4, vcc_lo
	global_load_b64 v[3:4], v[3:4], off
	s_waitcnt vmcnt(0)
	v_sub_nc_u32_e32 v1, v4, v3
	s_delay_alu instid0(VALU_DEP_1)
	v_cmp_lt_u32_e32 vcc_lo, v5, v1
	v_mov_b32_e32 v1, 0
	s_and_saveexec_b32 s21, vcc_lo
	s_cbranch_execz .LBB134_7
; %bb.11:                               ;   in Loop: Header=BB134_9 Depth=1
	v_add_nc_u32_e32 v1, v6, v3
	s_delay_alu instid0(VALU_DEP_1) | instskip(SKIP_1) | instid1(VALU_DEP_2)
	v_lshlrev_b64 v[3:4], 2, v[1:2]
	v_lshlrev_b64 v[8:9], 1, v[1:2]
	v_add_co_u32 v3, vcc_lo, s6, v3
	s_delay_alu instid0(VALU_DEP_3) | instskip(NEXT) | instid1(VALU_DEP_3)
	v_add_co_ci_u32_e32 v4, vcc_lo, s7, v4, vcc_lo
	v_add_co_u32 v8, vcc_lo, s8, v8
	s_delay_alu instid0(VALU_DEP_4)
	v_add_co_ci_u32_e32 v9, vcc_lo, s9, v9, vcc_lo
	global_load_b32 v3, v[3:4], off
	global_load_u16 v1, v[8:9], off
	s_waitcnt vmcnt(1)
	v_subrev_nc_u32_e32 v3, s20, v3
	s_waitcnt vmcnt(0)
	v_lshlrev_b32_e32 v1, 16, v1
	s_delay_alu instid0(VALU_DEP_2) | instskip(NEXT) | instid1(VALU_DEP_2)
	v_ashrrev_i32_e32 v4, 31, v3
	v_mul_f32_e32 v1, s22, v1
	s_delay_alu instid0(VALU_DEP_2) | instskip(NEXT) | instid1(VALU_DEP_1)
	v_lshlrev_b64 v[3:4], 1, v[3:4]
	v_add_co_u32 v3, vcc_lo, s10, v3
	s_delay_alu instid0(VALU_DEP_2) | instskip(SKIP_3) | instid1(VALU_DEP_1)
	v_add_co_ci_u32_e32 v4, vcc_lo, s11, v4, vcc_lo
	global_load_u16 v3, v[3:4], off
	s_waitcnt vmcnt(0)
	v_lshlrev_b32_e32 v3, 16, v3
	v_mul_f32_e32 v1, v1, v3
	s_branch .LBB134_7
.LBB134_12:
	s_waitcnt lgkmcnt(0)
	s_sub_i32 s4, s14, s13
	s_delay_alu instid0(SALU_CYCLE_1)
	v_cmp_gt_u32_e32 vcc_lo, s4, v0
	s_barrier
	buffer_gl0_inv
	s_and_saveexec_b32 s4, vcc_lo
	s_cbranch_execz .LBB134_18
; %bb.13:
	v_add3_u32 v1, s3, s13, v0
	v_mov_b32_e32 v2, 0
	s_load_b64 s[0:1], s[0:1], 0x50
	v_lshlrev_b32_e32 v0, s12, v0
	s_mov_b32 s3, 1
	s_delay_alu instid0(VALU_DEP_2) | instskip(NEXT) | instid1(VALU_DEP_2)
	v_lshlrev_b64 v[3:4], 2, v[1:2]
	v_lshl_add_u32 v0, v0, 2, 0
	s_delay_alu instid0(VALU_DEP_2) | instskip(NEXT) | instid1(VALU_DEP_3)
	v_add_co_u32 v3, vcc_lo, s16, v3
	v_add_co_ci_u32_e32 v4, vcc_lo, s17, v4, vcc_lo
	global_load_b32 v3, v[3:4], off
.LBB134_14:                             ; =>This Inner Loop Header: Depth=1
	ds_load_b32 v1, v0
	v_add_nc_u32_e32 v0, 4, v0
	s_lshr_b32 s4, s3, s12
	s_add_i32 s3, s3, 1
	s_cmp_lg_u32 s4, 0
	s_waitcnt lgkmcnt(0)
	v_add_f32_e32 v2, v2, v1
	s_cbranch_scc0 .LBB134_14
; %bb.15:
	s_waitcnt vmcnt(0)
	v_ashrrev_i32_e32 v4, 31, v3
	v_cmp_neq_f32_e64 s3, s2, 0
	s_delay_alu instid0(VALU_DEP_2) | instskip(NEXT) | instid1(VALU_DEP_2)
	v_lshlrev_b64 v[0:1], 2, v[3:4]
	s_and_b32 vcc_lo, exec_lo, s3
	s_cbranch_vccz .LBB134_17
; %bb.16:
	s_delay_alu instid0(VALU_DEP_1) | instskip(NEXT) | instid1(VALU_DEP_2)
	v_add_co_u32 v3, vcc_lo, s0, v0
	v_add_co_ci_u32_e32 v4, vcc_lo, s1, v1, vcc_lo
	global_load_b32 v3, v[3:4], off
	s_waitcnt vmcnt(0)
	v_fmac_f32_e32 v2, s2, v3
.LBB134_17:
	s_delay_alu instid0(VALU_DEP_1) | instskip(NEXT) | instid1(VALU_DEP_2)
	v_add_co_u32 v0, vcc_lo, s0, v0
	v_add_co_ci_u32_e32 v1, vcc_lo, s1, v1, vcc_lo
	global_store_b32 v[0:1], v2, off
.LBB134_18:
	s_nop 0
	s_sendmsg sendmsg(MSG_DEALLOC_VGPRS)
	s_endpgm
	.section	.rodata,"a",@progbits
	.p2align	6, 0x0
	.amdhsa_kernel _ZN9rocsparseL28csrmvn_lrb_short_rows_kernelIii18rocsparse_bfloat16S1_ffEEvbT_PT0_S4_jNS_24const_host_device_scalarIT4_EEPKS2_PKS3_PKT1_PKT2_S7_PT3_21rocsparse_index_base_b
		.amdhsa_group_segment_fixed_size 0
		.amdhsa_private_segment_fixed_size 0
		.amdhsa_kernarg_size 96
		.amdhsa_user_sgpr_count 15
		.amdhsa_user_sgpr_dispatch_ptr 0
		.amdhsa_user_sgpr_queue_ptr 0
		.amdhsa_user_sgpr_kernarg_segment_ptr 1
		.amdhsa_user_sgpr_dispatch_id 0
		.amdhsa_user_sgpr_private_segment_size 0
		.amdhsa_wavefront_size32 1
		.amdhsa_uses_dynamic_stack 0
		.amdhsa_enable_private_segment 0
		.amdhsa_system_sgpr_workgroup_id_x 1
		.amdhsa_system_sgpr_workgroup_id_y 0
		.amdhsa_system_sgpr_workgroup_id_z 0
		.amdhsa_system_sgpr_workgroup_info 0
		.amdhsa_system_vgpr_workitem_id 0
		.amdhsa_next_free_vgpr 10
		.amdhsa_next_free_sgpr 24
		.amdhsa_reserve_vcc 1
		.amdhsa_float_round_mode_32 0
		.amdhsa_float_round_mode_16_64 0
		.amdhsa_float_denorm_mode_32 3
		.amdhsa_float_denorm_mode_16_64 3
		.amdhsa_dx10_clamp 1
		.amdhsa_ieee_mode 1
		.amdhsa_fp16_overflow 0
		.amdhsa_workgroup_processor_mode 1
		.amdhsa_memory_ordered 1
		.amdhsa_forward_progress 0
		.amdhsa_shared_vgpr_count 0
		.amdhsa_exception_fp_ieee_invalid_op 0
		.amdhsa_exception_fp_denorm_src 0
		.amdhsa_exception_fp_ieee_div_zero 0
		.amdhsa_exception_fp_ieee_overflow 0
		.amdhsa_exception_fp_ieee_underflow 0
		.amdhsa_exception_fp_ieee_inexact 0
		.amdhsa_exception_int_div_zero 0
	.end_amdhsa_kernel
	.section	.text._ZN9rocsparseL28csrmvn_lrb_short_rows_kernelIii18rocsparse_bfloat16S1_ffEEvbT_PT0_S4_jNS_24const_host_device_scalarIT4_EEPKS2_PKS3_PKT1_PKT2_S7_PT3_21rocsparse_index_base_b,"axG",@progbits,_ZN9rocsparseL28csrmvn_lrb_short_rows_kernelIii18rocsparse_bfloat16S1_ffEEvbT_PT0_S4_jNS_24const_host_device_scalarIT4_EEPKS2_PKS3_PKT1_PKT2_S7_PT3_21rocsparse_index_base_b,comdat
.Lfunc_end134:
	.size	_ZN9rocsparseL28csrmvn_lrb_short_rows_kernelIii18rocsparse_bfloat16S1_ffEEvbT_PT0_S4_jNS_24const_host_device_scalarIT4_EEPKS2_PKS3_PKT1_PKT2_S7_PT3_21rocsparse_index_base_b, .Lfunc_end134-_ZN9rocsparseL28csrmvn_lrb_short_rows_kernelIii18rocsparse_bfloat16S1_ffEEvbT_PT0_S4_jNS_24const_host_device_scalarIT4_EEPKS2_PKS3_PKT1_PKT2_S7_PT3_21rocsparse_index_base_b
                                        ; -- End function
	.section	.AMDGPU.csdata,"",@progbits
; Kernel info:
; codeLenInByte = 876
; NumSgprs: 26
; NumVgprs: 10
; ScratchSize: 0
; MemoryBound: 0
; FloatMode: 240
; IeeeMode: 1
; LDSByteSize: 0 bytes/workgroup (compile time only)
; SGPRBlocks: 3
; VGPRBlocks: 1
; NumSGPRsForWavesPerEU: 26
; NumVGPRsForWavesPerEU: 10
; Occupancy: 16
; WaveLimiterHint : 1
; COMPUTE_PGM_RSRC2:SCRATCH_EN: 0
; COMPUTE_PGM_RSRC2:USER_SGPR: 15
; COMPUTE_PGM_RSRC2:TRAP_HANDLER: 0
; COMPUTE_PGM_RSRC2:TGID_X_EN: 1
; COMPUTE_PGM_RSRC2:TGID_Y_EN: 0
; COMPUTE_PGM_RSRC2:TGID_Z_EN: 0
; COMPUTE_PGM_RSRC2:TIDIG_COMP_CNT: 0
	.section	.text._ZN9rocsparseL30csrmvn_lrb_short_rows_2_kernelIii18rocsparse_bfloat16S1_ffEEvbT_PT0_S4_jNS_24const_host_device_scalarIT4_EEPKS2_PKS3_PKT1_PKT2_S7_PT3_21rocsparse_index_base_b,"axG",@progbits,_ZN9rocsparseL30csrmvn_lrb_short_rows_2_kernelIii18rocsparse_bfloat16S1_ffEEvbT_PT0_S4_jNS_24const_host_device_scalarIT4_EEPKS2_PKS3_PKT1_PKT2_S7_PT3_21rocsparse_index_base_b,comdat
	.globl	_ZN9rocsparseL30csrmvn_lrb_short_rows_2_kernelIii18rocsparse_bfloat16S1_ffEEvbT_PT0_S4_jNS_24const_host_device_scalarIT4_EEPKS2_PKS3_PKT1_PKT2_S7_PT3_21rocsparse_index_base_b ; -- Begin function _ZN9rocsparseL30csrmvn_lrb_short_rows_2_kernelIii18rocsparse_bfloat16S1_ffEEvbT_PT0_S4_jNS_24const_host_device_scalarIT4_EEPKS2_PKS3_PKT1_PKT2_S7_PT3_21rocsparse_index_base_b
	.p2align	8
	.type	_ZN9rocsparseL30csrmvn_lrb_short_rows_2_kernelIii18rocsparse_bfloat16S1_ffEEvbT_PT0_S4_jNS_24const_host_device_scalarIT4_EEPKS2_PKS3_PKT1_PKT2_S7_PT3_21rocsparse_index_base_b,@function
_ZN9rocsparseL30csrmvn_lrb_short_rows_2_kernelIii18rocsparse_bfloat16S1_ffEEvbT_PT0_S4_jNS_24const_host_device_scalarIT4_EEPKS2_PKS3_PKT1_PKT2_S7_PT3_21rocsparse_index_base_b: ; @_ZN9rocsparseL30csrmvn_lrb_short_rows_2_kernelIii18rocsparse_bfloat16S1_ffEEvbT_PT0_S4_jNS_24const_host_device_scalarIT4_EEPKS2_PKS3_PKT1_PKT2_S7_PT3_21rocsparse_index_base_b
; %bb.0:
	s_clause 0x2
	s_load_b64 s[20:21], s[0:1], 0x58
	s_load_b64 s[18:19], s[0:1], 0x20
	;; [unrolled: 1-line block ×3, first 2 shown]
	s_waitcnt lgkmcnt(0)
	s_bitcmp1_b32 s21, 0
	s_cselect_b32 s2, -1, 0
	s_delay_alu instid0(SALU_CYCLE_1)
	s_and_b32 vcc_lo, exec_lo, s2
	s_xor_b32 s2, s2, -1
	s_cbranch_vccnz .LBB135_2
; %bb.1:
	s_load_b32 s18, s[18:19], 0x0
.LBB135_2:
	s_and_not1_b32 vcc_lo, exec_lo, s2
	s_cbranch_vccnz .LBB135_4
; %bb.3:
	s_load_b32 s12, s[12:13], 0x0
.LBB135_4:
	s_waitcnt lgkmcnt(0)
	v_cmp_neq_f32_e64 s2, s18, 0
	v_cmp_neq_f32_e64 s3, s12, 1.0
	s_mov_b32 s17, 0
	s_delay_alu instid0(VALU_DEP_1) | instskip(NEXT) | instid1(SALU_CYCLE_1)
	s_or_b32 s2, s2, s3
	s_and_not1_b32 vcc_lo, exec_lo, s2
	s_cbranch_vccnz .LBB135_30
; %bb.5:
	s_clause 0x1
	s_load_b32 s16, s[0:1], 0x18
	s_load_b128 s[8:11], s[0:1], 0x8
	s_mov_b32 s5, s17
	s_waitcnt lgkmcnt(0)
	s_lshl_b64 s[2:3], s[16:17], 2
	v_lshrrev_b32_e32 v1, s16, v0
	s_add_u32 s2, s10, s2
	s_addc_u32 s3, s11, s3
	s_add_i32 s4, s16, 1
	v_bfe_u32 v6, v0, 0, s16
	s_lshl_b64 s[4:5], s[4:5], 2
	s_delay_alu instid0(SALU_CYCLE_1)
	s_add_u32 s4, s10, s4
	s_addc_u32 s5, s11, s5
	s_clause 0x1
	s_load_b32 s14, s[2:3], 0x0
	s_load_b32 s17, s[4:5], 0x0
	s_clause 0x1
	s_load_b64 s[10:11], s[0:1], 0x50
	s_load_b256 s[0:7], s[0:1], 0x28
	s_lshr_b32 s13, 0x400, s16
	v_subrev_nc_u32_e32 v5, s20, v6
	s_mul_i32 s15, s13, s15
	s_delay_alu instid0(SALU_CYCLE_1) | instskip(SKIP_3) | instid1(SALU_CYCLE_1)
	v_add_nc_u32_e32 v1, s15, v1
	s_add_i32 s19, s15, s13
	s_waitcnt lgkmcnt(0)
	s_sub_i32 s17, s17, s14
	s_min_u32 s17, s17, s19
	s_mov_b32 s19, exec_lo
	v_cmpx_gt_u32_e64 s17, v1
	s_cbranch_execz .LBB135_9
; %bb.6:
	v_dual_mov_b32 v2, 0 :: v_dual_add_nc_u32 v1, s14, v1
	s_mov_b32 s21, exec_lo
	s_delay_alu instid0(VALU_DEP_1) | instskip(NEXT) | instid1(VALU_DEP_1)
	v_lshlrev_b64 v[3:4], 2, v[1:2]
	v_add_co_u32 v3, vcc_lo, s8, v3
	s_delay_alu instid0(VALU_DEP_2) | instskip(SKIP_3) | instid1(VALU_DEP_1)
	v_add_co_ci_u32_e32 v4, vcc_lo, s9, v4, vcc_lo
	global_load_b32 v3, v[3:4], off
	s_waitcnt vmcnt(0)
	v_ashrrev_i32_e32 v4, 31, v3
	v_lshlrev_b64 v[3:4], 2, v[3:4]
	s_delay_alu instid0(VALU_DEP_1) | instskip(NEXT) | instid1(VALU_DEP_2)
	v_add_co_u32 v3, vcc_lo, s0, v3
	v_add_co_ci_u32_e32 v4, vcc_lo, s1, v4, vcc_lo
	global_load_b64 v[3:4], v[3:4], off
	s_waitcnt vmcnt(0)
	v_sub_nc_u32_e32 v1, v4, v3
	s_delay_alu instid0(VALU_DEP_1)
	v_cmpx_lt_u32_e64 v6, v1
	s_cbranch_execz .LBB135_8
; %bb.7:
	v_dual_mov_b32 v2, 0 :: v_dual_add_nc_u32 v1, v3, v5
	s_delay_alu instid0(VALU_DEP_1) | instskip(SKIP_1) | instid1(VALU_DEP_2)
	v_lshlrev_b64 v[3:4], 2, v[1:2]
	v_lshlrev_b64 v[1:2], 1, v[1:2]
	v_add_co_u32 v3, vcc_lo, s2, v3
	s_delay_alu instid0(VALU_DEP_3) | instskip(NEXT) | instid1(VALU_DEP_3)
	v_add_co_ci_u32_e32 v4, vcc_lo, s3, v4, vcc_lo
	v_add_co_u32 v1, vcc_lo, s4, v1
	s_delay_alu instid0(VALU_DEP_4) | instskip(SKIP_4) | instid1(VALU_DEP_1)
	v_add_co_ci_u32_e32 v2, vcc_lo, s5, v2, vcc_lo
	global_load_b32 v3, v[3:4], off
	global_load_u16 v7, v[1:2], off
	s_waitcnt vmcnt(1)
	v_subrev_nc_u32_e32 v3, s20, v3
	v_ashrrev_i32_e32 v4, 31, v3
	s_delay_alu instid0(VALU_DEP_1) | instskip(NEXT) | instid1(VALU_DEP_1)
	v_lshlrev_b64 v[3:4], 1, v[3:4]
	v_add_co_u32 v1, vcc_lo, s6, v3
	s_delay_alu instid0(VALU_DEP_2) | instskip(SKIP_4) | instid1(VALU_DEP_1)
	v_add_co_ci_u32_e32 v2, vcc_lo, s7, v4, vcc_lo
	global_load_u16 v1, v[1:2], off
	s_waitcnt vmcnt(1)
	v_lshlrev_b32_e32 v2, 16, v7
	s_waitcnt vmcnt(0)
	v_dual_mul_f32 v2, s18, v2 :: v_dual_lshlrev_b32 v1, 16, v1
	s_delay_alu instid0(VALU_DEP_1)
	v_mul_f32_e32 v2, v2, v1
.LBB135_8:
	s_or_b32 exec_lo, exec_lo, s21
	v_lshlrev_b32_e32 v1, 2, v0
	ds_store_b32 v1, v2
.LBB135_9:
	s_or_b32 exec_lo, exec_lo, s19
	v_or_b32_e32 v1, 0x100, v0
	s_mov_b32 s19, exec_lo
	s_delay_alu instid0(VALU_DEP_1) | instskip(NEXT) | instid1(VALU_DEP_1)
	v_lshrrev_b32_e32 v1, s16, v1
	v_add_nc_u32_e32 v1, s15, v1
	s_delay_alu instid0(VALU_DEP_1)
	v_cmpx_gt_u32_e64 s17, v1
	s_cbranch_execz .LBB135_13
; %bb.10:
	v_dual_mov_b32 v2, 0 :: v_dual_add_nc_u32 v1, s14, v1
	s_mov_b32 s21, exec_lo
	s_delay_alu instid0(VALU_DEP_1) | instskip(NEXT) | instid1(VALU_DEP_1)
	v_lshlrev_b64 v[3:4], 2, v[1:2]
	v_add_co_u32 v3, vcc_lo, s8, v3
	s_delay_alu instid0(VALU_DEP_2) | instskip(SKIP_3) | instid1(VALU_DEP_1)
	v_add_co_ci_u32_e32 v4, vcc_lo, s9, v4, vcc_lo
	global_load_b32 v3, v[3:4], off
	s_waitcnt vmcnt(0)
	v_ashrrev_i32_e32 v4, 31, v3
	v_lshlrev_b64 v[3:4], 2, v[3:4]
	s_delay_alu instid0(VALU_DEP_1) | instskip(NEXT) | instid1(VALU_DEP_2)
	v_add_co_u32 v3, vcc_lo, s0, v3
	v_add_co_ci_u32_e32 v4, vcc_lo, s1, v4, vcc_lo
	global_load_b64 v[3:4], v[3:4], off
	s_waitcnt vmcnt(0)
	v_sub_nc_u32_e32 v1, v4, v3
	s_delay_alu instid0(VALU_DEP_1)
	v_cmpx_lt_u32_e64 v6, v1
	s_cbranch_execz .LBB135_12
; %bb.11:
	v_dual_mov_b32 v2, 0 :: v_dual_add_nc_u32 v1, v3, v5
	s_delay_alu instid0(VALU_DEP_1) | instskip(SKIP_1) | instid1(VALU_DEP_2)
	v_lshlrev_b64 v[3:4], 2, v[1:2]
	v_lshlrev_b64 v[1:2], 1, v[1:2]
	v_add_co_u32 v3, vcc_lo, s2, v3
	s_delay_alu instid0(VALU_DEP_3) | instskip(NEXT) | instid1(VALU_DEP_3)
	v_add_co_ci_u32_e32 v4, vcc_lo, s3, v4, vcc_lo
	v_add_co_u32 v1, vcc_lo, s4, v1
	s_delay_alu instid0(VALU_DEP_4) | instskip(SKIP_4) | instid1(VALU_DEP_1)
	v_add_co_ci_u32_e32 v2, vcc_lo, s5, v2, vcc_lo
	global_load_b32 v3, v[3:4], off
	global_load_u16 v7, v[1:2], off
	s_waitcnt vmcnt(1)
	v_subrev_nc_u32_e32 v3, s20, v3
	v_ashrrev_i32_e32 v4, 31, v3
	s_delay_alu instid0(VALU_DEP_1) | instskip(NEXT) | instid1(VALU_DEP_1)
	v_lshlrev_b64 v[3:4], 1, v[3:4]
	v_add_co_u32 v1, vcc_lo, s6, v3
	s_delay_alu instid0(VALU_DEP_2) | instskip(SKIP_4) | instid1(VALU_DEP_1)
	v_add_co_ci_u32_e32 v2, vcc_lo, s7, v4, vcc_lo
	global_load_u16 v1, v[1:2], off
	s_waitcnt vmcnt(1)
	v_lshlrev_b32_e32 v2, 16, v7
	s_waitcnt vmcnt(0)
	v_dual_mul_f32 v2, s18, v2 :: v_dual_lshlrev_b32 v1, 16, v1
	s_delay_alu instid0(VALU_DEP_1)
	v_mul_f32_e32 v2, v2, v1
.LBB135_12:
	s_or_b32 exec_lo, exec_lo, s21
	v_lshlrev_b32_e32 v1, 2, v0
	ds_store_b32 v1, v2 offset:1024
.LBB135_13:
	s_or_b32 exec_lo, exec_lo, s19
	v_or_b32_e32 v1, 0x200, v0
	s_mov_b32 s19, exec_lo
	s_delay_alu instid0(VALU_DEP_1) | instskip(NEXT) | instid1(VALU_DEP_1)
	v_lshrrev_b32_e32 v1, s16, v1
	v_add_nc_u32_e32 v1, s15, v1
	s_delay_alu instid0(VALU_DEP_1)
	v_cmpx_gt_u32_e64 s17, v1
	s_cbranch_execz .LBB135_17
; %bb.14:
	v_dual_mov_b32 v2, 0 :: v_dual_add_nc_u32 v1, s14, v1
	s_mov_b32 s21, exec_lo
	s_delay_alu instid0(VALU_DEP_1) | instskip(NEXT) | instid1(VALU_DEP_1)
	v_lshlrev_b64 v[3:4], 2, v[1:2]
	v_add_co_u32 v3, vcc_lo, s8, v3
	s_delay_alu instid0(VALU_DEP_2) | instskip(SKIP_3) | instid1(VALU_DEP_1)
	v_add_co_ci_u32_e32 v4, vcc_lo, s9, v4, vcc_lo
	global_load_b32 v3, v[3:4], off
	s_waitcnt vmcnt(0)
	v_ashrrev_i32_e32 v4, 31, v3
	v_lshlrev_b64 v[3:4], 2, v[3:4]
	s_delay_alu instid0(VALU_DEP_1) | instskip(NEXT) | instid1(VALU_DEP_2)
	v_add_co_u32 v3, vcc_lo, s0, v3
	v_add_co_ci_u32_e32 v4, vcc_lo, s1, v4, vcc_lo
	global_load_b64 v[3:4], v[3:4], off
	s_waitcnt vmcnt(0)
	v_sub_nc_u32_e32 v1, v4, v3
	s_delay_alu instid0(VALU_DEP_1)
	v_cmpx_lt_u32_e64 v6, v1
	s_cbranch_execz .LBB135_16
; %bb.15:
	v_dual_mov_b32 v2, 0 :: v_dual_add_nc_u32 v1, v3, v5
	s_delay_alu instid0(VALU_DEP_1) | instskip(SKIP_1) | instid1(VALU_DEP_2)
	v_lshlrev_b64 v[3:4], 2, v[1:2]
	v_lshlrev_b64 v[1:2], 1, v[1:2]
	v_add_co_u32 v3, vcc_lo, s2, v3
	s_delay_alu instid0(VALU_DEP_3) | instskip(NEXT) | instid1(VALU_DEP_3)
	v_add_co_ci_u32_e32 v4, vcc_lo, s3, v4, vcc_lo
	v_add_co_u32 v1, vcc_lo, s4, v1
	s_delay_alu instid0(VALU_DEP_4) | instskip(SKIP_4) | instid1(VALU_DEP_1)
	v_add_co_ci_u32_e32 v2, vcc_lo, s5, v2, vcc_lo
	global_load_b32 v3, v[3:4], off
	global_load_u16 v7, v[1:2], off
	s_waitcnt vmcnt(1)
	v_subrev_nc_u32_e32 v3, s20, v3
	v_ashrrev_i32_e32 v4, 31, v3
	s_delay_alu instid0(VALU_DEP_1) | instskip(NEXT) | instid1(VALU_DEP_1)
	v_lshlrev_b64 v[3:4], 1, v[3:4]
	v_add_co_u32 v1, vcc_lo, s6, v3
	s_delay_alu instid0(VALU_DEP_2) | instskip(SKIP_4) | instid1(VALU_DEP_1)
	v_add_co_ci_u32_e32 v2, vcc_lo, s7, v4, vcc_lo
	global_load_u16 v1, v[1:2], off
	s_waitcnt vmcnt(1)
	v_lshlrev_b32_e32 v2, 16, v7
	s_waitcnt vmcnt(0)
	v_dual_mul_f32 v2, s18, v2 :: v_dual_lshlrev_b32 v1, 16, v1
	s_delay_alu instid0(VALU_DEP_1)
	v_mul_f32_e32 v2, v2, v1
.LBB135_16:
	s_or_b32 exec_lo, exec_lo, s21
	v_lshlrev_b32_e32 v1, 2, v0
	ds_store_b32 v1, v2 offset:2048
.LBB135_17:
	s_or_b32 exec_lo, exec_lo, s19
	v_or_b32_e32 v1, 0x300, v0
	s_mov_b32 s19, exec_lo
	s_delay_alu instid0(VALU_DEP_1) | instskip(NEXT) | instid1(VALU_DEP_1)
	v_lshrrev_b32_e32 v1, s16, v1
	v_add_nc_u32_e32 v1, s15, v1
	s_delay_alu instid0(VALU_DEP_1)
	v_cmpx_gt_u32_e64 s17, v1
	s_cbranch_execz .LBB135_21
; %bb.18:
	v_dual_mov_b32 v2, 0 :: v_dual_add_nc_u32 v1, s14, v1
	s_delay_alu instid0(VALU_DEP_1) | instskip(NEXT) | instid1(VALU_DEP_1)
	v_lshlrev_b64 v[3:4], 2, v[1:2]
	v_add_co_u32 v3, vcc_lo, s8, v3
	s_delay_alu instid0(VALU_DEP_2) | instskip(SKIP_3) | instid1(VALU_DEP_1)
	v_add_co_ci_u32_e32 v4, vcc_lo, s9, v4, vcc_lo
	global_load_b32 v3, v[3:4], off
	s_waitcnt vmcnt(0)
	v_ashrrev_i32_e32 v4, 31, v3
	v_lshlrev_b64 v[3:4], 2, v[3:4]
	s_delay_alu instid0(VALU_DEP_1) | instskip(NEXT) | instid1(VALU_DEP_2)
	v_add_co_u32 v3, vcc_lo, s0, v3
	v_add_co_ci_u32_e32 v4, vcc_lo, s1, v4, vcc_lo
	s_mov_b32 s0, exec_lo
	global_load_b64 v[3:4], v[3:4], off
	s_waitcnt vmcnt(0)
	v_sub_nc_u32_e32 v1, v4, v3
	s_delay_alu instid0(VALU_DEP_1)
	v_cmpx_lt_u32_e64 v6, v1
	s_cbranch_execz .LBB135_20
; %bb.19:
	v_dual_mov_b32 v2, 0 :: v_dual_add_nc_u32 v1, v3, v5
	s_delay_alu instid0(VALU_DEP_1) | instskip(SKIP_1) | instid1(VALU_DEP_2)
	v_lshlrev_b64 v[3:4], 2, v[1:2]
	v_lshlrev_b64 v[1:2], 1, v[1:2]
	v_add_co_u32 v3, vcc_lo, s2, v3
	s_delay_alu instid0(VALU_DEP_3) | instskip(NEXT) | instid1(VALU_DEP_3)
	v_add_co_ci_u32_e32 v4, vcc_lo, s3, v4, vcc_lo
	v_add_co_u32 v1, vcc_lo, s4, v1
	s_delay_alu instid0(VALU_DEP_4) | instskip(SKIP_4) | instid1(VALU_DEP_1)
	v_add_co_ci_u32_e32 v2, vcc_lo, s5, v2, vcc_lo
	global_load_b32 v3, v[3:4], off
	global_load_u16 v5, v[1:2], off
	s_waitcnt vmcnt(1)
	v_subrev_nc_u32_e32 v3, s20, v3
	v_ashrrev_i32_e32 v4, 31, v3
	s_delay_alu instid0(VALU_DEP_1) | instskip(NEXT) | instid1(VALU_DEP_1)
	v_lshlrev_b64 v[3:4], 1, v[3:4]
	v_add_co_u32 v1, vcc_lo, s6, v3
	s_delay_alu instid0(VALU_DEP_2) | instskip(SKIP_4) | instid1(VALU_DEP_1)
	v_add_co_ci_u32_e32 v2, vcc_lo, s7, v4, vcc_lo
	global_load_u16 v1, v[1:2], off
	s_waitcnt vmcnt(1)
	v_lshlrev_b32_e32 v2, 16, v5
	s_waitcnt vmcnt(0)
	v_dual_mul_f32 v2, s18, v2 :: v_dual_lshlrev_b32 v1, 16, v1
	s_delay_alu instid0(VALU_DEP_1)
	v_mul_f32_e32 v2, v2, v1
.LBB135_20:
	s_or_b32 exec_lo, exec_lo, s0
	v_lshlrev_b32_e32 v1, 2, v0
	ds_store_b32 v1, v2 offset:3072
.LBB135_21:
	s_or_b32 exec_lo, exec_lo, s19
	s_cmp_lt_u32 s16, 11
	s_waitcnt lgkmcnt(0)
	s_barrier
	buffer_gl0_inv
	s_cbranch_scc0 .LBB135_30
; %bb.22:
	v_cmp_neq_f32_e64 s0, s12, 0
	v_mov_b32_e32 v2, 0
	s_sub_i32 s1, s17, s15
	s_add_i32 s14, s14, s15
	s_mov_b32 s2, 0
	s_set_inst_prefetch_distance 0x1
	s_branch .LBB135_25
	.p2align	6
.LBB135_23:                             ;   in Loop: Header=BB135_25 Depth=1
	s_delay_alu instid0(VALU_DEP_1) | instskip(NEXT) | instid1(VALU_DEP_2)
	v_add_co_u32 v3, vcc_lo, s10, v3
	v_add_co_ci_u32_e32 v4, vcc_lo, s11, v4, vcc_lo
	global_store_b32 v[3:4], v1, off
.LBB135_24:                             ;   in Loop: Header=BB135_25 Depth=1
	s_or_b32 exec_lo, exec_lo, s3
	s_addk_i32 s2, 0x100
	s_delay_alu instid0(SALU_CYCLE_1)
	s_cmp_lt_u32 s2, s13
	s_cbranch_scc0 .LBB135_30
.LBB135_25:                             ; =>This Loop Header: Depth=1
                                        ;     Child Loop BB135_27 Depth 2
	v_add_nc_u32_e32 v4, s2, v0
	s_mov_b32 s3, exec_lo
	s_delay_alu instid0(VALU_DEP_1)
	v_cmpx_gt_u32_e64 s1, v4
	s_cbranch_execz .LBB135_24
; %bb.26:                               ;   in Loop: Header=BB135_25 Depth=1
	v_add_nc_u32_e32 v1, s14, v4
	s_mov_b32 s4, 1
	s_delay_alu instid0(VALU_DEP_1) | instskip(SKIP_1) | instid1(VALU_DEP_1)
	v_lshlrev_b64 v[5:6], 2, v[1:2]
	v_lshlrev_b32_e32 v1, s16, v4
	v_dual_mov_b32 v1, 0 :: v_dual_lshlrev_b32 v4, 2, v1
	s_delay_alu instid0(VALU_DEP_3) | instskip(NEXT) | instid1(VALU_DEP_4)
	v_add_co_u32 v5, vcc_lo, s8, v5
	v_add_co_ci_u32_e32 v6, vcc_lo, s9, v6, vcc_lo
	global_load_b32 v3, v[5:6], off
.LBB135_27:                             ;   Parent Loop BB135_25 Depth=1
                                        ; =>  This Inner Loop Header: Depth=2
	ds_load_b32 v5, v4
	v_add_nc_u32_e32 v4, 4, v4
	s_lshr_b32 s5, s4, s16
	s_add_i32 s4, s4, 1
	s_cmp_lg_u32 s5, 0
	s_waitcnt lgkmcnt(0)
	v_add_f32_e32 v1, v1, v5
	s_cbranch_scc0 .LBB135_27
; %bb.28:                               ;   in Loop: Header=BB135_25 Depth=1
	s_waitcnt vmcnt(0)
	v_ashrrev_i32_e32 v4, 31, v3
	s_and_b32 vcc_lo, exec_lo, s0
	s_delay_alu instid0(VALU_DEP_1)
	v_lshlrev_b64 v[3:4], 2, v[3:4]
	s_cbranch_vccz .LBB135_23
; %bb.29:                               ;   in Loop: Header=BB135_25 Depth=1
	s_delay_alu instid0(VALU_DEP_1) | instskip(NEXT) | instid1(VALU_DEP_2)
	v_add_co_u32 v5, vcc_lo, s10, v3
	v_add_co_ci_u32_e32 v6, vcc_lo, s11, v4, vcc_lo
	global_load_b32 v5, v[5:6], off
	s_waitcnt vmcnt(0)
	v_fmac_f32_e32 v1, s12, v5
	s_branch .LBB135_23
.LBB135_30:
	s_set_inst_prefetch_distance 0x2
	s_nop 0
	s_sendmsg sendmsg(MSG_DEALLOC_VGPRS)
	s_endpgm
	.section	.rodata,"a",@progbits
	.p2align	6, 0x0
	.amdhsa_kernel _ZN9rocsparseL30csrmvn_lrb_short_rows_2_kernelIii18rocsparse_bfloat16S1_ffEEvbT_PT0_S4_jNS_24const_host_device_scalarIT4_EEPKS2_PKS3_PKT1_PKT2_S7_PT3_21rocsparse_index_base_b
		.amdhsa_group_segment_fixed_size 4096
		.amdhsa_private_segment_fixed_size 0
		.amdhsa_kernarg_size 96
		.amdhsa_user_sgpr_count 15
		.amdhsa_user_sgpr_dispatch_ptr 0
		.amdhsa_user_sgpr_queue_ptr 0
		.amdhsa_user_sgpr_kernarg_segment_ptr 1
		.amdhsa_user_sgpr_dispatch_id 0
		.amdhsa_user_sgpr_private_segment_size 0
		.amdhsa_wavefront_size32 1
		.amdhsa_uses_dynamic_stack 0
		.amdhsa_enable_private_segment 0
		.amdhsa_system_sgpr_workgroup_id_x 1
		.amdhsa_system_sgpr_workgroup_id_y 0
		.amdhsa_system_sgpr_workgroup_id_z 0
		.amdhsa_system_sgpr_workgroup_info 0
		.amdhsa_system_vgpr_workitem_id 0
		.amdhsa_next_free_vgpr 8
		.amdhsa_next_free_sgpr 22
		.amdhsa_reserve_vcc 1
		.amdhsa_float_round_mode_32 0
		.amdhsa_float_round_mode_16_64 0
		.amdhsa_float_denorm_mode_32 3
		.amdhsa_float_denorm_mode_16_64 3
		.amdhsa_dx10_clamp 1
		.amdhsa_ieee_mode 1
		.amdhsa_fp16_overflow 0
		.amdhsa_workgroup_processor_mode 1
		.amdhsa_memory_ordered 1
		.amdhsa_forward_progress 0
		.amdhsa_shared_vgpr_count 0
		.amdhsa_exception_fp_ieee_invalid_op 0
		.amdhsa_exception_fp_denorm_src 0
		.amdhsa_exception_fp_ieee_div_zero 0
		.amdhsa_exception_fp_ieee_overflow 0
		.amdhsa_exception_fp_ieee_underflow 0
		.amdhsa_exception_fp_ieee_inexact 0
		.amdhsa_exception_int_div_zero 0
	.end_amdhsa_kernel
	.section	.text._ZN9rocsparseL30csrmvn_lrb_short_rows_2_kernelIii18rocsparse_bfloat16S1_ffEEvbT_PT0_S4_jNS_24const_host_device_scalarIT4_EEPKS2_PKS3_PKT1_PKT2_S7_PT3_21rocsparse_index_base_b,"axG",@progbits,_ZN9rocsparseL30csrmvn_lrb_short_rows_2_kernelIii18rocsparse_bfloat16S1_ffEEvbT_PT0_S4_jNS_24const_host_device_scalarIT4_EEPKS2_PKS3_PKT1_PKT2_S7_PT3_21rocsparse_index_base_b,comdat
.Lfunc_end135:
	.size	_ZN9rocsparseL30csrmvn_lrb_short_rows_2_kernelIii18rocsparse_bfloat16S1_ffEEvbT_PT0_S4_jNS_24const_host_device_scalarIT4_EEPKS2_PKS3_PKT1_PKT2_S7_PT3_21rocsparse_index_base_b, .Lfunc_end135-_ZN9rocsparseL30csrmvn_lrb_short_rows_2_kernelIii18rocsparse_bfloat16S1_ffEEvbT_PT0_S4_jNS_24const_host_device_scalarIT4_EEPKS2_PKS3_PKT1_PKT2_S7_PT3_21rocsparse_index_base_b
                                        ; -- End function
	.section	.AMDGPU.csdata,"",@progbits
; Kernel info:
; codeLenInByte = 1840
; NumSgprs: 24
; NumVgprs: 8
; ScratchSize: 0
; MemoryBound: 0
; FloatMode: 240
; IeeeMode: 1
; LDSByteSize: 4096 bytes/workgroup (compile time only)
; SGPRBlocks: 2
; VGPRBlocks: 0
; NumSGPRsForWavesPerEU: 24
; NumVGPRsForWavesPerEU: 8
; Occupancy: 16
; WaveLimiterHint : 1
; COMPUTE_PGM_RSRC2:SCRATCH_EN: 0
; COMPUTE_PGM_RSRC2:USER_SGPR: 15
; COMPUTE_PGM_RSRC2:TRAP_HANDLER: 0
; COMPUTE_PGM_RSRC2:TGID_X_EN: 1
; COMPUTE_PGM_RSRC2:TGID_Y_EN: 0
; COMPUTE_PGM_RSRC2:TGID_Z_EN: 0
; COMPUTE_PGM_RSRC2:TIDIG_COMP_CNT: 0
	.section	.text._ZN9rocsparseL41csrmvn_lrb_medium_rows_warp_reduce_kernelILj256ELj32Eii18rocsparse_bfloat16S1_ffEEvbT1_lPT2_S4_jNS_24const_host_device_scalarIT6_EEPKS2_PKS3_PKT3_PKT4_S7_PT5_21rocsparse_index_base_b,"axG",@progbits,_ZN9rocsparseL41csrmvn_lrb_medium_rows_warp_reduce_kernelILj256ELj32Eii18rocsparse_bfloat16S1_ffEEvbT1_lPT2_S4_jNS_24const_host_device_scalarIT6_EEPKS2_PKS3_PKT3_PKT4_S7_PT5_21rocsparse_index_base_b,comdat
	.globl	_ZN9rocsparseL41csrmvn_lrb_medium_rows_warp_reduce_kernelILj256ELj32Eii18rocsparse_bfloat16S1_ffEEvbT1_lPT2_S4_jNS_24const_host_device_scalarIT6_EEPKS2_PKS3_PKT3_PKT4_S7_PT5_21rocsparse_index_base_b ; -- Begin function _ZN9rocsparseL41csrmvn_lrb_medium_rows_warp_reduce_kernelILj256ELj32Eii18rocsparse_bfloat16S1_ffEEvbT1_lPT2_S4_jNS_24const_host_device_scalarIT6_EEPKS2_PKS3_PKT3_PKT4_S7_PT5_21rocsparse_index_base_b
	.p2align	8
	.type	_ZN9rocsparseL41csrmvn_lrb_medium_rows_warp_reduce_kernelILj256ELj32Eii18rocsparse_bfloat16S1_ffEEvbT1_lPT2_S4_jNS_24const_host_device_scalarIT6_EEPKS2_PKS3_PKT3_PKT4_S7_PT5_21rocsparse_index_base_b,@function
_ZN9rocsparseL41csrmvn_lrb_medium_rows_warp_reduce_kernelILj256ELj32Eii18rocsparse_bfloat16S1_ffEEvbT1_lPT2_S4_jNS_24const_host_device_scalarIT6_EEPKS2_PKS3_PKT3_PKT4_S7_PT5_21rocsparse_index_base_b: ; @_ZN9rocsparseL41csrmvn_lrb_medium_rows_warp_reduce_kernelILj256ELj32Eii18rocsparse_bfloat16S1_ffEEvbT1_lPT2_S4_jNS_24const_host_device_scalarIT6_EEPKS2_PKS3_PKT3_PKT4_S7_PT5_21rocsparse_index_base_b
; %bb.0:
	s_clause 0x2
	s_load_b64 s[8:9], s[0:1], 0x60
	s_load_b64 s[10:11], s[0:1], 0x28
	;; [unrolled: 1-line block ×3, first 2 shown]
	s_waitcnt lgkmcnt(0)
	s_bitcmp1_b32 s9, 0
	s_cselect_b32 s4, -1, 0
	s_delay_alu instid0(SALU_CYCLE_1)
	s_and_b32 vcc_lo, exec_lo, s4
	s_xor_b32 s4, s4, -1
	s_cbranch_vccnz .LBB136_2
; %bb.1:
	s_load_b32 s10, s[10:11], 0x0
.LBB136_2:
	s_and_not1_b32 vcc_lo, exec_lo, s4
	s_cbranch_vccnz .LBB136_4
; %bb.3:
	s_load_b32 s2, s[2:3], 0x0
.LBB136_4:
	s_waitcnt lgkmcnt(0)
	v_cmp_neq_f32_e64 s3, s10, 0
	v_cmp_neq_f32_e64 s4, s2, 1.0
	s_delay_alu instid0(VALU_DEP_1) | instskip(NEXT) | instid1(SALU_CYCLE_1)
	s_or_b32 s3, s3, s4
	s_and_not1_b32 vcc_lo, exec_lo, s3
	s_cbranch_vccnz .LBB136_14
; %bb.5:
	s_load_b64 s[4:5], s[0:1], 0x8
	v_lshrrev_b32_e32 v1, 5, v0
	s_mov_b32 s3, exec_lo
	s_delay_alu instid0(VALU_DEP_1) | instskip(NEXT) | instid1(VALU_DEP_1)
	v_lshl_or_b32 v1, s15, 3, v1
	v_ashrrev_i32_e32 v2, 31, v1
	s_waitcnt lgkmcnt(0)
	s_delay_alu instid0(VALU_DEP_1)
	v_cmpx_gt_i64_e64 s[4:5], v[1:2]
	s_cbranch_execz .LBB136_14
; %bb.6:
	s_clause 0x1
	s_load_b32 s14, s[0:1], 0x20
	s_load_b128 s[4:7], s[0:1], 0x10
	s_mov_b32 s15, 0
	v_and_b32_e32 v0, 31, v0
	s_delay_alu instid0(VALU_DEP_1) | instskip(SKIP_2) | instid1(SALU_CYCLE_1)
	v_subrev_nc_u32_e32 v5, s8, v0
	s_waitcnt lgkmcnt(0)
	s_lshl_b64 s[12:13], s[14:15], 2
	s_add_u32 s6, s6, s12
	s_addc_u32 s7, s7, s13
	s_load_b64 s[12:13], s[0:1], 0x58
	s_load_b32 s3, s[6:7], 0x0
	s_waitcnt lgkmcnt(0)
	v_add_nc_u32_e32 v1, s3, v1
	s_mov_b32 s3, exec_lo
	s_delay_alu instid0(VALU_DEP_1) | instskip(NEXT) | instid1(VALU_DEP_1)
	v_ashrrev_i32_e32 v2, 31, v1
	v_lshlrev_b64 v[1:2], 2, v[1:2]
	s_delay_alu instid0(VALU_DEP_1) | instskip(NEXT) | instid1(VALU_DEP_2)
	v_add_co_u32 v1, vcc_lo, s4, v1
	v_add_co_ci_u32_e32 v2, vcc_lo, s5, v2, vcc_lo
	s_load_b64 s[4:5], s[0:1], 0x30
	global_load_b32 v1, v[1:2], off
	s_waitcnt vmcnt(0)
	v_ashrrev_i32_e32 v2, 31, v1
	s_delay_alu instid0(VALU_DEP_1) | instskip(SKIP_1) | instid1(VALU_DEP_1)
	v_lshlrev_b64 v[1:2], 2, v[1:2]
	s_waitcnt lgkmcnt(0)
	v_add_co_u32 v3, vcc_lo, s4, v1
	s_delay_alu instid0(VALU_DEP_2)
	v_add_co_ci_u32_e32 v4, vcc_lo, s5, v2, vcc_lo
	global_load_b64 v[3:4], v[3:4], off
	s_waitcnt vmcnt(0)
	v_subrev_nc_u32_e32 v6, s8, v4
	v_add_nc_u32_e32 v3, v3, v5
	v_mov_b32_e32 v5, 0
	s_delay_alu instid0(VALU_DEP_2)
	v_cmpx_lt_i32_e64 v3, v6
	s_cbranch_execz .LBB136_10
; %bb.7:
	s_clause 0x1
	s_load_b128 s[4:7], s[0:1], 0x38
	s_load_b64 s[0:1], s[0:1], 0x48
	v_mov_b32_e32 v5, 0
	s_set_inst_prefetch_distance 0x1
	.p2align	6
.LBB136_8:                              ; =>This Inner Loop Header: Depth=1
	v_ashrrev_i32_e32 v4, 31, v3
	s_delay_alu instid0(VALU_DEP_1) | instskip(SKIP_2) | instid1(VALU_DEP_2)
	v_lshlrev_b64 v[7:8], 2, v[3:4]
	v_lshlrev_b64 v[9:10], 1, v[3:4]
	s_waitcnt lgkmcnt(0)
	v_add_co_u32 v7, vcc_lo, s4, v7
	s_delay_alu instid0(VALU_DEP_3) | instskip(NEXT) | instid1(VALU_DEP_3)
	v_add_co_ci_u32_e32 v8, vcc_lo, s5, v8, vcc_lo
	v_add_co_u32 v9, vcc_lo, s6, v9
	s_delay_alu instid0(VALU_DEP_4)
	v_add_co_ci_u32_e32 v10, vcc_lo, s7, v10, vcc_lo
	global_load_b32 v7, v[7:8], off
	global_load_u16 v4, v[9:10], off
	s_waitcnt vmcnt(1)
	v_subrev_nc_u32_e32 v7, s8, v7
	s_waitcnt vmcnt(0)
	v_lshlrev_b32_e32 v4, 16, v4
	v_add_nc_u32_e32 v3, 32, v3
	s_delay_alu instid0(VALU_DEP_3) | instskip(NEXT) | instid1(VALU_DEP_3)
	v_ashrrev_i32_e32 v8, 31, v7
	v_mul_f32_e32 v4, s10, v4
	s_delay_alu instid0(VALU_DEP_2) | instskip(NEXT) | instid1(VALU_DEP_1)
	v_lshlrev_b64 v[7:8], 1, v[7:8]
	v_add_co_u32 v7, vcc_lo, s0, v7
	s_delay_alu instid0(VALU_DEP_2)
	v_add_co_ci_u32_e32 v8, vcc_lo, s1, v8, vcc_lo
	v_cmp_ge_i32_e32 vcc_lo, v3, v6
	global_load_u16 v7, v[7:8], off
	s_or_b32 s15, vcc_lo, s15
	s_waitcnt vmcnt(0)
	v_lshlrev_b32_e32 v7, 16, v7
	s_delay_alu instid0(VALU_DEP_1)
	v_fmac_f32_e32 v5, v4, v7
	s_and_not1_b32 exec_lo, exec_lo, s15
	s_cbranch_execnz .LBB136_8
; %bb.9:
	s_set_inst_prefetch_distance 0x2
	s_or_b32 exec_lo, exec_lo, s15
.LBB136_10:
	s_delay_alu instid0(SALU_CYCLE_1) | instskip(SKIP_1) | instid1(VALU_DEP_1)
	s_or_b32 exec_lo, exec_lo, s3
	v_mbcnt_lo_u32_b32 v3, -1, 0
	v_xor_b32_e32 v4, 16, v3
	v_xor_b32_e32 v6, 8, v3
	s_delay_alu instid0(VALU_DEP_2) | instskip(SKIP_1) | instid1(VALU_DEP_3)
	v_cmp_gt_i32_e32 vcc_lo, 32, v4
	v_cndmask_b32_e32 v4, v3, v4, vcc_lo
	v_cmp_gt_i32_e32 vcc_lo, 32, v6
	s_delay_alu instid0(VALU_DEP_2)
	v_lshlrev_b32_e32 v4, 2, v4
	v_cndmask_b32_e32 v6, v3, v6, vcc_lo
	ds_bpermute_b32 v4, v4, v5
	v_lshlrev_b32_e32 v6, 2, v6
	s_waitcnt lgkmcnt(0)
	v_add_f32_e32 v4, v5, v4
	ds_bpermute_b32 v5, v6, v4
	v_xor_b32_e32 v6, 4, v3
	s_delay_alu instid0(VALU_DEP_1) | instskip(SKIP_1) | instid1(VALU_DEP_1)
	v_cmp_gt_i32_e32 vcc_lo, 32, v6
	v_cndmask_b32_e32 v6, v3, v6, vcc_lo
	v_lshlrev_b32_e32 v6, 2, v6
	s_waitcnt lgkmcnt(0)
	v_add_f32_e32 v4, v4, v5
	ds_bpermute_b32 v5, v6, v4
	v_xor_b32_e32 v6, 2, v3
	s_delay_alu instid0(VALU_DEP_1) | instskip(SKIP_1) | instid1(VALU_DEP_1)
	v_cmp_gt_i32_e32 vcc_lo, 32, v6
	v_cndmask_b32_e32 v6, v3, v6, vcc_lo
	v_lshlrev_b32_e32 v6, 2, v6
	s_waitcnt lgkmcnt(0)
	v_add_f32_e32 v4, v4, v5
	ds_bpermute_b32 v5, v6, v4
	v_xor_b32_e32 v6, 1, v3
	s_delay_alu instid0(VALU_DEP_1) | instskip(SKIP_3) | instid1(VALU_DEP_2)
	v_cmp_gt_i32_e32 vcc_lo, 32, v6
	v_cndmask_b32_e32 v6, v3, v6, vcc_lo
	v_cmp_eq_u32_e32 vcc_lo, 31, v0
	s_waitcnt lgkmcnt(0)
	v_dual_add_f32 v3, v4, v5 :: v_dual_lshlrev_b32 v4, 2, v6
	ds_bpermute_b32 v4, v4, v3
	s_and_b32 exec_lo, exec_lo, vcc_lo
	s_cbranch_execz .LBB136_14
; %bb.11:
	v_cmp_eq_f32_e64 s0, s2, 0
	s_waitcnt lgkmcnt(0)
	v_add_f32_e32 v0, v3, v4
	s_delay_alu instid0(VALU_DEP_2)
	s_and_b32 vcc_lo, exec_lo, s0
	s_cbranch_vccnz .LBB136_13
; %bb.12:
	v_add_co_u32 v3, vcc_lo, s12, v1
	v_add_co_ci_u32_e32 v4, vcc_lo, s13, v2, vcc_lo
	global_load_b32 v3, v[3:4], off
	s_waitcnt vmcnt(0)
	v_fmac_f32_e32 v0, s2, v3
.LBB136_13:
	v_add_co_u32 v1, vcc_lo, s12, v1
	v_add_co_ci_u32_e32 v2, vcc_lo, s13, v2, vcc_lo
	global_store_b32 v[1:2], v0, off
.LBB136_14:
	s_nop 0
	s_sendmsg sendmsg(MSG_DEALLOC_VGPRS)
	s_endpgm
	.section	.rodata,"a",@progbits
	.p2align	6, 0x0
	.amdhsa_kernel _ZN9rocsparseL41csrmvn_lrb_medium_rows_warp_reduce_kernelILj256ELj32Eii18rocsparse_bfloat16S1_ffEEvbT1_lPT2_S4_jNS_24const_host_device_scalarIT6_EEPKS2_PKS3_PKT3_PKT4_S7_PT5_21rocsparse_index_base_b
		.amdhsa_group_segment_fixed_size 0
		.amdhsa_private_segment_fixed_size 0
		.amdhsa_kernarg_size 104
		.amdhsa_user_sgpr_count 15
		.amdhsa_user_sgpr_dispatch_ptr 0
		.amdhsa_user_sgpr_queue_ptr 0
		.amdhsa_user_sgpr_kernarg_segment_ptr 1
		.amdhsa_user_sgpr_dispatch_id 0
		.amdhsa_user_sgpr_private_segment_size 0
		.amdhsa_wavefront_size32 1
		.amdhsa_uses_dynamic_stack 0
		.amdhsa_enable_private_segment 0
		.amdhsa_system_sgpr_workgroup_id_x 1
		.amdhsa_system_sgpr_workgroup_id_y 0
		.amdhsa_system_sgpr_workgroup_id_z 0
		.amdhsa_system_sgpr_workgroup_info 0
		.amdhsa_system_vgpr_workitem_id 0
		.amdhsa_next_free_vgpr 11
		.amdhsa_next_free_sgpr 16
		.amdhsa_reserve_vcc 1
		.amdhsa_float_round_mode_32 0
		.amdhsa_float_round_mode_16_64 0
		.amdhsa_float_denorm_mode_32 3
		.amdhsa_float_denorm_mode_16_64 3
		.amdhsa_dx10_clamp 1
		.amdhsa_ieee_mode 1
		.amdhsa_fp16_overflow 0
		.amdhsa_workgroup_processor_mode 1
		.amdhsa_memory_ordered 1
		.amdhsa_forward_progress 0
		.amdhsa_shared_vgpr_count 0
		.amdhsa_exception_fp_ieee_invalid_op 0
		.amdhsa_exception_fp_denorm_src 0
		.amdhsa_exception_fp_ieee_div_zero 0
		.amdhsa_exception_fp_ieee_overflow 0
		.amdhsa_exception_fp_ieee_underflow 0
		.amdhsa_exception_fp_ieee_inexact 0
		.amdhsa_exception_int_div_zero 0
	.end_amdhsa_kernel
	.section	.text._ZN9rocsparseL41csrmvn_lrb_medium_rows_warp_reduce_kernelILj256ELj32Eii18rocsparse_bfloat16S1_ffEEvbT1_lPT2_S4_jNS_24const_host_device_scalarIT6_EEPKS2_PKS3_PKT3_PKT4_S7_PT5_21rocsparse_index_base_b,"axG",@progbits,_ZN9rocsparseL41csrmvn_lrb_medium_rows_warp_reduce_kernelILj256ELj32Eii18rocsparse_bfloat16S1_ffEEvbT1_lPT2_S4_jNS_24const_host_device_scalarIT6_EEPKS2_PKS3_PKT3_PKT4_S7_PT5_21rocsparse_index_base_b,comdat
.Lfunc_end136:
	.size	_ZN9rocsparseL41csrmvn_lrb_medium_rows_warp_reduce_kernelILj256ELj32Eii18rocsparse_bfloat16S1_ffEEvbT1_lPT2_S4_jNS_24const_host_device_scalarIT6_EEPKS2_PKS3_PKT3_PKT4_S7_PT5_21rocsparse_index_base_b, .Lfunc_end136-_ZN9rocsparseL41csrmvn_lrb_medium_rows_warp_reduce_kernelILj256ELj32Eii18rocsparse_bfloat16S1_ffEEvbT1_lPT2_S4_jNS_24const_host_device_scalarIT6_EEPKS2_PKS3_PKT3_PKT4_S7_PT5_21rocsparse_index_base_b
                                        ; -- End function
	.section	.AMDGPU.csdata,"",@progbits
; Kernel info:
; codeLenInByte = 876
; NumSgprs: 18
; NumVgprs: 11
; ScratchSize: 0
; MemoryBound: 0
; FloatMode: 240
; IeeeMode: 1
; LDSByteSize: 0 bytes/workgroup (compile time only)
; SGPRBlocks: 2
; VGPRBlocks: 1
; NumSGPRsForWavesPerEU: 18
; NumVGPRsForWavesPerEU: 11
; Occupancy: 16
; WaveLimiterHint : 1
; COMPUTE_PGM_RSRC2:SCRATCH_EN: 0
; COMPUTE_PGM_RSRC2:USER_SGPR: 15
; COMPUTE_PGM_RSRC2:TRAP_HANDLER: 0
; COMPUTE_PGM_RSRC2:TGID_X_EN: 1
; COMPUTE_PGM_RSRC2:TGID_Y_EN: 0
; COMPUTE_PGM_RSRC2:TGID_Z_EN: 0
; COMPUTE_PGM_RSRC2:TIDIG_COMP_CNT: 0
	.section	.text._ZN9rocsparseL41csrmvn_lrb_medium_rows_warp_reduce_kernelILj256ELj64Eii18rocsparse_bfloat16S1_ffEEvbT1_lPT2_S4_jNS_24const_host_device_scalarIT6_EEPKS2_PKS3_PKT3_PKT4_S7_PT5_21rocsparse_index_base_b,"axG",@progbits,_ZN9rocsparseL41csrmvn_lrb_medium_rows_warp_reduce_kernelILj256ELj64Eii18rocsparse_bfloat16S1_ffEEvbT1_lPT2_S4_jNS_24const_host_device_scalarIT6_EEPKS2_PKS3_PKT3_PKT4_S7_PT5_21rocsparse_index_base_b,comdat
	.globl	_ZN9rocsparseL41csrmvn_lrb_medium_rows_warp_reduce_kernelILj256ELj64Eii18rocsparse_bfloat16S1_ffEEvbT1_lPT2_S4_jNS_24const_host_device_scalarIT6_EEPKS2_PKS3_PKT3_PKT4_S7_PT5_21rocsparse_index_base_b ; -- Begin function _ZN9rocsparseL41csrmvn_lrb_medium_rows_warp_reduce_kernelILj256ELj64Eii18rocsparse_bfloat16S1_ffEEvbT1_lPT2_S4_jNS_24const_host_device_scalarIT6_EEPKS2_PKS3_PKT3_PKT4_S7_PT5_21rocsparse_index_base_b
	.p2align	8
	.type	_ZN9rocsparseL41csrmvn_lrb_medium_rows_warp_reduce_kernelILj256ELj64Eii18rocsparse_bfloat16S1_ffEEvbT1_lPT2_S4_jNS_24const_host_device_scalarIT6_EEPKS2_PKS3_PKT3_PKT4_S7_PT5_21rocsparse_index_base_b,@function
_ZN9rocsparseL41csrmvn_lrb_medium_rows_warp_reduce_kernelILj256ELj64Eii18rocsparse_bfloat16S1_ffEEvbT1_lPT2_S4_jNS_24const_host_device_scalarIT6_EEPKS2_PKS3_PKT3_PKT4_S7_PT5_21rocsparse_index_base_b: ; @_ZN9rocsparseL41csrmvn_lrb_medium_rows_warp_reduce_kernelILj256ELj64Eii18rocsparse_bfloat16S1_ffEEvbT1_lPT2_S4_jNS_24const_host_device_scalarIT6_EEPKS2_PKS3_PKT3_PKT4_S7_PT5_21rocsparse_index_base_b
; %bb.0:
	s_clause 0x2
	s_load_b64 s[8:9], s[0:1], 0x60
	s_load_b64 s[10:11], s[0:1], 0x28
	;; [unrolled: 1-line block ×3, first 2 shown]
	s_waitcnt lgkmcnt(0)
	s_bitcmp1_b32 s9, 0
	s_cselect_b32 s4, -1, 0
	s_delay_alu instid0(SALU_CYCLE_1)
	s_and_b32 vcc_lo, exec_lo, s4
	s_xor_b32 s4, s4, -1
	s_cbranch_vccnz .LBB137_2
; %bb.1:
	s_load_b32 s10, s[10:11], 0x0
.LBB137_2:
	s_and_not1_b32 vcc_lo, exec_lo, s4
	s_cbranch_vccnz .LBB137_4
; %bb.3:
	s_load_b32 s2, s[2:3], 0x0
.LBB137_4:
	s_waitcnt lgkmcnt(0)
	v_cmp_neq_f32_e64 s3, s10, 0
	v_cmp_neq_f32_e64 s4, s2, 1.0
	s_delay_alu instid0(VALU_DEP_1) | instskip(NEXT) | instid1(SALU_CYCLE_1)
	s_or_b32 s3, s3, s4
	s_and_not1_b32 vcc_lo, exec_lo, s3
	s_cbranch_vccnz .LBB137_14
; %bb.5:
	s_load_b64 s[4:5], s[0:1], 0x8
	v_lshrrev_b32_e32 v1, 6, v0
	s_mov_b32 s3, exec_lo
	s_delay_alu instid0(VALU_DEP_1) | instskip(NEXT) | instid1(VALU_DEP_1)
	v_lshl_or_b32 v1, s15, 2, v1
	v_ashrrev_i32_e32 v2, 31, v1
	s_waitcnt lgkmcnt(0)
	s_delay_alu instid0(VALU_DEP_1)
	v_cmpx_gt_i64_e64 s[4:5], v[1:2]
	s_cbranch_execz .LBB137_14
; %bb.6:
	s_clause 0x1
	s_load_b32 s14, s[0:1], 0x20
	s_load_b128 s[4:7], s[0:1], 0x10
	s_mov_b32 s15, 0
	v_and_b32_e32 v0, 63, v0
	s_delay_alu instid0(VALU_DEP_1) | instskip(SKIP_2) | instid1(SALU_CYCLE_1)
	v_subrev_nc_u32_e32 v5, s8, v0
	s_waitcnt lgkmcnt(0)
	s_lshl_b64 s[12:13], s[14:15], 2
	s_add_u32 s6, s6, s12
	s_addc_u32 s7, s7, s13
	s_load_b64 s[12:13], s[0:1], 0x58
	s_load_b32 s3, s[6:7], 0x0
	s_waitcnt lgkmcnt(0)
	v_add_nc_u32_e32 v1, s3, v1
	s_mov_b32 s3, exec_lo
	s_delay_alu instid0(VALU_DEP_1) | instskip(NEXT) | instid1(VALU_DEP_1)
	v_ashrrev_i32_e32 v2, 31, v1
	v_lshlrev_b64 v[1:2], 2, v[1:2]
	s_delay_alu instid0(VALU_DEP_1) | instskip(NEXT) | instid1(VALU_DEP_2)
	v_add_co_u32 v1, vcc_lo, s4, v1
	v_add_co_ci_u32_e32 v2, vcc_lo, s5, v2, vcc_lo
	s_load_b64 s[4:5], s[0:1], 0x30
	global_load_b32 v1, v[1:2], off
	s_waitcnt vmcnt(0)
	v_ashrrev_i32_e32 v2, 31, v1
	s_delay_alu instid0(VALU_DEP_1) | instskip(SKIP_1) | instid1(VALU_DEP_1)
	v_lshlrev_b64 v[1:2], 2, v[1:2]
	s_waitcnt lgkmcnt(0)
	v_add_co_u32 v3, vcc_lo, s4, v1
	s_delay_alu instid0(VALU_DEP_2)
	v_add_co_ci_u32_e32 v4, vcc_lo, s5, v2, vcc_lo
	global_load_b64 v[3:4], v[3:4], off
	s_waitcnt vmcnt(0)
	v_subrev_nc_u32_e32 v6, s8, v4
	v_add_nc_u32_e32 v3, v3, v5
	v_mov_b32_e32 v5, 0
	s_delay_alu instid0(VALU_DEP_2)
	v_cmpx_lt_i32_e64 v3, v6
	s_cbranch_execz .LBB137_10
; %bb.7:
	s_clause 0x1
	s_load_b128 s[4:7], s[0:1], 0x38
	s_load_b64 s[0:1], s[0:1], 0x48
	v_mov_b32_e32 v5, 0
	s_set_inst_prefetch_distance 0x1
	.p2align	6
.LBB137_8:                              ; =>This Inner Loop Header: Depth=1
	v_ashrrev_i32_e32 v4, 31, v3
	s_delay_alu instid0(VALU_DEP_1) | instskip(SKIP_2) | instid1(VALU_DEP_2)
	v_lshlrev_b64 v[7:8], 2, v[3:4]
	v_lshlrev_b64 v[9:10], 1, v[3:4]
	s_waitcnt lgkmcnt(0)
	v_add_co_u32 v7, vcc_lo, s4, v7
	s_delay_alu instid0(VALU_DEP_3) | instskip(NEXT) | instid1(VALU_DEP_3)
	v_add_co_ci_u32_e32 v8, vcc_lo, s5, v8, vcc_lo
	v_add_co_u32 v9, vcc_lo, s6, v9
	s_delay_alu instid0(VALU_DEP_4)
	v_add_co_ci_u32_e32 v10, vcc_lo, s7, v10, vcc_lo
	global_load_b32 v7, v[7:8], off
	global_load_u16 v4, v[9:10], off
	s_waitcnt vmcnt(1)
	v_subrev_nc_u32_e32 v7, s8, v7
	s_waitcnt vmcnt(0)
	v_lshlrev_b32_e32 v4, 16, v4
	v_add_nc_u32_e32 v3, 64, v3
	s_delay_alu instid0(VALU_DEP_3) | instskip(NEXT) | instid1(VALU_DEP_3)
	v_ashrrev_i32_e32 v8, 31, v7
	v_mul_f32_e32 v4, s10, v4
	s_delay_alu instid0(VALU_DEP_2) | instskip(NEXT) | instid1(VALU_DEP_1)
	v_lshlrev_b64 v[7:8], 1, v[7:8]
	v_add_co_u32 v7, vcc_lo, s0, v7
	s_delay_alu instid0(VALU_DEP_2)
	v_add_co_ci_u32_e32 v8, vcc_lo, s1, v8, vcc_lo
	v_cmp_ge_i32_e32 vcc_lo, v3, v6
	global_load_u16 v7, v[7:8], off
	s_or_b32 s15, vcc_lo, s15
	s_waitcnt vmcnt(0)
	v_lshlrev_b32_e32 v7, 16, v7
	s_delay_alu instid0(VALU_DEP_1)
	v_fmac_f32_e32 v5, v4, v7
	s_and_not1_b32 exec_lo, exec_lo, s15
	s_cbranch_execnz .LBB137_8
; %bb.9:
	s_set_inst_prefetch_distance 0x2
	s_or_b32 exec_lo, exec_lo, s15
.LBB137_10:
	s_delay_alu instid0(SALU_CYCLE_1) | instskip(SKIP_1) | instid1(VALU_DEP_1)
	s_or_b32 exec_lo, exec_lo, s3
	v_mbcnt_lo_u32_b32 v3, -1, 0
	v_or_b32_e32 v4, 32, v3
	v_xor_b32_e32 v6, 16, v3
	s_delay_alu instid0(VALU_DEP_2) | instskip(SKIP_1) | instid1(VALU_DEP_3)
	v_cmp_gt_i32_e32 vcc_lo, 32, v4
	v_cndmask_b32_e32 v4, v3, v4, vcc_lo
	v_cmp_gt_i32_e32 vcc_lo, 32, v6
	s_delay_alu instid0(VALU_DEP_2)
	v_lshlrev_b32_e32 v4, 2, v4
	v_cndmask_b32_e32 v6, v3, v6, vcc_lo
	ds_bpermute_b32 v4, v4, v5
	v_lshlrev_b32_e32 v6, 2, v6
	s_waitcnt lgkmcnt(0)
	v_add_f32_e32 v4, v5, v4
	ds_bpermute_b32 v5, v6, v4
	v_xor_b32_e32 v6, 8, v3
	s_delay_alu instid0(VALU_DEP_1) | instskip(SKIP_1) | instid1(VALU_DEP_1)
	v_cmp_gt_i32_e32 vcc_lo, 32, v6
	v_cndmask_b32_e32 v6, v3, v6, vcc_lo
	v_lshlrev_b32_e32 v6, 2, v6
	s_waitcnt lgkmcnt(0)
	v_add_f32_e32 v4, v4, v5
	ds_bpermute_b32 v5, v6, v4
	v_xor_b32_e32 v6, 4, v3
	s_delay_alu instid0(VALU_DEP_1) | instskip(SKIP_1) | instid1(VALU_DEP_1)
	v_cmp_gt_i32_e32 vcc_lo, 32, v6
	v_cndmask_b32_e32 v6, v3, v6, vcc_lo
	;; [unrolled: 8-line block ×3, first 2 shown]
	v_lshlrev_b32_e32 v6, 2, v6
	s_waitcnt lgkmcnt(0)
	v_add_f32_e32 v4, v4, v5
	ds_bpermute_b32 v5, v6, v4
	v_xor_b32_e32 v6, 1, v3
	s_delay_alu instid0(VALU_DEP_1) | instskip(SKIP_3) | instid1(VALU_DEP_2)
	v_cmp_gt_i32_e32 vcc_lo, 32, v6
	v_cndmask_b32_e32 v6, v3, v6, vcc_lo
	v_cmp_eq_u32_e32 vcc_lo, 63, v0
	s_waitcnt lgkmcnt(0)
	v_dual_add_f32 v3, v4, v5 :: v_dual_lshlrev_b32 v4, 2, v6
	ds_bpermute_b32 v4, v4, v3
	s_and_b32 exec_lo, exec_lo, vcc_lo
	s_cbranch_execz .LBB137_14
; %bb.11:
	v_cmp_eq_f32_e64 s0, s2, 0
	s_waitcnt lgkmcnt(0)
	v_add_f32_e32 v0, v3, v4
	s_delay_alu instid0(VALU_DEP_2)
	s_and_b32 vcc_lo, exec_lo, s0
	s_cbranch_vccnz .LBB137_13
; %bb.12:
	v_add_co_u32 v3, vcc_lo, s12, v1
	v_add_co_ci_u32_e32 v4, vcc_lo, s13, v2, vcc_lo
	global_load_b32 v3, v[3:4], off
	s_waitcnt vmcnt(0)
	v_fmac_f32_e32 v0, s2, v3
.LBB137_13:
	v_add_co_u32 v1, vcc_lo, s12, v1
	v_add_co_ci_u32_e32 v2, vcc_lo, s13, v2, vcc_lo
	global_store_b32 v[1:2], v0, off
.LBB137_14:
	s_nop 0
	s_sendmsg sendmsg(MSG_DEALLOC_VGPRS)
	s_endpgm
	.section	.rodata,"a",@progbits
	.p2align	6, 0x0
	.amdhsa_kernel _ZN9rocsparseL41csrmvn_lrb_medium_rows_warp_reduce_kernelILj256ELj64Eii18rocsparse_bfloat16S1_ffEEvbT1_lPT2_S4_jNS_24const_host_device_scalarIT6_EEPKS2_PKS3_PKT3_PKT4_S7_PT5_21rocsparse_index_base_b
		.amdhsa_group_segment_fixed_size 0
		.amdhsa_private_segment_fixed_size 0
		.amdhsa_kernarg_size 104
		.amdhsa_user_sgpr_count 15
		.amdhsa_user_sgpr_dispatch_ptr 0
		.amdhsa_user_sgpr_queue_ptr 0
		.amdhsa_user_sgpr_kernarg_segment_ptr 1
		.amdhsa_user_sgpr_dispatch_id 0
		.amdhsa_user_sgpr_private_segment_size 0
		.amdhsa_wavefront_size32 1
		.amdhsa_uses_dynamic_stack 0
		.amdhsa_enable_private_segment 0
		.amdhsa_system_sgpr_workgroup_id_x 1
		.amdhsa_system_sgpr_workgroup_id_y 0
		.amdhsa_system_sgpr_workgroup_id_z 0
		.amdhsa_system_sgpr_workgroup_info 0
		.amdhsa_system_vgpr_workitem_id 0
		.amdhsa_next_free_vgpr 11
		.amdhsa_next_free_sgpr 16
		.amdhsa_reserve_vcc 1
		.amdhsa_float_round_mode_32 0
		.amdhsa_float_round_mode_16_64 0
		.amdhsa_float_denorm_mode_32 3
		.amdhsa_float_denorm_mode_16_64 3
		.amdhsa_dx10_clamp 1
		.amdhsa_ieee_mode 1
		.amdhsa_fp16_overflow 0
		.amdhsa_workgroup_processor_mode 1
		.amdhsa_memory_ordered 1
		.amdhsa_forward_progress 0
		.amdhsa_shared_vgpr_count 0
		.amdhsa_exception_fp_ieee_invalid_op 0
		.amdhsa_exception_fp_denorm_src 0
		.amdhsa_exception_fp_ieee_div_zero 0
		.amdhsa_exception_fp_ieee_overflow 0
		.amdhsa_exception_fp_ieee_underflow 0
		.amdhsa_exception_fp_ieee_inexact 0
		.amdhsa_exception_int_div_zero 0
	.end_amdhsa_kernel
	.section	.text._ZN9rocsparseL41csrmvn_lrb_medium_rows_warp_reduce_kernelILj256ELj64Eii18rocsparse_bfloat16S1_ffEEvbT1_lPT2_S4_jNS_24const_host_device_scalarIT6_EEPKS2_PKS3_PKT3_PKT4_S7_PT5_21rocsparse_index_base_b,"axG",@progbits,_ZN9rocsparseL41csrmvn_lrb_medium_rows_warp_reduce_kernelILj256ELj64Eii18rocsparse_bfloat16S1_ffEEvbT1_lPT2_S4_jNS_24const_host_device_scalarIT6_EEPKS2_PKS3_PKT3_PKT4_S7_PT5_21rocsparse_index_base_b,comdat
.Lfunc_end137:
	.size	_ZN9rocsparseL41csrmvn_lrb_medium_rows_warp_reduce_kernelILj256ELj64Eii18rocsparse_bfloat16S1_ffEEvbT1_lPT2_S4_jNS_24const_host_device_scalarIT6_EEPKS2_PKS3_PKT3_PKT4_S7_PT5_21rocsparse_index_base_b, .Lfunc_end137-_ZN9rocsparseL41csrmvn_lrb_medium_rows_warp_reduce_kernelILj256ELj64Eii18rocsparse_bfloat16S1_ffEEvbT1_lPT2_S4_jNS_24const_host_device_scalarIT6_EEPKS2_PKS3_PKT3_PKT4_S7_PT5_21rocsparse_index_base_b
                                        ; -- End function
	.section	.AMDGPU.csdata,"",@progbits
; Kernel info:
; codeLenInByte = 912
; NumSgprs: 18
; NumVgprs: 11
; ScratchSize: 0
; MemoryBound: 0
; FloatMode: 240
; IeeeMode: 1
; LDSByteSize: 0 bytes/workgroup (compile time only)
; SGPRBlocks: 2
; VGPRBlocks: 1
; NumSGPRsForWavesPerEU: 18
; NumVGPRsForWavesPerEU: 11
; Occupancy: 16
; WaveLimiterHint : 1
; COMPUTE_PGM_RSRC2:SCRATCH_EN: 0
; COMPUTE_PGM_RSRC2:USER_SGPR: 15
; COMPUTE_PGM_RSRC2:TRAP_HANDLER: 0
; COMPUTE_PGM_RSRC2:TGID_X_EN: 1
; COMPUTE_PGM_RSRC2:TGID_Y_EN: 0
; COMPUTE_PGM_RSRC2:TGID_Z_EN: 0
; COMPUTE_PGM_RSRC2:TIDIG_COMP_CNT: 0
	.section	.text._ZN9rocsparseL29csrmvn_lrb_medium_rows_kernelILj256Eii18rocsparse_bfloat16S1_ffEEvbT0_PT1_S4_jNS_24const_host_device_scalarIT5_EEPKS2_PKS3_PKT2_PKT3_S7_PT4_21rocsparse_index_base_b,"axG",@progbits,_ZN9rocsparseL29csrmvn_lrb_medium_rows_kernelILj256Eii18rocsparse_bfloat16S1_ffEEvbT0_PT1_S4_jNS_24const_host_device_scalarIT5_EEPKS2_PKS3_PKT2_PKT3_S7_PT4_21rocsparse_index_base_b,comdat
	.globl	_ZN9rocsparseL29csrmvn_lrb_medium_rows_kernelILj256Eii18rocsparse_bfloat16S1_ffEEvbT0_PT1_S4_jNS_24const_host_device_scalarIT5_EEPKS2_PKS3_PKT2_PKT3_S7_PT4_21rocsparse_index_base_b ; -- Begin function _ZN9rocsparseL29csrmvn_lrb_medium_rows_kernelILj256Eii18rocsparse_bfloat16S1_ffEEvbT0_PT1_S4_jNS_24const_host_device_scalarIT5_EEPKS2_PKS3_PKT2_PKT3_S7_PT4_21rocsparse_index_base_b
	.p2align	8
	.type	_ZN9rocsparseL29csrmvn_lrb_medium_rows_kernelILj256Eii18rocsparse_bfloat16S1_ffEEvbT0_PT1_S4_jNS_24const_host_device_scalarIT5_EEPKS2_PKS3_PKT2_PKT3_S7_PT4_21rocsparse_index_base_b,@function
_ZN9rocsparseL29csrmvn_lrb_medium_rows_kernelILj256Eii18rocsparse_bfloat16S1_ffEEvbT0_PT1_S4_jNS_24const_host_device_scalarIT5_EEPKS2_PKS3_PKT2_PKT3_S7_PT4_21rocsparse_index_base_b: ; @_ZN9rocsparseL29csrmvn_lrb_medium_rows_kernelILj256Eii18rocsparse_bfloat16S1_ffEEvbT0_PT1_S4_jNS_24const_host_device_scalarIT5_EEPKS2_PKS3_PKT2_PKT3_S7_PT4_21rocsparse_index_base_b
; %bb.0:
	s_clause 0x2
	s_load_b64 s[12:13], s[0:1], 0x58
	s_load_b64 s[16:17], s[0:1], 0x20
	;; [unrolled: 1-line block ×3, first 2 shown]
	s_waitcnt lgkmcnt(0)
	s_bitcmp1_b32 s13, 0
	s_cselect_b32 s4, -1, 0
	s_delay_alu instid0(SALU_CYCLE_1)
	s_and_b32 vcc_lo, exec_lo, s4
	s_xor_b32 s4, s4, -1
	s_cbranch_vccnz .LBB138_2
; %bb.1:
	s_load_b32 s16, s[16:17], 0x0
.LBB138_2:
	s_and_not1_b32 vcc_lo, exec_lo, s4
	s_cbranch_vccnz .LBB138_4
; %bb.3:
	s_load_b32 s2, s[2:3], 0x0
.LBB138_4:
	s_waitcnt lgkmcnt(0)
	v_cmp_neq_f32_e64 s3, s16, 0
	v_cmp_neq_f32_e64 s4, s2, 1.0
	s_mov_b32 s5, 0
	s_delay_alu instid0(VALU_DEP_1) | instskip(NEXT) | instid1(SALU_CYCLE_1)
	s_or_b32 s3, s3, s4
	s_and_not1_b32 vcc_lo, exec_lo, s3
	s_cbranch_vccnz .LBB138_29
; %bb.5:
	s_clause 0x1
	s_load_b32 s4, s[0:1], 0x18
	s_load_b128 s[8:11], s[0:1], 0x8
	v_subrev_nc_u32_e32 v1, s12, v0
	v_mov_b32_e32 v3, 0
	s_waitcnt lgkmcnt(0)
	s_lshl_b64 s[4:5], s[4:5], 2
	s_delay_alu instid0(SALU_CYCLE_1)
	s_add_u32 s4, s10, s4
	s_addc_u32 s5, s11, s5
	s_load_b32 s3, s[4:5], 0x0
	s_waitcnt lgkmcnt(0)
	s_add_i32 s4, s3, s15
	s_mov_b32 s3, exec_lo
	s_ashr_i32 s5, s4, 31
	s_delay_alu instid0(SALU_CYCLE_1) | instskip(NEXT) | instid1(SALU_CYCLE_1)
	s_lshl_b64 s[4:5], s[4:5], 2
	s_add_u32 s4, s8, s4
	s_addc_u32 s5, s9, s5
	s_load_b32 s4, s[4:5], 0x0
	s_load_b64 s[6:7], s[0:1], 0x28
	s_waitcnt lgkmcnt(0)
	s_ashr_i32 s5, s4, 31
	s_delay_alu instid0(SALU_CYCLE_1) | instskip(NEXT) | instid1(SALU_CYCLE_1)
	s_lshl_b64 s[8:9], s[4:5], 2
	s_add_u32 s4, s6, s8
	s_addc_u32 s5, s7, s9
	s_load_b64 s[4:5], s[4:5], 0x0
	s_load_b64 s[10:11], s[0:1], 0x50
	s_waitcnt lgkmcnt(0)
	v_add_nc_u32_e32 v1, s4, v1
	s_sub_i32 s13, s5, s12
	s_delay_alu instid0(VALU_DEP_1) | instid1(SALU_CYCLE_1)
	v_cmpx_gt_i32_e64 s13, v1
	s_cbranch_execz .LBB138_9
; %bb.6:
	s_clause 0x1
	s_load_b128 s[4:7], s[0:1], 0x30
	s_load_b64 s[0:1], s[0:1], 0x40
	v_mov_b32_e32 v3, 0
	s_mov_b32 s14, 0
	s_set_inst_prefetch_distance 0x1
	.p2align	6
.LBB138_7:                              ; =>This Inner Loop Header: Depth=1
	v_ashrrev_i32_e32 v2, 31, v1
	s_delay_alu instid0(VALU_DEP_1) | instskip(SKIP_2) | instid1(VALU_DEP_2)
	v_lshlrev_b64 v[4:5], 2, v[1:2]
	v_lshlrev_b64 v[6:7], 1, v[1:2]
	s_waitcnt lgkmcnt(0)
	v_add_co_u32 v4, vcc_lo, s4, v4
	s_delay_alu instid0(VALU_DEP_3) | instskip(NEXT) | instid1(VALU_DEP_3)
	v_add_co_ci_u32_e32 v5, vcc_lo, s5, v5, vcc_lo
	v_add_co_u32 v6, vcc_lo, s6, v6
	s_delay_alu instid0(VALU_DEP_4)
	v_add_co_ci_u32_e32 v7, vcc_lo, s7, v7, vcc_lo
	global_load_b32 v4, v[4:5], off
	global_load_u16 v2, v[6:7], off
	s_waitcnt vmcnt(1)
	v_subrev_nc_u32_e32 v4, s12, v4
	s_waitcnt vmcnt(0)
	v_lshlrev_b32_e32 v2, 16, v2
	v_add_nc_u32_e32 v1, 0x100, v1
	s_delay_alu instid0(VALU_DEP_3) | instskip(NEXT) | instid1(VALU_DEP_3)
	v_ashrrev_i32_e32 v5, 31, v4
	v_mul_f32_e32 v2, s16, v2
	s_delay_alu instid0(VALU_DEP_2) | instskip(NEXT) | instid1(VALU_DEP_1)
	v_lshlrev_b64 v[4:5], 1, v[4:5]
	v_add_co_u32 v4, vcc_lo, s0, v4
	s_delay_alu instid0(VALU_DEP_2)
	v_add_co_ci_u32_e32 v5, vcc_lo, s1, v5, vcc_lo
	v_cmp_le_i32_e32 vcc_lo, s13, v1
	global_load_u16 v4, v[4:5], off
	s_or_b32 s14, vcc_lo, s14
	s_waitcnt vmcnt(0)
	v_lshlrev_b32_e32 v4, 16, v4
	s_delay_alu instid0(VALU_DEP_1)
	v_fmac_f32_e32 v3, v2, v4
	s_and_not1_b32 exec_lo, exec_lo, s14
	s_cbranch_execnz .LBB138_7
; %bb.8:
	s_set_inst_prefetch_distance 0x2
	s_or_b32 exec_lo, exec_lo, s14
.LBB138_9:
	s_delay_alu instid0(SALU_CYCLE_1)
	s_or_b32 exec_lo, exec_lo, s3
	v_lshlrev_b32_e32 v1, 2, v0
	s_mov_b32 s0, exec_lo
	ds_store_b32 v1, v3
	s_waitcnt lgkmcnt(0)
	s_barrier
	buffer_gl0_inv
	v_cmpx_gt_u32_e32 0x80, v0
	s_cbranch_execz .LBB138_11
; %bb.10:
	ds_load_2addr_stride64_b32 v[2:3], v1 offset1:2
	s_waitcnt lgkmcnt(0)
	v_add_f32_e32 v2, v2, v3
	ds_store_b32 v1, v2
.LBB138_11:
	s_or_b32 exec_lo, exec_lo, s0
	s_delay_alu instid0(SALU_CYCLE_1)
	s_mov_b32 s0, exec_lo
	s_waitcnt lgkmcnt(0)
	s_barrier
	buffer_gl0_inv
	v_cmpx_gt_u32_e32 64, v0
	s_cbranch_execz .LBB138_13
; %bb.12:
	ds_load_2addr_stride64_b32 v[2:3], v1 offset1:1
	s_waitcnt lgkmcnt(0)
	v_add_f32_e32 v2, v2, v3
	ds_store_b32 v1, v2
.LBB138_13:
	s_or_b32 exec_lo, exec_lo, s0
	s_delay_alu instid0(SALU_CYCLE_1)
	s_mov_b32 s0, exec_lo
	s_waitcnt lgkmcnt(0)
	s_barrier
	buffer_gl0_inv
	v_cmpx_gt_u32_e32 32, v0
	s_cbranch_execz .LBB138_15
; %bb.14:
	ds_load_2addr_b32 v[2:3], v1 offset1:32
	s_waitcnt lgkmcnt(0)
	v_add_f32_e32 v2, v2, v3
	ds_store_b32 v1, v2
.LBB138_15:
	s_or_b32 exec_lo, exec_lo, s0
	s_delay_alu instid0(SALU_CYCLE_1)
	s_mov_b32 s0, exec_lo
	s_waitcnt lgkmcnt(0)
	s_barrier
	buffer_gl0_inv
	v_cmpx_gt_u32_e32 16, v0
	s_cbranch_execz .LBB138_17
; %bb.16:
	ds_load_2addr_b32 v[2:3], v1 offset1:16
	s_waitcnt lgkmcnt(0)
	v_add_f32_e32 v2, v2, v3
	ds_store_b32 v1, v2
.LBB138_17:
	;; [unrolled: 14-line block ×5, first 2 shown]
	s_or_b32 exec_lo, exec_lo, s0
	v_cmp_eq_u32_e32 vcc_lo, 0, v0
	s_waitcnt lgkmcnt(0)
	s_barrier
	buffer_gl0_inv
	s_and_saveexec_b32 s0, vcc_lo
	s_cbranch_execz .LBB138_25
; %bb.24:
	v_mov_b32_e32 v2, 0
	ds_load_b64 v[0:1], v2
	s_waitcnt lgkmcnt(0)
	v_add_f32_e32 v0, v0, v1
	ds_store_b32 v2, v0
.LBB138_25:
	s_or_b32 exec_lo, exec_lo, s0
	s_waitcnt lgkmcnt(0)
	s_barrier
	buffer_gl0_inv
	s_and_saveexec_b32 s0, vcc_lo
	s_cbranch_execz .LBB138_29
; %bb.26:
	v_mov_b32_e32 v0, 0
	v_cmp_eq_f32_e64 s0, s2, 0
	ds_load_b32 v1, v0
	s_and_b32 vcc_lo, exec_lo, s0
	s_cbranch_vccnz .LBB138_28
; %bb.27:
	s_add_u32 s0, s10, s8
	s_addc_u32 s1, s11, s9
	s_load_b32 s0, s[0:1], 0x0
	s_waitcnt lgkmcnt(0)
	v_fmac_f32_e64 v1, s2, s0
.LBB138_28:
	s_add_u32 s0, s10, s8
	s_addc_u32 s1, s11, s9
	s_waitcnt lgkmcnt(0)
	global_store_b32 v0, v1, s[0:1]
.LBB138_29:
	s_nop 0
	s_sendmsg sendmsg(MSG_DEALLOC_VGPRS)
	s_endpgm
	.section	.rodata,"a",@progbits
	.p2align	6, 0x0
	.amdhsa_kernel _ZN9rocsparseL29csrmvn_lrb_medium_rows_kernelILj256Eii18rocsparse_bfloat16S1_ffEEvbT0_PT1_S4_jNS_24const_host_device_scalarIT5_EEPKS2_PKS3_PKT2_PKT3_S7_PT4_21rocsparse_index_base_b
		.amdhsa_group_segment_fixed_size 1024
		.amdhsa_private_segment_fixed_size 0
		.amdhsa_kernarg_size 96
		.amdhsa_user_sgpr_count 15
		.amdhsa_user_sgpr_dispatch_ptr 0
		.amdhsa_user_sgpr_queue_ptr 0
		.amdhsa_user_sgpr_kernarg_segment_ptr 1
		.amdhsa_user_sgpr_dispatch_id 0
		.amdhsa_user_sgpr_private_segment_size 0
		.amdhsa_wavefront_size32 1
		.amdhsa_uses_dynamic_stack 0
		.amdhsa_enable_private_segment 0
		.amdhsa_system_sgpr_workgroup_id_x 1
		.amdhsa_system_sgpr_workgroup_id_y 0
		.amdhsa_system_sgpr_workgroup_id_z 0
		.amdhsa_system_sgpr_workgroup_info 0
		.amdhsa_system_vgpr_workitem_id 0
		.amdhsa_next_free_vgpr 8
		.amdhsa_next_free_sgpr 18
		.amdhsa_reserve_vcc 1
		.amdhsa_float_round_mode_32 0
		.amdhsa_float_round_mode_16_64 0
		.amdhsa_float_denorm_mode_32 3
		.amdhsa_float_denorm_mode_16_64 3
		.amdhsa_dx10_clamp 1
		.amdhsa_ieee_mode 1
		.amdhsa_fp16_overflow 0
		.amdhsa_workgroup_processor_mode 1
		.amdhsa_memory_ordered 1
		.amdhsa_forward_progress 0
		.amdhsa_shared_vgpr_count 0
		.amdhsa_exception_fp_ieee_invalid_op 0
		.amdhsa_exception_fp_denorm_src 0
		.amdhsa_exception_fp_ieee_div_zero 0
		.amdhsa_exception_fp_ieee_overflow 0
		.amdhsa_exception_fp_ieee_underflow 0
		.amdhsa_exception_fp_ieee_inexact 0
		.amdhsa_exception_int_div_zero 0
	.end_amdhsa_kernel
	.section	.text._ZN9rocsparseL29csrmvn_lrb_medium_rows_kernelILj256Eii18rocsparse_bfloat16S1_ffEEvbT0_PT1_S4_jNS_24const_host_device_scalarIT5_EEPKS2_PKS3_PKT2_PKT3_S7_PT4_21rocsparse_index_base_b,"axG",@progbits,_ZN9rocsparseL29csrmvn_lrb_medium_rows_kernelILj256Eii18rocsparse_bfloat16S1_ffEEvbT0_PT1_S4_jNS_24const_host_device_scalarIT5_EEPKS2_PKS3_PKT2_PKT3_S7_PT4_21rocsparse_index_base_b,comdat
.Lfunc_end138:
	.size	_ZN9rocsparseL29csrmvn_lrb_medium_rows_kernelILj256Eii18rocsparse_bfloat16S1_ffEEvbT0_PT1_S4_jNS_24const_host_device_scalarIT5_EEPKS2_PKS3_PKT2_PKT3_S7_PT4_21rocsparse_index_base_b, .Lfunc_end138-_ZN9rocsparseL29csrmvn_lrb_medium_rows_kernelILj256Eii18rocsparse_bfloat16S1_ffEEvbT0_PT1_S4_jNS_24const_host_device_scalarIT5_EEPKS2_PKS3_PKT2_PKT3_S7_PT4_21rocsparse_index_base_b
                                        ; -- End function
	.section	.AMDGPU.csdata,"",@progbits
; Kernel info:
; codeLenInByte = 1124
; NumSgprs: 20
; NumVgprs: 8
; ScratchSize: 0
; MemoryBound: 0
; FloatMode: 240
; IeeeMode: 1
; LDSByteSize: 1024 bytes/workgroup (compile time only)
; SGPRBlocks: 2
; VGPRBlocks: 0
; NumSGPRsForWavesPerEU: 20
; NumVGPRsForWavesPerEU: 8
; Occupancy: 16
; WaveLimiterHint : 1
; COMPUTE_PGM_RSRC2:SCRATCH_EN: 0
; COMPUTE_PGM_RSRC2:USER_SGPR: 15
; COMPUTE_PGM_RSRC2:TRAP_HANDLER: 0
; COMPUTE_PGM_RSRC2:TGID_X_EN: 1
; COMPUTE_PGM_RSRC2:TGID_Y_EN: 0
; COMPUTE_PGM_RSRC2:TGID_Z_EN: 0
; COMPUTE_PGM_RSRC2:TIDIG_COMP_CNT: 0
	.section	.text._ZN9rocsparseL27csrmvn_lrb_long_rows_kernelIii18rocsparse_bfloat16S1_ffEEvbT_PjPT0_S5_jNS_24const_host_device_scalarIT4_EEPKS2_PKS4_PKT1_PKT2_S8_PT3_21rocsparse_index_base_b,"axG",@progbits,_ZN9rocsparseL27csrmvn_lrb_long_rows_kernelIii18rocsparse_bfloat16S1_ffEEvbT_PjPT0_S5_jNS_24const_host_device_scalarIT4_EEPKS2_PKS4_PKT1_PKT2_S8_PT3_21rocsparse_index_base_b,comdat
	.globl	_ZN9rocsparseL27csrmvn_lrb_long_rows_kernelIii18rocsparse_bfloat16S1_ffEEvbT_PjPT0_S5_jNS_24const_host_device_scalarIT4_EEPKS2_PKS4_PKT1_PKT2_S8_PT3_21rocsparse_index_base_b ; -- Begin function _ZN9rocsparseL27csrmvn_lrb_long_rows_kernelIii18rocsparse_bfloat16S1_ffEEvbT_PjPT0_S5_jNS_24const_host_device_scalarIT4_EEPKS2_PKS4_PKT1_PKT2_S8_PT3_21rocsparse_index_base_b
	.p2align	8
	.type	_ZN9rocsparseL27csrmvn_lrb_long_rows_kernelIii18rocsparse_bfloat16S1_ffEEvbT_PjPT0_S5_jNS_24const_host_device_scalarIT4_EEPKS2_PKS4_PKT1_PKT2_S8_PT3_21rocsparse_index_base_b,@function
_ZN9rocsparseL27csrmvn_lrb_long_rows_kernelIii18rocsparse_bfloat16S1_ffEEvbT_PjPT0_S5_jNS_24const_host_device_scalarIT4_EEPKS2_PKS4_PKT1_PKT2_S8_PT3_21rocsparse_index_base_b: ; @_ZN9rocsparseL27csrmvn_lrb_long_rows_kernelIii18rocsparse_bfloat16S1_ffEEvbT_PjPT0_S5_jNS_24const_host_device_scalarIT4_EEPKS2_PKS4_PKT1_PKT2_S8_PT3_21rocsparse_index_base_b
; %bb.0:
	s_mov_b32 s8, s15
	s_clause 0x2
	s_load_b64 s[14:15], s[0:1], 0x60
	s_load_b64 s[16:17], s[0:1], 0x28
	;; [unrolled: 1-line block ×3, first 2 shown]
	s_waitcnt lgkmcnt(0)
	s_bitcmp1_b32 s15, 0
	s_cselect_b32 s4, -1, 0
	s_delay_alu instid0(SALU_CYCLE_1)
	s_and_b32 vcc_lo, exec_lo, s4
	s_xor_b32 s4, s4, -1
	s_cbranch_vccnz .LBB139_2
; %bb.1:
	s_load_b32 s16, s[16:17], 0x0
.LBB139_2:
	s_and_not1_b32 vcc_lo, exec_lo, s4
	s_cbranch_vccnz .LBB139_4
; %bb.3:
	s_load_b32 s2, s[2:3], 0x0
.LBB139_4:
	s_waitcnt lgkmcnt(0)
	v_cmp_neq_f32_e64 s3, s16, 0
	v_cmp_neq_f32_e64 s4, s2, 1.0
	s_mov_b32 s5, 0
	s_delay_alu instid0(VALU_DEP_1) | instskip(NEXT) | instid1(SALU_CYCLE_1)
	s_or_b32 s3, s3, s4
	s_and_not1_b32 vcc_lo, exec_lo, s3
	s_cbranch_vccnz .LBB139_39
; %bb.5:
	s_clause 0x1
	s_load_b32 s4, s[0:1], 0x20
	s_load_b64 s[6:7], s[0:1], 0x18
	v_mov_b32_e32 v3, 0
	s_waitcnt lgkmcnt(0)
	s_lshl_b64 s[10:11], s[4:5], 2
	s_delay_alu instid0(SALU_CYCLE_1) | instskip(SKIP_4) | instid1(SALU_CYCLE_1)
	s_add_u32 s6, s6, s10
	s_addc_u32 s7, s7, s11
	s_lshl_b32 s3, -1, s4
	s_load_b32 s10, s[6:7], 0x0
	s_not_b32 s3, s3
	s_mul_hi_u32 s3, s3, 0x2aaaaaab
	s_delay_alu instid0(SALU_CYCLE_1) | instskip(NEXT) | instid1(SALU_CYCLE_1)
	s_lshr_b32 s3, s3, 7
	s_add_i32 s9, s3, 1
	s_not_b32 s3, s3
	v_cvt_f32_u32_e32 v1, s9
	s_delay_alu instid0(VALU_DEP_1) | instskip(SKIP_2) | instid1(VALU_DEP_1)
	v_rcp_iflag_f32_e32 v1, v1
	s_waitcnt_depctr 0xfff
	v_mul_f32_e32 v1, 0x4f7ffffe, v1
	v_cvt_u32_f32_e32 v1, v1
	s_delay_alu instid0(VALU_DEP_1) | instskip(NEXT) | instid1(VALU_DEP_1)
	v_readfirstlane_b32 s4, v1
	s_mul_i32 s3, s3, s4
	s_delay_alu instid0(SALU_CYCLE_1) | instskip(NEXT) | instid1(SALU_CYCLE_1)
	s_mul_hi_u32 s3, s4, s3
	s_add_i32 s4, s4, s3
	s_delay_alu instid0(SALU_CYCLE_1) | instskip(SKIP_4) | instid1(SALU_CYCLE_1)
	s_mul_hi_u32 s3, s8, s4
	s_load_b128 s[4:7], s[0:1], 0x8
	s_mul_i32 s11, s3, s9
	s_add_i32 s12, s3, 1
	s_sub_i32 s11, s8, s11
	s_sub_i32 s13, s11, s9
	s_cmp_ge_u32 s11, s9
	s_cselect_b32 s3, s12, s3
	s_cselect_b32 s11, s13, s11
	s_add_i32 s12, s3, 1
	s_cmp_ge_u32 s11, s9
	s_cselect_b32 s3, s12, s3
	s_waitcnt lgkmcnt(0)
	s_add_i32 s10, s3, s10
	s_mul_i32 s12, s3, s9
	s_ashr_i32 s11, s10, 31
	s_sub_i32 s17, s8, s12
	s_lshl_b64 s[10:11], s[10:11], 2
	v_or_b32_e32 v1, s17, v0
	s_add_u32 s6, s6, s10
	s_addc_u32 s7, s7, s11
	s_load_b32 s6, s[6:7], 0x0
	s_load_b64 s[10:11], s[0:1], 0x30
	s_mov_b32 s3, exec_lo
	s_waitcnt lgkmcnt(0)
	s_ashr_i32 s7, s6, 31
	s_delay_alu instid0(SALU_CYCLE_1) | instskip(NEXT) | instid1(SALU_CYCLE_1)
	s_lshl_b64 s[6:7], s[6:7], 2
	s_add_u32 s18, s10, s6
	s_addc_u32 s19, s11, s7
	s_ashr_i32 s9, s8, 31
	s_delay_alu instid0(SALU_CYCLE_1)
	s_lshl_b64 s[10:11], s[8:9], 2
	s_load_b64 s[8:9], s[0:1], 0x58
	s_add_u32 s10, s4, s10
	s_addc_u32 s11, s5, s11
	s_load_b64 s[18:19], s[18:19], 0x0
	s_load_b32 s15, s[10:11], 0x0
	v_cmpx_eq_u32_e32 0, v1
	s_cbranch_execz .LBB139_9
; %bb.6:
	s_waitcnt lgkmcnt(0)
	s_add_u32 s22, s8, s6
	s_addc_u32 s23, s9, s7
	s_mov_b32 s21, exec_lo
	s_load_b32 s20, s[22:23], 0x0
	v_mbcnt_lo_u32_b32 v2, s21, 0
	v_add_f32_e64 v1, s2, -1.0
	s_mov_b32 s2, exec_lo
	s_waitcnt vmcnt(0) expcnt(0) lgkmcnt(0)
	s_delay_alu instid0(VALU_DEP_2)
	v_cmpx_eq_u32_e32 0, v2
	s_cbranch_execz .LBB139_8
; %bb.7:
	s_ashr_i32 s13, s12, 31
	s_delay_alu instid0(SALU_CYCLE_1) | instskip(NEXT) | instid1(SALU_CYCLE_1)
	s_lshl_b64 s[22:23], s[12:13], 2
	s_add_u32 s22, s4, s22
	s_addc_u32 s23, s5, s23
	s_bcnt1_i32_b32 s13, s21
	s_delay_alu instid0(SALU_CYCLE_1) | instskip(NEXT) | instid1(SALU_CYCLE_1)
	s_and_b32 s13, s13, 1
	v_dual_mov_b32 v2, 0 :: v_dual_mov_b32 v3, s13
	global_atomic_xor_b32 v2, v3, s[22:23]
.LBB139_8:
	s_or_b32 exec_lo, exec_lo, s2
	v_mul_f32_e32 v3, s20, v1
.LBB139_9:
	s_or_b32 exec_lo, exec_lo, s3
	s_mul_i32 s2, s17, 0x300
	s_waitcnt lgkmcnt(0)
	s_sub_i32 s3, s19, s14
	s_sub_i32 s2, s2, s14
	s_mov_b32 s13, exec_lo
	s_add_i32 s2, s2, s18
	s_delay_alu instid0(SALU_CYCLE_1) | instskip(SKIP_1) | instid1(SALU_CYCLE_1)
	v_add_nc_u32_e32 v1, s2, v0
	s_addk_i32 s2, 0x300
	s_min_i32 s20, s2, s3
	s_delay_alu instid0(VALU_DEP_1) | instid1(SALU_CYCLE_1)
	v_cmpx_gt_i32_e64 s20, v1
	s_cbranch_execz .LBB139_13
; %bb.10:
	s_clause 0x1
	s_load_b64 s[18:19], s[0:1], 0x48
	s_load_b128 s[0:3], s[0:1], 0x38
	s_mov_b32 s21, 0
	s_set_inst_prefetch_distance 0x1
	.p2align	6
.LBB139_11:                             ; =>This Inner Loop Header: Depth=1
	v_ashrrev_i32_e32 v2, 31, v1
	s_delay_alu instid0(VALU_DEP_1) | instskip(SKIP_2) | instid1(VALU_DEP_2)
	v_lshlrev_b64 v[4:5], 2, v[1:2]
	v_lshlrev_b64 v[6:7], 1, v[1:2]
	s_waitcnt lgkmcnt(0)
	v_add_co_u32 v4, vcc_lo, s0, v4
	s_delay_alu instid0(VALU_DEP_3) | instskip(NEXT) | instid1(VALU_DEP_3)
	v_add_co_ci_u32_e32 v5, vcc_lo, s1, v5, vcc_lo
	v_add_co_u32 v6, vcc_lo, s2, v6
	s_delay_alu instid0(VALU_DEP_4)
	v_add_co_ci_u32_e32 v7, vcc_lo, s3, v7, vcc_lo
	global_load_b32 v4, v[4:5], off
	global_load_u16 v2, v[6:7], off
	s_waitcnt vmcnt(1)
	v_subrev_nc_u32_e32 v4, s14, v4
	s_waitcnt vmcnt(0)
	v_lshlrev_b32_e32 v2, 16, v2
	v_add_nc_u32_e32 v1, 0x100, v1
	s_delay_alu instid0(VALU_DEP_3) | instskip(NEXT) | instid1(VALU_DEP_3)
	v_ashrrev_i32_e32 v5, 31, v4
	v_mul_f32_e32 v2, s16, v2
	s_delay_alu instid0(VALU_DEP_2) | instskip(NEXT) | instid1(VALU_DEP_1)
	v_lshlrev_b64 v[4:5], 1, v[4:5]
	v_add_co_u32 v4, vcc_lo, s18, v4
	s_delay_alu instid0(VALU_DEP_2)
	v_add_co_ci_u32_e32 v5, vcc_lo, s19, v5, vcc_lo
	v_cmp_le_i32_e32 vcc_lo, s20, v1
	global_load_u16 v4, v[4:5], off
	s_or_b32 s21, vcc_lo, s21
	s_waitcnt vmcnt(0)
	v_lshlrev_b32_e32 v4, 16, v4
	s_delay_alu instid0(VALU_DEP_1)
	v_fmac_f32_e32 v3, v2, v4
	s_and_not1_b32 exec_lo, exec_lo, s21
	s_cbranch_execnz .LBB139_11
; %bb.12:
	s_set_inst_prefetch_distance 0x2
	s_or_b32 exec_lo, exec_lo, s21
.LBB139_13:
	s_delay_alu instid0(SALU_CYCLE_1)
	s_or_b32 exec_lo, exec_lo, s13
	v_lshlrev_b32_e32 v1, 2, v0
	s_mov_b32 s0, exec_lo
	ds_store_b32 v1, v3
	s_waitcnt lgkmcnt(0)
	s_waitcnt_vscnt null, 0x0
	s_barrier
	buffer_gl0_inv
	v_cmpx_gt_u32_e32 0x80, v0
	s_cbranch_execz .LBB139_15
; %bb.14:
	ds_load_2addr_stride64_b32 v[2:3], v1 offset1:2
	s_waitcnt lgkmcnt(0)
	v_add_f32_e32 v2, v2, v3
	ds_store_b32 v1, v2
.LBB139_15:
	s_or_b32 exec_lo, exec_lo, s0
	s_delay_alu instid0(SALU_CYCLE_1)
	s_mov_b32 s0, exec_lo
	s_waitcnt lgkmcnt(0)
	s_barrier
	buffer_gl0_inv
	v_cmpx_gt_u32_e32 64, v0
	s_cbranch_execz .LBB139_17
; %bb.16:
	ds_load_2addr_stride64_b32 v[2:3], v1 offset1:1
	s_waitcnt lgkmcnt(0)
	v_add_f32_e32 v2, v2, v3
	ds_store_b32 v1, v2
.LBB139_17:
	s_or_b32 exec_lo, exec_lo, s0
	s_delay_alu instid0(SALU_CYCLE_1)
	s_mov_b32 s0, exec_lo
	s_waitcnt lgkmcnt(0)
	s_barrier
	buffer_gl0_inv
	v_cmpx_gt_u32_e32 32, v0
	s_cbranch_execz .LBB139_19
; %bb.18:
	ds_load_2addr_b32 v[2:3], v1 offset1:32
	s_waitcnt lgkmcnt(0)
	v_add_f32_e32 v2, v2, v3
	ds_store_b32 v1, v2
.LBB139_19:
	s_or_b32 exec_lo, exec_lo, s0
	s_delay_alu instid0(SALU_CYCLE_1)
	s_mov_b32 s0, exec_lo
	s_waitcnt lgkmcnt(0)
	s_barrier
	buffer_gl0_inv
	v_cmpx_gt_u32_e32 16, v0
	s_cbranch_execz .LBB139_21
; %bb.20:
	ds_load_2addr_b32 v[2:3], v1 offset1:16
	s_waitcnt lgkmcnt(0)
	v_add_f32_e32 v2, v2, v3
	ds_store_b32 v1, v2
.LBB139_21:
	;; [unrolled: 14-line block ×5, first 2 shown]
	s_or_b32 exec_lo, exec_lo, s0
	v_cmp_eq_u32_e32 vcc_lo, 0, v0
	s_waitcnt lgkmcnt(0)
	s_barrier
	buffer_gl0_inv
	s_and_saveexec_b32 s0, vcc_lo
	s_cbranch_execz .LBB139_29
; %bb.28:
	v_mov_b32_e32 v2, 0
	ds_load_b64 v[0:1], v2
	s_waitcnt lgkmcnt(0)
	v_add_f32_e32 v0, v0, v1
	ds_store_b32 v2, v0
.LBB139_29:
	s_or_b32 exec_lo, exec_lo, s0
	s_waitcnt lgkmcnt(0)
	s_barrier
	buffer_gl0_inv
	s_and_saveexec_b32 s0, vcc_lo
	s_cbranch_execz .LBB139_39
; %bb.30:
	s_cmp_eq_u32 s17, 0
	s_cbranch_scc1 .LBB139_36
; %bb.31:
	s_ashr_i32 s13, s12, 31
	v_mov_b32_e32 v0, 0
	s_lshl_b64 s[0:1], s[12:13], 2
	s_delay_alu instid0(SALU_CYCLE_1)
	s_add_u32 s0, s4, s0
	s_addc_u32 s1, s5, s1
	s_branch .LBB139_33
.LBB139_32:                             ;   in Loop: Header=BB139_33 Depth=1
	s_or_b32 exec_lo, exec_lo, s2
	s_waitcnt vmcnt(0)
	v_readfirstlane_b32 s2, v1
	s_delay_alu instid0(VALU_DEP_1)
	s_cmp_eq_u32 s2, s15
	s_cbranch_scc0 .LBB139_35
.LBB139_33:                             ; =>This Inner Loop Header: Depth=1
	v_mbcnt_lo_u32_b32 v1, exec_lo, 0
	s_delay_alu instid0(VALU_DEP_1)
	v_cmp_eq_u32_e32 vcc_lo, 0, v1
                                        ; implicit-def: $vgpr1
	s_and_saveexec_b32 s2, vcc_lo
	s_cbranch_execz .LBB139_32
; %bb.34:                               ;   in Loop: Header=BB139_33 Depth=1
	global_load_b32 v1, v0, s[0:1] glc
	s_branch .LBB139_32
.LBB139_35:
	v_mov_b32_e32 v0, 0
	global_load_b32 v1, v0, s[10:11]
	s_waitcnt vmcnt(0)
	v_xor_b32_e32 v1, 1, v1
	global_store_b32 v0, v1, s[10:11]
.LBB139_36:
	s_mov_b32 s2, exec_lo
	s_delay_alu instid0(SALU_CYCLE_1) | instskip(NEXT) | instid1(VALU_DEP_1)
	v_mbcnt_lo_u32_b32 v0, s2, 0
	v_cmp_eq_u32_e32 vcc_lo, 0, v0
	s_and_b32 s0, exec_lo, vcc_lo
	s_delay_alu instid0(SALU_CYCLE_1)
	s_mov_b32 exec_lo, s0
	s_cbranch_execz .LBB139_39
; %bb.37:
	s_add_u32 s0, s8, s6
	s_addc_u32 s1, s9, s7
	s_bcnt1_i32_b32 s2, s2
	s_delay_alu instid0(SALU_CYCLE_1)
	v_cvt_f32_ubyte0_e32 v3, s2
	v_mov_b32_e32 v2, 0
	s_mov_b32 s2, 0
	global_load_b32 v1, v2, s[0:1]
	ds_load_b32 v0, v2
	s_waitcnt lgkmcnt(0)
	v_mul_f32_e32 v3, v0, v3
.LBB139_38:                             ; =>This Inner Loop Header: Depth=1
	s_waitcnt vmcnt(0)
	s_delay_alu instid0(VALU_DEP_1)
	v_add_f32_e32 v0, v1, v3
	global_atomic_cmpswap_b32 v0, v2, v[0:1], s[0:1] glc
	s_waitcnt vmcnt(0)
	v_cmp_eq_u32_e32 vcc_lo, v0, v1
	v_mov_b32_e32 v1, v0
	s_or_b32 s2, vcc_lo, s2
	s_delay_alu instid0(SALU_CYCLE_1)
	s_and_not1_b32 exec_lo, exec_lo, s2
	s_cbranch_execnz .LBB139_38
.LBB139_39:
	s_nop 0
	s_sendmsg sendmsg(MSG_DEALLOC_VGPRS)
	s_endpgm
	.section	.rodata,"a",@progbits
	.p2align	6, 0x0
	.amdhsa_kernel _ZN9rocsparseL27csrmvn_lrb_long_rows_kernelIii18rocsparse_bfloat16S1_ffEEvbT_PjPT0_S5_jNS_24const_host_device_scalarIT4_EEPKS2_PKS4_PKT1_PKT2_S8_PT3_21rocsparse_index_base_b
		.amdhsa_group_segment_fixed_size 1024
		.amdhsa_private_segment_fixed_size 0
		.amdhsa_kernarg_size 104
		.amdhsa_user_sgpr_count 15
		.amdhsa_user_sgpr_dispatch_ptr 0
		.amdhsa_user_sgpr_queue_ptr 0
		.amdhsa_user_sgpr_kernarg_segment_ptr 1
		.amdhsa_user_sgpr_dispatch_id 0
		.amdhsa_user_sgpr_private_segment_size 0
		.amdhsa_wavefront_size32 1
		.amdhsa_uses_dynamic_stack 0
		.amdhsa_enable_private_segment 0
		.amdhsa_system_sgpr_workgroup_id_x 1
		.amdhsa_system_sgpr_workgroup_id_y 0
		.amdhsa_system_sgpr_workgroup_id_z 0
		.amdhsa_system_sgpr_workgroup_info 0
		.amdhsa_system_vgpr_workitem_id 0
		.amdhsa_next_free_vgpr 8
		.amdhsa_next_free_sgpr 24
		.amdhsa_reserve_vcc 1
		.amdhsa_float_round_mode_32 0
		.amdhsa_float_round_mode_16_64 0
		.amdhsa_float_denorm_mode_32 3
		.amdhsa_float_denorm_mode_16_64 3
		.amdhsa_dx10_clamp 1
		.amdhsa_ieee_mode 1
		.amdhsa_fp16_overflow 0
		.amdhsa_workgroup_processor_mode 1
		.amdhsa_memory_ordered 1
		.amdhsa_forward_progress 0
		.amdhsa_shared_vgpr_count 0
		.amdhsa_exception_fp_ieee_invalid_op 0
		.amdhsa_exception_fp_denorm_src 0
		.amdhsa_exception_fp_ieee_div_zero 0
		.amdhsa_exception_fp_ieee_overflow 0
		.amdhsa_exception_fp_ieee_underflow 0
		.amdhsa_exception_fp_ieee_inexact 0
		.amdhsa_exception_int_div_zero 0
	.end_amdhsa_kernel
	.section	.text._ZN9rocsparseL27csrmvn_lrb_long_rows_kernelIii18rocsparse_bfloat16S1_ffEEvbT_PjPT0_S5_jNS_24const_host_device_scalarIT4_EEPKS2_PKS4_PKT1_PKT2_S8_PT3_21rocsparse_index_base_b,"axG",@progbits,_ZN9rocsparseL27csrmvn_lrb_long_rows_kernelIii18rocsparse_bfloat16S1_ffEEvbT_PjPT0_S5_jNS_24const_host_device_scalarIT4_EEPKS2_PKS4_PKT1_PKT2_S8_PT3_21rocsparse_index_base_b,comdat
.Lfunc_end139:
	.size	_ZN9rocsparseL27csrmvn_lrb_long_rows_kernelIii18rocsparse_bfloat16S1_ffEEvbT_PjPT0_S5_jNS_24const_host_device_scalarIT4_EEPKS2_PKS4_PKT1_PKT2_S8_PT3_21rocsparse_index_base_b, .Lfunc_end139-_ZN9rocsparseL27csrmvn_lrb_long_rows_kernelIii18rocsparse_bfloat16S1_ffEEvbT_PjPT0_S5_jNS_24const_host_device_scalarIT4_EEPKS2_PKS4_PKT1_PKT2_S8_PT3_21rocsparse_index_base_b
                                        ; -- End function
	.section	.AMDGPU.csdata,"",@progbits
; Kernel info:
; codeLenInByte = 1644
; NumSgprs: 26
; NumVgprs: 8
; ScratchSize: 0
; MemoryBound: 0
; FloatMode: 240
; IeeeMode: 1
; LDSByteSize: 1024 bytes/workgroup (compile time only)
; SGPRBlocks: 3
; VGPRBlocks: 0
; NumSGPRsForWavesPerEU: 26
; NumVGPRsForWavesPerEU: 8
; Occupancy: 16
; WaveLimiterHint : 1
; COMPUTE_PGM_RSRC2:SCRATCH_EN: 0
; COMPUTE_PGM_RSRC2:USER_SGPR: 15
; COMPUTE_PGM_RSRC2:TRAP_HANDLER: 0
; COMPUTE_PGM_RSRC2:TGID_X_EN: 1
; COMPUTE_PGM_RSRC2:TGID_Y_EN: 0
; COMPUTE_PGM_RSRC2:TGID_Z_EN: 0
; COMPUTE_PGM_RSRC2:TIDIG_COMP_CNT: 0
	.section	.text._ZN9rocsparseL28csrmvn_lrb_short_rows_kernelIli18rocsparse_bfloat16S1_ffEEvbT_PT0_S4_jNS_24const_host_device_scalarIT4_EEPKS2_PKS3_PKT1_PKT2_S7_PT3_21rocsparse_index_base_b,"axG",@progbits,_ZN9rocsparseL28csrmvn_lrb_short_rows_kernelIli18rocsparse_bfloat16S1_ffEEvbT_PT0_S4_jNS_24const_host_device_scalarIT4_EEPKS2_PKS3_PKT1_PKT2_S7_PT3_21rocsparse_index_base_b,comdat
	.globl	_ZN9rocsparseL28csrmvn_lrb_short_rows_kernelIli18rocsparse_bfloat16S1_ffEEvbT_PT0_S4_jNS_24const_host_device_scalarIT4_EEPKS2_PKS3_PKT1_PKT2_S7_PT3_21rocsparse_index_base_b ; -- Begin function _ZN9rocsparseL28csrmvn_lrb_short_rows_kernelIli18rocsparse_bfloat16S1_ffEEvbT_PT0_S4_jNS_24const_host_device_scalarIT4_EEPKS2_PKS3_PKT1_PKT2_S7_PT3_21rocsparse_index_base_b
	.p2align	8
	.type	_ZN9rocsparseL28csrmvn_lrb_short_rows_kernelIli18rocsparse_bfloat16S1_ffEEvbT_PT0_S4_jNS_24const_host_device_scalarIT4_EEPKS2_PKS3_PKT1_PKT2_S7_PT3_21rocsparse_index_base_b,@function
_ZN9rocsparseL28csrmvn_lrb_short_rows_kernelIli18rocsparse_bfloat16S1_ffEEvbT_PT0_S4_jNS_24const_host_device_scalarIT4_EEPKS2_PKS3_PKT1_PKT2_S7_PT3_21rocsparse_index_base_b: ; @_ZN9rocsparseL28csrmvn_lrb_short_rows_kernelIli18rocsparse_bfloat16S1_ffEEvbT_PT0_S4_jNS_24const_host_device_scalarIT4_EEPKS2_PKS3_PKT1_PKT2_S7_PT3_21rocsparse_index_base_b
; %bb.0:
	s_clause 0x2
	s_load_b64 s[20:21], s[0:1], 0x60
	s_load_b64 s[22:23], s[0:1], 0x28
	s_load_b64 s[2:3], s[0:1], 0x50
	s_waitcnt lgkmcnt(0)
	s_bitcmp1_b32 s21, 0
	s_cselect_b32 s4, -1, 0
	s_delay_alu instid0(SALU_CYCLE_1)
	s_and_b32 vcc_lo, exec_lo, s4
	s_xor_b32 s4, s4, -1
	s_cbranch_vccnz .LBB140_2
; %bb.1:
	s_load_b32 s22, s[22:23], 0x0
.LBB140_2:
	s_and_not1_b32 vcc_lo, exec_lo, s4
	s_cbranch_vccnz .LBB140_4
; %bb.3:
	s_load_b32 s2, s[2:3], 0x0
.LBB140_4:
	s_waitcnt lgkmcnt(0)
	v_cmp_neq_f32_e64 s3, s22, 0
	v_cmp_neq_f32_e64 s4, s2, 1.0
	s_mov_b32 s13, 0
	s_delay_alu instid0(VALU_DEP_1) | instskip(NEXT) | instid1(SALU_CYCLE_1)
	s_or_b32 s3, s3, s4
	s_and_not1_b32 vcc_lo, exec_lo, s3
	s_cbranch_vccnz .LBB140_18
; %bb.5:
	s_clause 0x1
	s_load_b32 s12, s[0:1], 0x20
	s_load_b128 s[16:19], s[0:1], 0x10
	s_mov_b32 s7, s13
	s_waitcnt lgkmcnt(0)
	s_lshl_b64 s[4:5], s[12:13], 2
	s_delay_alu instid0(SALU_CYCLE_1) | instskip(SKIP_2) | instid1(SALU_CYCLE_1)
	s_add_u32 s4, s18, s4
	s_addc_u32 s5, s19, s5
	s_add_i32 s6, s12, 1
	s_lshl_b64 s[6:7], s[6:7], 2
	s_delay_alu instid0(SALU_CYCLE_1)
	s_add_u32 s6, s18, s6
	s_addc_u32 s7, s19, s7
	s_clause 0x1
	s_load_b32 s3, s[4:5], 0x0
	s_load_b32 s4, s[6:7], 0x0
	s_lshl_b32 s13, s15, 8
	s_delay_alu instid0(SALU_CYCLE_1) | instskip(SKIP_2) | instid1(SALU_CYCLE_1)
	s_add_i32 s5, s13, 0x100
	s_waitcnt lgkmcnt(0)
	s_sub_i32 s4, s4, s3
	s_min_u32 s14, s4, s5
	s_cmp_gt_u32 s12, 23
	s_cbranch_scc1 .LBB140_12
; %bb.6:
	s_load_b256 s[4:11], s[0:1], 0x30
	v_mov_b32_e32 v5, 0
	v_bfe_u32 v6, v0, 0, s12
	v_lshl_add_u32 v8, v0, 2, 0
	s_lshl_b32 s15, 0x100, s12
	s_mov_b32 s18, 0
	v_mov_b32_e32 v7, v5
	s_branch .LBB140_9
.LBB140_7:                              ;   in Loop: Header=BB140_9 Depth=1
	s_or_b32 exec_lo, exec_lo, s21
	ds_store_b32 v8, v3
.LBB140_8:                              ;   in Loop: Header=BB140_9 Depth=1
	s_or_b32 exec_lo, exec_lo, s19
	v_add_nc_u32_e32 v8, 0x400, v8
	s_addk_i32 s18, 0x100
	s_delay_alu instid0(SALU_CYCLE_1)
	s_cmp_ge_u32 s18, s15
	s_cbranch_scc1 .LBB140_12
.LBB140_9:                              ; =>This Inner Loop Header: Depth=1
	v_add_nc_u32_e32 v1, s18, v0
	s_mov_b32 s19, exec_lo
	s_delay_alu instid0(VALU_DEP_1) | instskip(NEXT) | instid1(VALU_DEP_1)
	v_lshrrev_b32_e32 v1, s12, v1
	v_add_nc_u32_e32 v1, s13, v1
	s_delay_alu instid0(VALU_DEP_1)
	v_cmpx_gt_u32_e64 s14, v1
	s_cbranch_execz .LBB140_8
; %bb.10:                               ;   in Loop: Header=BB140_9 Depth=1
	v_add_nc_u32_e32 v4, s3, v1
	s_delay_alu instid0(VALU_DEP_1) | instskip(NEXT) | instid1(VALU_DEP_1)
	v_lshlrev_b64 v[1:2], 2, v[4:5]
	v_add_co_u32 v1, vcc_lo, s16, v1
	s_delay_alu instid0(VALU_DEP_2) | instskip(SKIP_3) | instid1(VALU_DEP_1)
	v_add_co_ci_u32_e32 v2, vcc_lo, s17, v2, vcc_lo
	global_load_b32 v1, v[1:2], off
	s_waitcnt vmcnt(0)
	v_ashrrev_i32_e32 v2, 31, v1
	v_lshlrev_b64 v[1:2], 3, v[1:2]
	s_waitcnt lgkmcnt(0)
	s_delay_alu instid0(VALU_DEP_1) | instskip(NEXT) | instid1(VALU_DEP_2)
	v_add_co_u32 v1, vcc_lo, s4, v1
	v_add_co_ci_u32_e32 v2, vcc_lo, s5, v2, vcc_lo
	global_load_b128 v[1:4], v[1:2], off
	s_waitcnt vmcnt(0)
	v_sub_co_u32 v3, vcc_lo, v3, v1
	v_sub_co_ci_u32_e32 v4, vcc_lo, v4, v2, vcc_lo
	s_delay_alu instid0(VALU_DEP_1)
	v_cmp_gt_i64_e32 vcc_lo, v[3:4], v[6:7]
	v_mov_b32_e32 v3, 0
	s_and_saveexec_b32 s21, vcc_lo
	s_cbranch_execz .LBB140_7
; %bb.11:                               ;   in Loop: Header=BB140_9 Depth=1
	v_sub_co_u32 v1, vcc_lo, v1, s20
	v_subrev_co_ci_u32_e32 v2, vcc_lo, 0, v2, vcc_lo
	s_delay_alu instid0(VALU_DEP_2) | instskip(NEXT) | instid1(VALU_DEP_2)
	v_add_co_u32 v1, vcc_lo, v1, v6
	v_add_co_ci_u32_e32 v2, vcc_lo, 0, v2, vcc_lo
	s_delay_alu instid0(VALU_DEP_1) | instskip(SKIP_1) | instid1(VALU_DEP_2)
	v_lshlrev_b64 v[3:4], 2, v[1:2]
	v_lshlrev_b64 v[1:2], 1, v[1:2]
	v_add_co_u32 v3, vcc_lo, s6, v3
	s_delay_alu instid0(VALU_DEP_3) | instskip(NEXT) | instid1(VALU_DEP_3)
	v_add_co_ci_u32_e32 v4, vcc_lo, s7, v4, vcc_lo
	v_add_co_u32 v1, vcc_lo, s8, v1
	s_delay_alu instid0(VALU_DEP_4) | instskip(SKIP_4) | instid1(VALU_DEP_1)
	v_add_co_ci_u32_e32 v2, vcc_lo, s9, v2, vcc_lo
	global_load_b32 v3, v[3:4], off
	global_load_u16 v9, v[1:2], off
	s_waitcnt vmcnt(1)
	v_subrev_nc_u32_e32 v3, s20, v3
	v_ashrrev_i32_e32 v4, 31, v3
	s_delay_alu instid0(VALU_DEP_1) | instskip(NEXT) | instid1(VALU_DEP_1)
	v_lshlrev_b64 v[3:4], 1, v[3:4]
	v_add_co_u32 v1, vcc_lo, s10, v3
	s_delay_alu instid0(VALU_DEP_2) | instskip(SKIP_4) | instid1(VALU_DEP_1)
	v_add_co_ci_u32_e32 v2, vcc_lo, s11, v4, vcc_lo
	global_load_u16 v1, v[1:2], off
	s_waitcnt vmcnt(1)
	v_lshlrev_b32_e32 v2, 16, v9
	s_waitcnt vmcnt(0)
	v_dual_mul_f32 v2, s22, v2 :: v_dual_lshlrev_b32 v1, 16, v1
	s_delay_alu instid0(VALU_DEP_1)
	v_mul_f32_e32 v3, v2, v1
	s_branch .LBB140_7
.LBB140_12:
	s_waitcnt lgkmcnt(0)
	s_sub_i32 s4, s14, s13
	s_delay_alu instid0(SALU_CYCLE_1)
	v_cmp_gt_u32_e32 vcc_lo, s4, v0
	s_barrier
	buffer_gl0_inv
	s_and_saveexec_b32 s4, vcc_lo
	s_cbranch_execz .LBB140_18
; %bb.13:
	v_add3_u32 v1, s3, s13, v0
	v_mov_b32_e32 v2, 0
	s_load_b64 s[0:1], s[0:1], 0x58
	v_lshlrev_b32_e32 v0, s12, v0
	s_mov_b32 s3, 1
	s_delay_alu instid0(VALU_DEP_2) | instskip(NEXT) | instid1(VALU_DEP_2)
	v_lshlrev_b64 v[3:4], 2, v[1:2]
	v_lshl_add_u32 v0, v0, 2, 0
	s_delay_alu instid0(VALU_DEP_2) | instskip(NEXT) | instid1(VALU_DEP_3)
	v_add_co_u32 v3, vcc_lo, s16, v3
	v_add_co_ci_u32_e32 v4, vcc_lo, s17, v4, vcc_lo
	global_load_b32 v3, v[3:4], off
.LBB140_14:                             ; =>This Inner Loop Header: Depth=1
	ds_load_b32 v1, v0
	v_add_nc_u32_e32 v0, 4, v0
	s_lshr_b32 s4, s3, s12
	s_add_i32 s3, s3, 1
	s_cmp_lg_u32 s4, 0
	s_waitcnt lgkmcnt(0)
	v_add_f32_e32 v2, v2, v1
	s_cbranch_scc0 .LBB140_14
; %bb.15:
	s_waitcnt vmcnt(0)
	v_ashrrev_i32_e32 v4, 31, v3
	v_cmp_neq_f32_e64 s3, s2, 0
	s_delay_alu instid0(VALU_DEP_2) | instskip(NEXT) | instid1(VALU_DEP_2)
	v_lshlrev_b64 v[0:1], 2, v[3:4]
	s_and_b32 vcc_lo, exec_lo, s3
	s_cbranch_vccz .LBB140_17
; %bb.16:
	s_delay_alu instid0(VALU_DEP_1) | instskip(NEXT) | instid1(VALU_DEP_2)
	v_add_co_u32 v3, vcc_lo, s0, v0
	v_add_co_ci_u32_e32 v4, vcc_lo, s1, v1, vcc_lo
	global_load_b32 v3, v[3:4], off
	s_waitcnt vmcnt(0)
	v_fmac_f32_e32 v2, s2, v3
.LBB140_17:
	s_delay_alu instid0(VALU_DEP_1) | instskip(NEXT) | instid1(VALU_DEP_2)
	v_add_co_u32 v0, vcc_lo, s0, v0
	v_add_co_ci_u32_e32 v1, vcc_lo, s1, v1, vcc_lo
	global_store_b32 v[0:1], v2, off
.LBB140_18:
	s_nop 0
	s_sendmsg sendmsg(MSG_DEALLOC_VGPRS)
	s_endpgm
	.section	.rodata,"a",@progbits
	.p2align	6, 0x0
	.amdhsa_kernel _ZN9rocsparseL28csrmvn_lrb_short_rows_kernelIli18rocsparse_bfloat16S1_ffEEvbT_PT0_S4_jNS_24const_host_device_scalarIT4_EEPKS2_PKS3_PKT1_PKT2_S7_PT3_21rocsparse_index_base_b
		.amdhsa_group_segment_fixed_size 0
		.amdhsa_private_segment_fixed_size 0
		.amdhsa_kernarg_size 104
		.amdhsa_user_sgpr_count 15
		.amdhsa_user_sgpr_dispatch_ptr 0
		.amdhsa_user_sgpr_queue_ptr 0
		.amdhsa_user_sgpr_kernarg_segment_ptr 1
		.amdhsa_user_sgpr_dispatch_id 0
		.amdhsa_user_sgpr_private_segment_size 0
		.amdhsa_wavefront_size32 1
		.amdhsa_uses_dynamic_stack 0
		.amdhsa_enable_private_segment 0
		.amdhsa_system_sgpr_workgroup_id_x 1
		.amdhsa_system_sgpr_workgroup_id_y 0
		.amdhsa_system_sgpr_workgroup_id_z 0
		.amdhsa_system_sgpr_workgroup_info 0
		.amdhsa_system_vgpr_workitem_id 0
		.amdhsa_next_free_vgpr 10
		.amdhsa_next_free_sgpr 24
		.amdhsa_reserve_vcc 1
		.amdhsa_float_round_mode_32 0
		.amdhsa_float_round_mode_16_64 0
		.amdhsa_float_denorm_mode_32 3
		.amdhsa_float_denorm_mode_16_64 3
		.amdhsa_dx10_clamp 1
		.amdhsa_ieee_mode 1
		.amdhsa_fp16_overflow 0
		.amdhsa_workgroup_processor_mode 1
		.amdhsa_memory_ordered 1
		.amdhsa_forward_progress 0
		.amdhsa_shared_vgpr_count 0
		.amdhsa_exception_fp_ieee_invalid_op 0
		.amdhsa_exception_fp_denorm_src 0
		.amdhsa_exception_fp_ieee_div_zero 0
		.amdhsa_exception_fp_ieee_overflow 0
		.amdhsa_exception_fp_ieee_underflow 0
		.amdhsa_exception_fp_ieee_inexact 0
		.amdhsa_exception_int_div_zero 0
	.end_amdhsa_kernel
	.section	.text._ZN9rocsparseL28csrmvn_lrb_short_rows_kernelIli18rocsparse_bfloat16S1_ffEEvbT_PT0_S4_jNS_24const_host_device_scalarIT4_EEPKS2_PKS3_PKT1_PKT2_S7_PT3_21rocsparse_index_base_b,"axG",@progbits,_ZN9rocsparseL28csrmvn_lrb_short_rows_kernelIli18rocsparse_bfloat16S1_ffEEvbT_PT0_S4_jNS_24const_host_device_scalarIT4_EEPKS2_PKS3_PKT1_PKT2_S7_PT3_21rocsparse_index_base_b,comdat
.Lfunc_end140:
	.size	_ZN9rocsparseL28csrmvn_lrb_short_rows_kernelIli18rocsparse_bfloat16S1_ffEEvbT_PT0_S4_jNS_24const_host_device_scalarIT4_EEPKS2_PKS3_PKT1_PKT2_S7_PT3_21rocsparse_index_base_b, .Lfunc_end140-_ZN9rocsparseL28csrmvn_lrb_short_rows_kernelIli18rocsparse_bfloat16S1_ffEEvbT_PT0_S4_jNS_24const_host_device_scalarIT4_EEPKS2_PKS3_PKT1_PKT2_S7_PT3_21rocsparse_index_base_b
                                        ; -- End function
	.section	.AMDGPU.csdata,"",@progbits
; Kernel info:
; codeLenInByte = 908
; NumSgprs: 26
; NumVgprs: 10
; ScratchSize: 0
; MemoryBound: 0
; FloatMode: 240
; IeeeMode: 1
; LDSByteSize: 0 bytes/workgroup (compile time only)
; SGPRBlocks: 3
; VGPRBlocks: 1
; NumSGPRsForWavesPerEU: 26
; NumVGPRsForWavesPerEU: 10
; Occupancy: 16
; WaveLimiterHint : 1
; COMPUTE_PGM_RSRC2:SCRATCH_EN: 0
; COMPUTE_PGM_RSRC2:USER_SGPR: 15
; COMPUTE_PGM_RSRC2:TRAP_HANDLER: 0
; COMPUTE_PGM_RSRC2:TGID_X_EN: 1
; COMPUTE_PGM_RSRC2:TGID_Y_EN: 0
; COMPUTE_PGM_RSRC2:TGID_Z_EN: 0
; COMPUTE_PGM_RSRC2:TIDIG_COMP_CNT: 0
	.section	.text._ZN9rocsparseL30csrmvn_lrb_short_rows_2_kernelIli18rocsparse_bfloat16S1_ffEEvbT_PT0_S4_jNS_24const_host_device_scalarIT4_EEPKS2_PKS3_PKT1_PKT2_S7_PT3_21rocsparse_index_base_b,"axG",@progbits,_ZN9rocsparseL30csrmvn_lrb_short_rows_2_kernelIli18rocsparse_bfloat16S1_ffEEvbT_PT0_S4_jNS_24const_host_device_scalarIT4_EEPKS2_PKS3_PKT1_PKT2_S7_PT3_21rocsparse_index_base_b,comdat
	.globl	_ZN9rocsparseL30csrmvn_lrb_short_rows_2_kernelIli18rocsparse_bfloat16S1_ffEEvbT_PT0_S4_jNS_24const_host_device_scalarIT4_EEPKS2_PKS3_PKT1_PKT2_S7_PT3_21rocsparse_index_base_b ; -- Begin function _ZN9rocsparseL30csrmvn_lrb_short_rows_2_kernelIli18rocsparse_bfloat16S1_ffEEvbT_PT0_S4_jNS_24const_host_device_scalarIT4_EEPKS2_PKS3_PKT1_PKT2_S7_PT3_21rocsparse_index_base_b
	.p2align	8
	.type	_ZN9rocsparseL30csrmvn_lrb_short_rows_2_kernelIli18rocsparse_bfloat16S1_ffEEvbT_PT0_S4_jNS_24const_host_device_scalarIT4_EEPKS2_PKS3_PKT1_PKT2_S7_PT3_21rocsparse_index_base_b,@function
_ZN9rocsparseL30csrmvn_lrb_short_rows_2_kernelIli18rocsparse_bfloat16S1_ffEEvbT_PT0_S4_jNS_24const_host_device_scalarIT4_EEPKS2_PKS3_PKT1_PKT2_S7_PT3_21rocsparse_index_base_b: ; @_ZN9rocsparseL30csrmvn_lrb_short_rows_2_kernelIli18rocsparse_bfloat16S1_ffEEvbT_PT0_S4_jNS_24const_host_device_scalarIT4_EEPKS2_PKS3_PKT1_PKT2_S7_PT3_21rocsparse_index_base_b
; %bb.0:
	s_clause 0x2
	s_load_b64 s[20:21], s[0:1], 0x60
	s_load_b64 s[18:19], s[0:1], 0x28
	;; [unrolled: 1-line block ×3, first 2 shown]
	s_waitcnt lgkmcnt(0)
	s_bitcmp1_b32 s21, 0
	s_cselect_b32 s2, -1, 0
	s_delay_alu instid0(SALU_CYCLE_1)
	s_and_b32 vcc_lo, exec_lo, s2
	s_xor_b32 s2, s2, -1
	s_cbranch_vccnz .LBB141_2
; %bb.1:
	s_load_b32 s18, s[18:19], 0x0
.LBB141_2:
	s_and_not1_b32 vcc_lo, exec_lo, s2
	s_cbranch_vccnz .LBB141_4
; %bb.3:
	s_load_b32 s12, s[12:13], 0x0
.LBB141_4:
	s_waitcnt lgkmcnt(0)
	v_cmp_neq_f32_e64 s2, s18, 0
	v_cmp_neq_f32_e64 s3, s12, 1.0
	s_mov_b32 s17, 0
	s_delay_alu instid0(VALU_DEP_1) | instskip(NEXT) | instid1(SALU_CYCLE_1)
	s_or_b32 s2, s2, s3
	s_and_not1_b32 vcc_lo, exec_lo, s2
	s_cbranch_vccnz .LBB141_30
; %bb.5:
	s_clause 0x1
	s_load_b32 s16, s[0:1], 0x20
	s_load_b128 s[8:11], s[0:1], 0x10
	s_mov_b32 s5, s17
	v_mov_b32_e32 v6, 0
	s_waitcnt lgkmcnt(0)
	s_lshl_b64 s[2:3], s[16:17], 2
	v_lshrrev_b32_e32 v1, s16, v0
	s_add_u32 s2, s10, s2
	s_addc_u32 s3, s11, s3
	s_add_i32 s4, s16, 1
	v_bfe_u32 v5, v0, 0, s16
	s_lshl_b64 s[4:5], s[4:5], 2
	s_delay_alu instid0(SALU_CYCLE_1)
	s_add_u32 s4, s10, s4
	s_addc_u32 s5, s11, s5
	s_clause 0x1
	s_load_b32 s14, s[2:3], 0x0
	s_load_b32 s17, s[4:5], 0x0
	s_clause 0x1
	s_load_b64 s[10:11], s[0:1], 0x58
	s_load_b256 s[0:7], s[0:1], 0x30
	s_lshr_b32 s13, 0x400, s16
	s_delay_alu instid0(SALU_CYCLE_1) | instskip(NEXT) | instid1(SALU_CYCLE_1)
	s_mul_i32 s15, s13, s15
	v_add_nc_u32_e32 v1, s15, v1
	s_add_i32 s19, s15, s13
	s_waitcnt lgkmcnt(0)
	s_sub_i32 s17, s17, s14
	s_delay_alu instid0(SALU_CYCLE_1)
	s_min_u32 s17, s17, s19
	s_mov_b32 s19, exec_lo
	v_cmpx_gt_u32_e64 s17, v1
	s_cbranch_execz .LBB141_9
; %bb.6:
	v_dual_mov_b32 v2, v6 :: v_dual_add_nc_u32 v1, s14, v1
	s_delay_alu instid0(VALU_DEP_1) | instskip(NEXT) | instid1(VALU_DEP_1)
	v_lshlrev_b64 v[1:2], 2, v[1:2]
	v_add_co_u32 v1, vcc_lo, s8, v1
	s_delay_alu instid0(VALU_DEP_2) | instskip(SKIP_3) | instid1(VALU_DEP_1)
	v_add_co_ci_u32_e32 v2, vcc_lo, s9, v2, vcc_lo
	global_load_b32 v1, v[1:2], off
	s_waitcnt vmcnt(0)
	v_ashrrev_i32_e32 v2, 31, v1
	v_lshlrev_b64 v[1:2], 3, v[1:2]
	s_delay_alu instid0(VALU_DEP_1) | instskip(NEXT) | instid1(VALU_DEP_2)
	v_add_co_u32 v1, vcc_lo, s0, v1
	v_add_co_ci_u32_e32 v2, vcc_lo, s1, v2, vcc_lo
	global_load_b128 v[1:4], v[1:2], off
	s_waitcnt vmcnt(0)
	v_sub_co_u32 v3, vcc_lo, v3, v1
	v_sub_co_ci_u32_e32 v4, vcc_lo, v4, v2, vcc_lo
	s_delay_alu instid0(VALU_DEP_1)
	v_cmp_gt_i64_e32 vcc_lo, v[3:4], v[5:6]
	v_mov_b32_e32 v3, v6
	s_and_saveexec_b32 s21, vcc_lo
	s_cbranch_execz .LBB141_8
; %bb.7:
	v_sub_co_u32 v1, vcc_lo, v1, s20
	v_subrev_co_ci_u32_e32 v2, vcc_lo, 0, v2, vcc_lo
	s_delay_alu instid0(VALU_DEP_2) | instskip(NEXT) | instid1(VALU_DEP_2)
	v_add_co_u32 v1, vcc_lo, v1, v5
	v_add_co_ci_u32_e32 v2, vcc_lo, 0, v2, vcc_lo
	s_delay_alu instid0(VALU_DEP_1) | instskip(SKIP_1) | instid1(VALU_DEP_2)
	v_lshlrev_b64 v[3:4], 2, v[1:2]
	v_lshlrev_b64 v[1:2], 1, v[1:2]
	v_add_co_u32 v3, vcc_lo, s2, v3
	s_delay_alu instid0(VALU_DEP_3) | instskip(NEXT) | instid1(VALU_DEP_3)
	v_add_co_ci_u32_e32 v4, vcc_lo, s3, v4, vcc_lo
	v_add_co_u32 v1, vcc_lo, s4, v1
	s_delay_alu instid0(VALU_DEP_4) | instskip(SKIP_4) | instid1(VALU_DEP_1)
	v_add_co_ci_u32_e32 v2, vcc_lo, s5, v2, vcc_lo
	global_load_b32 v3, v[3:4], off
	global_load_u16 v7, v[1:2], off
	s_waitcnt vmcnt(1)
	v_subrev_nc_u32_e32 v3, s20, v3
	v_ashrrev_i32_e32 v4, 31, v3
	s_delay_alu instid0(VALU_DEP_1) | instskip(NEXT) | instid1(VALU_DEP_1)
	v_lshlrev_b64 v[3:4], 1, v[3:4]
	v_add_co_u32 v1, vcc_lo, s6, v3
	s_delay_alu instid0(VALU_DEP_2) | instskip(SKIP_4) | instid1(VALU_DEP_1)
	v_add_co_ci_u32_e32 v2, vcc_lo, s7, v4, vcc_lo
	global_load_u16 v1, v[1:2], off
	s_waitcnt vmcnt(1)
	v_lshlrev_b32_e32 v2, 16, v7
	s_waitcnt vmcnt(0)
	v_dual_mul_f32 v2, s18, v2 :: v_dual_lshlrev_b32 v1, 16, v1
	s_delay_alu instid0(VALU_DEP_1)
	v_mul_f32_e32 v3, v2, v1
.LBB141_8:
	s_or_b32 exec_lo, exec_lo, s21
	v_lshlrev_b32_e32 v1, 2, v0
	ds_store_b32 v1, v3
.LBB141_9:
	s_or_b32 exec_lo, exec_lo, s19
	v_or_b32_e32 v1, 0x100, v0
	s_mov_b32 s19, exec_lo
	s_delay_alu instid0(VALU_DEP_1) | instskip(NEXT) | instid1(VALU_DEP_1)
	v_lshrrev_b32_e32 v1, s16, v1
	v_add_nc_u32_e32 v1, s15, v1
	s_delay_alu instid0(VALU_DEP_1)
	v_cmpx_gt_u32_e64 s17, v1
	s_cbranch_execz .LBB141_13
; %bb.10:
	v_dual_mov_b32 v8, 0 :: v_dual_add_nc_u32 v7, s14, v1
	s_mov_b32 s21, exec_lo
	s_delay_alu instid0(VALU_DEP_1) | instskip(NEXT) | instid1(VALU_DEP_1)
	v_lshlrev_b64 v[1:2], 2, v[7:8]
	v_add_co_u32 v1, vcc_lo, s8, v1
	s_delay_alu instid0(VALU_DEP_2) | instskip(SKIP_3) | instid1(VALU_DEP_1)
	v_add_co_ci_u32_e32 v2, vcc_lo, s9, v2, vcc_lo
	global_load_b32 v1, v[1:2], off
	s_waitcnt vmcnt(0)
	v_ashrrev_i32_e32 v2, 31, v1
	v_lshlrev_b64 v[1:2], 3, v[1:2]
	s_delay_alu instid0(VALU_DEP_1) | instskip(NEXT) | instid1(VALU_DEP_2)
	v_add_co_u32 v1, vcc_lo, s0, v1
	v_add_co_ci_u32_e32 v2, vcc_lo, s1, v2, vcc_lo
	global_load_b128 v[1:4], v[1:2], off
	s_waitcnt vmcnt(0)
	v_sub_co_u32 v3, vcc_lo, v3, v1
	v_sub_co_ci_u32_e32 v4, vcc_lo, v4, v2, vcc_lo
	s_delay_alu instid0(VALU_DEP_1)
	v_cmpx_gt_i64_e64 v[3:4], v[5:6]
	s_cbranch_execz .LBB141_12
; %bb.11:
	v_sub_co_u32 v1, vcc_lo, v1, s20
	v_subrev_co_ci_u32_e32 v2, vcc_lo, 0, v2, vcc_lo
	s_delay_alu instid0(VALU_DEP_2) | instskip(NEXT) | instid1(VALU_DEP_2)
	v_add_co_u32 v1, vcc_lo, v1, v5
	v_add_co_ci_u32_e32 v2, vcc_lo, 0, v2, vcc_lo
	s_delay_alu instid0(VALU_DEP_1) | instskip(SKIP_1) | instid1(VALU_DEP_2)
	v_lshlrev_b64 v[3:4], 2, v[1:2]
	v_lshlrev_b64 v[1:2], 1, v[1:2]
	v_add_co_u32 v3, vcc_lo, s2, v3
	s_delay_alu instid0(VALU_DEP_3) | instskip(NEXT) | instid1(VALU_DEP_3)
	v_add_co_ci_u32_e32 v4, vcc_lo, s3, v4, vcc_lo
	v_add_co_u32 v1, vcc_lo, s4, v1
	s_delay_alu instid0(VALU_DEP_4) | instskip(SKIP_4) | instid1(VALU_DEP_1)
	v_add_co_ci_u32_e32 v2, vcc_lo, s5, v2, vcc_lo
	global_load_b32 v3, v[3:4], off
	global_load_u16 v7, v[1:2], off
	s_waitcnt vmcnt(1)
	v_subrev_nc_u32_e32 v3, s20, v3
	v_ashrrev_i32_e32 v4, 31, v3
	s_delay_alu instid0(VALU_DEP_1) | instskip(NEXT) | instid1(VALU_DEP_1)
	v_lshlrev_b64 v[3:4], 1, v[3:4]
	v_add_co_u32 v1, vcc_lo, s6, v3
	s_delay_alu instid0(VALU_DEP_2) | instskip(SKIP_4) | instid1(VALU_DEP_1)
	v_add_co_ci_u32_e32 v2, vcc_lo, s7, v4, vcc_lo
	global_load_u16 v1, v[1:2], off
	s_waitcnt vmcnt(1)
	v_lshlrev_b32_e32 v2, 16, v7
	s_waitcnt vmcnt(0)
	v_dual_mul_f32 v2, s18, v2 :: v_dual_lshlrev_b32 v1, 16, v1
	s_delay_alu instid0(VALU_DEP_1)
	v_mul_f32_e32 v8, v2, v1
.LBB141_12:
	s_or_b32 exec_lo, exec_lo, s21
	v_lshlrev_b32_e32 v1, 2, v0
	ds_store_b32 v1, v8 offset:1024
.LBB141_13:
	s_or_b32 exec_lo, exec_lo, s19
	v_or_b32_e32 v1, 0x200, v0
	s_mov_b32 s19, exec_lo
	s_delay_alu instid0(VALU_DEP_1) | instskip(NEXT) | instid1(VALU_DEP_1)
	v_lshrrev_b32_e32 v1, s16, v1
	v_add_nc_u32_e32 v1, s15, v1
	s_delay_alu instid0(VALU_DEP_1)
	v_cmpx_gt_u32_e64 s17, v1
	s_cbranch_execz .LBB141_17
; %bb.14:
	v_dual_mov_b32 v8, 0 :: v_dual_add_nc_u32 v7, s14, v1
	s_mov_b32 s21, exec_lo
	s_delay_alu instid0(VALU_DEP_1) | instskip(NEXT) | instid1(VALU_DEP_1)
	v_lshlrev_b64 v[1:2], 2, v[7:8]
	v_add_co_u32 v1, vcc_lo, s8, v1
	s_delay_alu instid0(VALU_DEP_2) | instskip(SKIP_3) | instid1(VALU_DEP_1)
	v_add_co_ci_u32_e32 v2, vcc_lo, s9, v2, vcc_lo
	global_load_b32 v1, v[1:2], off
	s_waitcnt vmcnt(0)
	v_ashrrev_i32_e32 v2, 31, v1
	v_lshlrev_b64 v[1:2], 3, v[1:2]
	s_delay_alu instid0(VALU_DEP_1) | instskip(NEXT) | instid1(VALU_DEP_2)
	v_add_co_u32 v1, vcc_lo, s0, v1
	v_add_co_ci_u32_e32 v2, vcc_lo, s1, v2, vcc_lo
	global_load_b128 v[1:4], v[1:2], off
	s_waitcnt vmcnt(0)
	v_sub_co_u32 v3, vcc_lo, v3, v1
	v_sub_co_ci_u32_e32 v4, vcc_lo, v4, v2, vcc_lo
	s_delay_alu instid0(VALU_DEP_1)
	v_cmpx_gt_i64_e64 v[3:4], v[5:6]
	s_cbranch_execz .LBB141_16
; %bb.15:
	v_sub_co_u32 v1, vcc_lo, v1, s20
	v_subrev_co_ci_u32_e32 v2, vcc_lo, 0, v2, vcc_lo
	s_delay_alu instid0(VALU_DEP_2) | instskip(NEXT) | instid1(VALU_DEP_2)
	v_add_co_u32 v1, vcc_lo, v1, v5
	v_add_co_ci_u32_e32 v2, vcc_lo, 0, v2, vcc_lo
	s_delay_alu instid0(VALU_DEP_1) | instskip(SKIP_1) | instid1(VALU_DEP_2)
	v_lshlrev_b64 v[3:4], 2, v[1:2]
	v_lshlrev_b64 v[1:2], 1, v[1:2]
	v_add_co_u32 v3, vcc_lo, s2, v3
	s_delay_alu instid0(VALU_DEP_3) | instskip(NEXT) | instid1(VALU_DEP_3)
	v_add_co_ci_u32_e32 v4, vcc_lo, s3, v4, vcc_lo
	v_add_co_u32 v1, vcc_lo, s4, v1
	s_delay_alu instid0(VALU_DEP_4) | instskip(SKIP_4) | instid1(VALU_DEP_1)
	v_add_co_ci_u32_e32 v2, vcc_lo, s5, v2, vcc_lo
	global_load_b32 v3, v[3:4], off
	global_load_u16 v7, v[1:2], off
	s_waitcnt vmcnt(1)
	v_subrev_nc_u32_e32 v3, s20, v3
	v_ashrrev_i32_e32 v4, 31, v3
	s_delay_alu instid0(VALU_DEP_1) | instskip(NEXT) | instid1(VALU_DEP_1)
	v_lshlrev_b64 v[3:4], 1, v[3:4]
	v_add_co_u32 v1, vcc_lo, s6, v3
	s_delay_alu instid0(VALU_DEP_2) | instskip(SKIP_4) | instid1(VALU_DEP_1)
	v_add_co_ci_u32_e32 v2, vcc_lo, s7, v4, vcc_lo
	global_load_u16 v1, v[1:2], off
	s_waitcnt vmcnt(1)
	v_lshlrev_b32_e32 v2, 16, v7
	s_waitcnt vmcnt(0)
	v_dual_mul_f32 v2, s18, v2 :: v_dual_lshlrev_b32 v1, 16, v1
	s_delay_alu instid0(VALU_DEP_1)
	v_mul_f32_e32 v8, v2, v1
.LBB141_16:
	s_or_b32 exec_lo, exec_lo, s21
	v_lshlrev_b32_e32 v1, 2, v0
	ds_store_b32 v1, v8 offset:2048
.LBB141_17:
	s_or_b32 exec_lo, exec_lo, s19
	v_or_b32_e32 v1, 0x300, v0
	s_mov_b32 s19, exec_lo
	s_delay_alu instid0(VALU_DEP_1) | instskip(NEXT) | instid1(VALU_DEP_1)
	v_lshrrev_b32_e32 v1, s16, v1
	v_add_nc_u32_e32 v1, s15, v1
	s_delay_alu instid0(VALU_DEP_1)
	v_cmpx_gt_u32_e64 s17, v1
	s_cbranch_execz .LBB141_21
; %bb.18:
	v_dual_mov_b32 v8, 0 :: v_dual_add_nc_u32 v7, s14, v1
	s_delay_alu instid0(VALU_DEP_1) | instskip(NEXT) | instid1(VALU_DEP_1)
	v_lshlrev_b64 v[1:2], 2, v[7:8]
	v_add_co_u32 v1, vcc_lo, s8, v1
	s_delay_alu instid0(VALU_DEP_2) | instskip(SKIP_3) | instid1(VALU_DEP_1)
	v_add_co_ci_u32_e32 v2, vcc_lo, s9, v2, vcc_lo
	global_load_b32 v1, v[1:2], off
	s_waitcnt vmcnt(0)
	v_ashrrev_i32_e32 v2, 31, v1
	v_lshlrev_b64 v[1:2], 3, v[1:2]
	s_delay_alu instid0(VALU_DEP_1) | instskip(NEXT) | instid1(VALU_DEP_2)
	v_add_co_u32 v1, vcc_lo, s0, v1
	v_add_co_ci_u32_e32 v2, vcc_lo, s1, v2, vcc_lo
	s_mov_b32 s0, exec_lo
	global_load_b128 v[1:4], v[1:2], off
	s_waitcnt vmcnt(0)
	v_sub_co_u32 v3, vcc_lo, v3, v1
	v_sub_co_ci_u32_e32 v4, vcc_lo, v4, v2, vcc_lo
	s_delay_alu instid0(VALU_DEP_1)
	v_cmpx_gt_i64_e64 v[3:4], v[5:6]
	s_cbranch_execz .LBB141_20
; %bb.19:
	v_sub_co_u32 v1, vcc_lo, v1, s20
	v_subrev_co_ci_u32_e32 v2, vcc_lo, 0, v2, vcc_lo
	s_delay_alu instid0(VALU_DEP_2) | instskip(NEXT) | instid1(VALU_DEP_2)
	v_add_co_u32 v1, vcc_lo, v1, v5
	v_add_co_ci_u32_e32 v2, vcc_lo, 0, v2, vcc_lo
	s_delay_alu instid0(VALU_DEP_1) | instskip(SKIP_1) | instid1(VALU_DEP_2)
	v_lshlrev_b64 v[3:4], 2, v[1:2]
	v_lshlrev_b64 v[1:2], 1, v[1:2]
	v_add_co_u32 v3, vcc_lo, s2, v3
	s_delay_alu instid0(VALU_DEP_3) | instskip(NEXT) | instid1(VALU_DEP_3)
	v_add_co_ci_u32_e32 v4, vcc_lo, s3, v4, vcc_lo
	v_add_co_u32 v1, vcc_lo, s4, v1
	s_delay_alu instid0(VALU_DEP_4) | instskip(SKIP_4) | instid1(VALU_DEP_1)
	v_add_co_ci_u32_e32 v2, vcc_lo, s5, v2, vcc_lo
	global_load_b32 v3, v[3:4], off
	global_load_u16 v5, v[1:2], off
	s_waitcnt vmcnt(1)
	v_subrev_nc_u32_e32 v3, s20, v3
	v_ashrrev_i32_e32 v4, 31, v3
	s_delay_alu instid0(VALU_DEP_1) | instskip(NEXT) | instid1(VALU_DEP_1)
	v_lshlrev_b64 v[3:4], 1, v[3:4]
	v_add_co_u32 v1, vcc_lo, s6, v3
	s_delay_alu instid0(VALU_DEP_2) | instskip(SKIP_4) | instid1(VALU_DEP_1)
	v_add_co_ci_u32_e32 v2, vcc_lo, s7, v4, vcc_lo
	global_load_u16 v1, v[1:2], off
	s_waitcnt vmcnt(1)
	v_lshlrev_b32_e32 v2, 16, v5
	s_waitcnt vmcnt(0)
	v_dual_mul_f32 v2, s18, v2 :: v_dual_lshlrev_b32 v1, 16, v1
	s_delay_alu instid0(VALU_DEP_1)
	v_mul_f32_e32 v8, v2, v1
.LBB141_20:
	s_or_b32 exec_lo, exec_lo, s0
	v_lshlrev_b32_e32 v1, 2, v0
	ds_store_b32 v1, v8 offset:3072
.LBB141_21:
	s_or_b32 exec_lo, exec_lo, s19
	s_cmp_lt_u32 s16, 11
	s_waitcnt lgkmcnt(0)
	s_barrier
	buffer_gl0_inv
	s_cbranch_scc0 .LBB141_30
; %bb.22:
	v_cmp_neq_f32_e64 s0, s12, 0
	v_mov_b32_e32 v2, 0
	s_sub_i32 s1, s17, s15
	s_add_i32 s14, s14, s15
	s_mov_b32 s2, 0
	s_set_inst_prefetch_distance 0x1
	s_branch .LBB141_25
	.p2align	6
.LBB141_23:                             ;   in Loop: Header=BB141_25 Depth=1
	s_delay_alu instid0(VALU_DEP_1) | instskip(NEXT) | instid1(VALU_DEP_2)
	v_add_co_u32 v3, vcc_lo, s10, v3
	v_add_co_ci_u32_e32 v4, vcc_lo, s11, v4, vcc_lo
	global_store_b32 v[3:4], v1, off
.LBB141_24:                             ;   in Loop: Header=BB141_25 Depth=1
	s_or_b32 exec_lo, exec_lo, s3
	s_addk_i32 s2, 0x100
	s_delay_alu instid0(SALU_CYCLE_1)
	s_cmp_lt_u32 s2, s13
	s_cbranch_scc0 .LBB141_30
.LBB141_25:                             ; =>This Loop Header: Depth=1
                                        ;     Child Loop BB141_27 Depth 2
	v_add_nc_u32_e32 v4, s2, v0
	s_mov_b32 s3, exec_lo
	s_delay_alu instid0(VALU_DEP_1)
	v_cmpx_gt_u32_e64 s1, v4
	s_cbranch_execz .LBB141_24
; %bb.26:                               ;   in Loop: Header=BB141_25 Depth=1
	v_add_nc_u32_e32 v1, s14, v4
	s_mov_b32 s4, 1
	s_delay_alu instid0(VALU_DEP_1) | instskip(SKIP_1) | instid1(VALU_DEP_1)
	v_lshlrev_b64 v[5:6], 2, v[1:2]
	v_lshlrev_b32_e32 v1, s16, v4
	v_dual_mov_b32 v1, 0 :: v_dual_lshlrev_b32 v4, 2, v1
	s_delay_alu instid0(VALU_DEP_3) | instskip(NEXT) | instid1(VALU_DEP_4)
	v_add_co_u32 v5, vcc_lo, s8, v5
	v_add_co_ci_u32_e32 v6, vcc_lo, s9, v6, vcc_lo
	global_load_b32 v3, v[5:6], off
.LBB141_27:                             ;   Parent Loop BB141_25 Depth=1
                                        ; =>  This Inner Loop Header: Depth=2
	ds_load_b32 v5, v4
	v_add_nc_u32_e32 v4, 4, v4
	s_lshr_b32 s5, s4, s16
	s_add_i32 s4, s4, 1
	s_cmp_lg_u32 s5, 0
	s_waitcnt lgkmcnt(0)
	v_add_f32_e32 v1, v1, v5
	s_cbranch_scc0 .LBB141_27
; %bb.28:                               ;   in Loop: Header=BB141_25 Depth=1
	s_waitcnt vmcnt(0)
	v_ashrrev_i32_e32 v4, 31, v3
	s_and_b32 vcc_lo, exec_lo, s0
	s_delay_alu instid0(VALU_DEP_1)
	v_lshlrev_b64 v[3:4], 2, v[3:4]
	s_cbranch_vccz .LBB141_23
; %bb.29:                               ;   in Loop: Header=BB141_25 Depth=1
	s_delay_alu instid0(VALU_DEP_1) | instskip(NEXT) | instid1(VALU_DEP_2)
	v_add_co_u32 v5, vcc_lo, s10, v3
	v_add_co_ci_u32_e32 v6, vcc_lo, s11, v4, vcc_lo
	global_load_b32 v5, v[5:6], off
	s_waitcnt vmcnt(0)
	v_fmac_f32_e32 v1, s12, v5
	s_branch .LBB141_23
.LBB141_30:
	s_set_inst_prefetch_distance 0x2
	s_nop 0
	s_sendmsg sendmsg(MSG_DEALLOC_VGPRS)
	s_endpgm
	.section	.rodata,"a",@progbits
	.p2align	6, 0x0
	.amdhsa_kernel _ZN9rocsparseL30csrmvn_lrb_short_rows_2_kernelIli18rocsparse_bfloat16S1_ffEEvbT_PT0_S4_jNS_24const_host_device_scalarIT4_EEPKS2_PKS3_PKT1_PKT2_S7_PT3_21rocsparse_index_base_b
		.amdhsa_group_segment_fixed_size 4096
		.amdhsa_private_segment_fixed_size 0
		.amdhsa_kernarg_size 104
		.amdhsa_user_sgpr_count 15
		.amdhsa_user_sgpr_dispatch_ptr 0
		.amdhsa_user_sgpr_queue_ptr 0
		.amdhsa_user_sgpr_kernarg_segment_ptr 1
		.amdhsa_user_sgpr_dispatch_id 0
		.amdhsa_user_sgpr_private_segment_size 0
		.amdhsa_wavefront_size32 1
		.amdhsa_uses_dynamic_stack 0
		.amdhsa_enable_private_segment 0
		.amdhsa_system_sgpr_workgroup_id_x 1
		.amdhsa_system_sgpr_workgroup_id_y 0
		.amdhsa_system_sgpr_workgroup_id_z 0
		.amdhsa_system_sgpr_workgroup_info 0
		.amdhsa_system_vgpr_workitem_id 0
		.amdhsa_next_free_vgpr 9
		.amdhsa_next_free_sgpr 22
		.amdhsa_reserve_vcc 1
		.amdhsa_float_round_mode_32 0
		.amdhsa_float_round_mode_16_64 0
		.amdhsa_float_denorm_mode_32 3
		.amdhsa_float_denorm_mode_16_64 3
		.amdhsa_dx10_clamp 1
		.amdhsa_ieee_mode 1
		.amdhsa_fp16_overflow 0
		.amdhsa_workgroup_processor_mode 1
		.amdhsa_memory_ordered 1
		.amdhsa_forward_progress 0
		.amdhsa_shared_vgpr_count 0
		.amdhsa_exception_fp_ieee_invalid_op 0
		.amdhsa_exception_fp_denorm_src 0
		.amdhsa_exception_fp_ieee_div_zero 0
		.amdhsa_exception_fp_ieee_overflow 0
		.amdhsa_exception_fp_ieee_underflow 0
		.amdhsa_exception_fp_ieee_inexact 0
		.amdhsa_exception_int_div_zero 0
	.end_amdhsa_kernel
	.section	.text._ZN9rocsparseL30csrmvn_lrb_short_rows_2_kernelIli18rocsparse_bfloat16S1_ffEEvbT_PT0_S4_jNS_24const_host_device_scalarIT4_EEPKS2_PKS3_PKT1_PKT2_S7_PT3_21rocsparse_index_base_b,"axG",@progbits,_ZN9rocsparseL30csrmvn_lrb_short_rows_2_kernelIli18rocsparse_bfloat16S1_ffEEvbT_PT0_S4_jNS_24const_host_device_scalarIT4_EEPKS2_PKS3_PKT1_PKT2_S7_PT3_21rocsparse_index_base_b,comdat
.Lfunc_end141:
	.size	_ZN9rocsparseL30csrmvn_lrb_short_rows_2_kernelIli18rocsparse_bfloat16S1_ffEEvbT_PT0_S4_jNS_24const_host_device_scalarIT4_EEPKS2_PKS3_PKT1_PKT2_S7_PT3_21rocsparse_index_base_b, .Lfunc_end141-_ZN9rocsparseL30csrmvn_lrb_short_rows_2_kernelIli18rocsparse_bfloat16S1_ffEEvbT_PT0_S4_jNS_24const_host_device_scalarIT4_EEPKS2_PKS3_PKT1_PKT2_S7_PT3_21rocsparse_index_base_b
                                        ; -- End function
	.section	.AMDGPU.csdata,"",@progbits
; Kernel info:
; codeLenInByte = 1956
; NumSgprs: 24
; NumVgprs: 9
; ScratchSize: 0
; MemoryBound: 0
; FloatMode: 240
; IeeeMode: 1
; LDSByteSize: 4096 bytes/workgroup (compile time only)
; SGPRBlocks: 2
; VGPRBlocks: 1
; NumSGPRsForWavesPerEU: 24
; NumVGPRsForWavesPerEU: 9
; Occupancy: 16
; WaveLimiterHint : 1
; COMPUTE_PGM_RSRC2:SCRATCH_EN: 0
; COMPUTE_PGM_RSRC2:USER_SGPR: 15
; COMPUTE_PGM_RSRC2:TRAP_HANDLER: 0
; COMPUTE_PGM_RSRC2:TGID_X_EN: 1
; COMPUTE_PGM_RSRC2:TGID_Y_EN: 0
; COMPUTE_PGM_RSRC2:TGID_Z_EN: 0
; COMPUTE_PGM_RSRC2:TIDIG_COMP_CNT: 0
	.section	.text._ZN9rocsparseL41csrmvn_lrb_medium_rows_warp_reduce_kernelILj256ELj32Eli18rocsparse_bfloat16S1_ffEEvbT1_lPT2_S4_jNS_24const_host_device_scalarIT6_EEPKS2_PKS3_PKT3_PKT4_S7_PT5_21rocsparse_index_base_b,"axG",@progbits,_ZN9rocsparseL41csrmvn_lrb_medium_rows_warp_reduce_kernelILj256ELj32Eli18rocsparse_bfloat16S1_ffEEvbT1_lPT2_S4_jNS_24const_host_device_scalarIT6_EEPKS2_PKS3_PKT3_PKT4_S7_PT5_21rocsparse_index_base_b,comdat
	.globl	_ZN9rocsparseL41csrmvn_lrb_medium_rows_warp_reduce_kernelILj256ELj32Eli18rocsparse_bfloat16S1_ffEEvbT1_lPT2_S4_jNS_24const_host_device_scalarIT6_EEPKS2_PKS3_PKT3_PKT4_S7_PT5_21rocsparse_index_base_b ; -- Begin function _ZN9rocsparseL41csrmvn_lrb_medium_rows_warp_reduce_kernelILj256ELj32Eli18rocsparse_bfloat16S1_ffEEvbT1_lPT2_S4_jNS_24const_host_device_scalarIT6_EEPKS2_PKS3_PKT3_PKT4_S7_PT5_21rocsparse_index_base_b
	.p2align	8
	.type	_ZN9rocsparseL41csrmvn_lrb_medium_rows_warp_reduce_kernelILj256ELj32Eli18rocsparse_bfloat16S1_ffEEvbT1_lPT2_S4_jNS_24const_host_device_scalarIT6_EEPKS2_PKS3_PKT3_PKT4_S7_PT5_21rocsparse_index_base_b,@function
_ZN9rocsparseL41csrmvn_lrb_medium_rows_warp_reduce_kernelILj256ELj32Eli18rocsparse_bfloat16S1_ffEEvbT1_lPT2_S4_jNS_24const_host_device_scalarIT6_EEPKS2_PKS3_PKT3_PKT4_S7_PT5_21rocsparse_index_base_b: ; @_ZN9rocsparseL41csrmvn_lrb_medium_rows_warp_reduce_kernelILj256ELj32Eli18rocsparse_bfloat16S1_ffEEvbT1_lPT2_S4_jNS_24const_host_device_scalarIT6_EEPKS2_PKS3_PKT3_PKT4_S7_PT5_21rocsparse_index_base_b
; %bb.0:
	s_clause 0x2
	s_load_b64 s[4:5], s[0:1], 0x68
	s_load_b64 s[6:7], s[0:1], 0x30
	;; [unrolled: 1-line block ×3, first 2 shown]
	s_waitcnt lgkmcnt(0)
	s_bitcmp1_b32 s5, 0
	s_cselect_b32 s5, -1, 0
	s_delay_alu instid0(SALU_CYCLE_1)
	s_and_b32 vcc_lo, exec_lo, s5
	s_xor_b32 s5, s5, -1
	s_cbranch_vccnz .LBB142_2
; %bb.1:
	s_load_b32 s6, s[6:7], 0x0
.LBB142_2:
	s_and_not1_b32 vcc_lo, exec_lo, s5
	s_cbranch_vccnz .LBB142_4
; %bb.3:
	s_load_b32 s2, s[2:3], 0x0
.LBB142_4:
	s_waitcnt lgkmcnt(0)
	v_cmp_neq_f32_e64 s3, s6, 0
	v_cmp_neq_f32_e64 s5, s2, 1.0
	s_delay_alu instid0(VALU_DEP_1) | instskip(NEXT) | instid1(SALU_CYCLE_1)
	s_or_b32 s3, s3, s5
	s_and_not1_b32 vcc_lo, exec_lo, s3
	s_cbranch_vccnz .LBB142_14
; %bb.5:
	s_load_b64 s[8:9], s[0:1], 0x10
	v_lshrrev_b32_e32 v1, 5, v0
	s_mov_b32 s3, exec_lo
	s_delay_alu instid0(VALU_DEP_1) | instskip(NEXT) | instid1(VALU_DEP_1)
	v_lshl_or_b32 v1, s15, 3, v1
	v_ashrrev_i32_e32 v2, 31, v1
	s_waitcnt lgkmcnt(0)
	s_delay_alu instid0(VALU_DEP_1)
	v_cmpx_gt_i64_e64 s[8:9], v[1:2]
	s_cbranch_execz .LBB142_14
; %bb.6:
	s_clause 0x1
	s_load_b32 s10, s[0:1], 0x28
	s_load_b128 s[12:15], s[0:1], 0x18
	s_mov_b32 s11, 0
	v_dual_mov_b32 v11, 0 :: v_dual_and_b32 v0, 31, v0
	s_waitcnt lgkmcnt(0)
	s_lshl_b64 s[8:9], s[10:11], 2
	s_delay_alu instid0(SALU_CYCLE_1)
	s_add_u32 s8, s14, s8
	s_addc_u32 s9, s15, s9
	s_load_b32 s3, s[8:9], 0x0
	s_load_b64 s[8:9], s[0:1], 0x38
	s_waitcnt lgkmcnt(0)
	v_add_nc_u32_e32 v1, s3, v1
	v_sub_co_u32 v9, s3, v0, s4
	s_delay_alu instid0(VALU_DEP_1) | instskip(NEXT) | instid1(VALU_DEP_3)
	v_sub_co_ci_u32_e64 v10, null, 0, 0, s3
	v_ashrrev_i32_e32 v2, 31, v1
	s_mov_b32 s3, exec_lo
	s_delay_alu instid0(VALU_DEP_1) | instskip(NEXT) | instid1(VALU_DEP_1)
	v_lshlrev_b64 v[1:2], 2, v[1:2]
	v_add_co_u32 v1, vcc_lo, s12, v1
	s_delay_alu instid0(VALU_DEP_2) | instskip(SKIP_3) | instid1(VALU_DEP_1)
	v_add_co_ci_u32_e32 v2, vcc_lo, s13, v2, vcc_lo
	global_load_b32 v1, v[1:2], off
	s_waitcnt vmcnt(0)
	v_ashrrev_i32_e32 v2, 31, v1
	v_lshlrev_b64 v[3:4], 3, v[1:2]
	s_delay_alu instid0(VALU_DEP_1) | instskip(NEXT) | instid1(VALU_DEP_2)
	v_add_co_u32 v3, vcc_lo, s8, v3
	v_add_co_ci_u32_e32 v4, vcc_lo, s9, v4, vcc_lo
	s_load_b64 s[8:9], s[0:1], 0x60
	global_load_b128 v[5:8], v[3:4], off
	s_waitcnt vmcnt(0)
	v_sub_co_u32 v3, vcc_lo, v7, s4
	v_subrev_co_ci_u32_e32 v4, vcc_lo, 0, v8, vcc_lo
	v_add_co_u32 v5, vcc_lo, v5, v9
	v_add_co_ci_u32_e32 v6, vcc_lo, v6, v10, vcc_lo
	s_delay_alu instid0(VALU_DEP_1)
	v_cmpx_lt_i64_e64 v[5:6], v[3:4]
	s_cbranch_execz .LBB142_10
; %bb.7:
	s_clause 0x1
	s_load_b128 s[16:19], s[0:1], 0x40
	s_load_b64 s[12:13], s[0:1], 0x50
	v_lshlrev_b64 v[7:8], 1, v[5:6]
	v_lshlrev_b64 v[9:10], 2, v[5:6]
	v_mov_b32_e32 v11, 0
	s_waitcnt lgkmcnt(0)
	s_delay_alu instid0(VALU_DEP_3) | instskip(NEXT) | instid1(VALU_DEP_4)
	v_add_co_u32 v7, vcc_lo, s18, v7
	v_add_co_ci_u32_e32 v8, vcc_lo, s19, v8, vcc_lo
	s_delay_alu instid0(VALU_DEP_4)
	v_add_co_u32 v9, vcc_lo, s16, v9
	v_add_co_ci_u32_e32 v10, vcc_lo, s17, v10, vcc_lo
	.p2align	6
.LBB142_8:                              ; =>This Inner Loop Header: Depth=1
	global_load_b32 v12, v[9:10], off
	global_load_u16 v14, v[7:8], off
	v_add_co_u32 v9, s0, 0x80, v9
	s_delay_alu instid0(VALU_DEP_1) | instskip(SKIP_2) | instid1(VALU_DEP_1)
	v_add_co_ci_u32_e64 v10, s0, 0, v10, s0
	s_waitcnt vmcnt(1)
	v_subrev_nc_u32_e32 v12, s4, v12
	v_ashrrev_i32_e32 v13, 31, v12
	s_delay_alu instid0(VALU_DEP_1) | instskip(NEXT) | instid1(VALU_DEP_1)
	v_lshlrev_b64 v[12:13], 1, v[12:13]
	v_add_co_u32 v12, vcc_lo, s12, v12
	s_delay_alu instid0(VALU_DEP_2)
	v_add_co_ci_u32_e32 v13, vcc_lo, s13, v13, vcc_lo
	v_add_co_u32 v5, vcc_lo, v5, 32
	v_add_co_ci_u32_e32 v6, vcc_lo, 0, v6, vcc_lo
	global_load_u16 v12, v[12:13], off
	s_waitcnt vmcnt(1)
	v_lshlrev_b32_e32 v13, 16, v14
	v_add_co_u32 v7, vcc_lo, v7, 64
	v_add_co_ci_u32_e32 v8, vcc_lo, 0, v8, vcc_lo
	s_delay_alu instid0(VALU_DEP_3) | instskip(SKIP_4) | instid1(VALU_DEP_1)
	v_mul_f32_e32 v13, s6, v13
	v_cmp_ge_i64_e32 vcc_lo, v[5:6], v[3:4]
	s_or_b32 s11, vcc_lo, s11
	s_waitcnt vmcnt(0)
	v_lshlrev_b32_e32 v12, 16, v12
	v_fmac_f32_e32 v11, v13, v12
	s_and_not1_b32 exec_lo, exec_lo, s11
	s_cbranch_execnz .LBB142_8
; %bb.9:
	s_or_b32 exec_lo, exec_lo, s11
.LBB142_10:
	s_delay_alu instid0(SALU_CYCLE_1) | instskip(SKIP_1) | instid1(VALU_DEP_1)
	s_or_b32 exec_lo, exec_lo, s3
	v_mbcnt_lo_u32_b32 v3, -1, 0
	v_xor_b32_e32 v4, 16, v3
	v_xor_b32_e32 v5, 8, v3
	;; [unrolled: 1-line block ×3, first 2 shown]
	s_delay_alu instid0(VALU_DEP_3) | instskip(SKIP_1) | instid1(VALU_DEP_4)
	v_cmp_gt_i32_e32 vcc_lo, 32, v4
	v_cndmask_b32_e32 v4, v3, v4, vcc_lo
	v_cmp_gt_i32_e32 vcc_lo, 32, v5
	v_cndmask_b32_e32 v5, v3, v5, vcc_lo
	v_cmp_gt_i32_e32 vcc_lo, 32, v6
	v_cndmask_b32_e32 v6, v3, v6, vcc_lo
	s_delay_alu instid0(VALU_DEP_1) | instskip(NEXT) | instid1(VALU_DEP_4)
	v_lshlrev_b32_e32 v6, 2, v6
	v_lshlrev_b32_e32 v5, 2, v5
	;; [unrolled: 1-line block ×3, first 2 shown]
	ds_bpermute_b32 v4, v4, v11
	s_waitcnt lgkmcnt(0)
	v_add_f32_e32 v4, v11, v4
	ds_bpermute_b32 v5, v5, v4
	s_waitcnt lgkmcnt(0)
	v_add_f32_e32 v4, v4, v5
	ds_bpermute_b32 v5, v6, v4
	v_xor_b32_e32 v6, 2, v3
	s_delay_alu instid0(VALU_DEP_1) | instskip(SKIP_1) | instid1(VALU_DEP_1)
	v_cmp_gt_i32_e32 vcc_lo, 32, v6
	v_cndmask_b32_e32 v6, v3, v6, vcc_lo
	v_lshlrev_b32_e32 v6, 2, v6
	s_waitcnt lgkmcnt(0)
	v_add_f32_e32 v4, v4, v5
	ds_bpermute_b32 v5, v6, v4
	v_xor_b32_e32 v6, 1, v3
	s_delay_alu instid0(VALU_DEP_1) | instskip(SKIP_3) | instid1(VALU_DEP_2)
	v_cmp_gt_i32_e32 vcc_lo, 32, v6
	v_cndmask_b32_e32 v6, v3, v6, vcc_lo
	v_cmp_eq_u32_e32 vcc_lo, 31, v0
	s_waitcnt lgkmcnt(0)
	v_dual_add_f32 v3, v4, v5 :: v_dual_lshlrev_b32 v4, 2, v6
	ds_bpermute_b32 v4, v4, v3
	s_and_b32 exec_lo, exec_lo, vcc_lo
	s_cbranch_execz .LBB142_14
; %bb.11:
	v_cmp_eq_f32_e64 s0, s2, 0
	v_lshlrev_b64 v[0:1], 2, v[1:2]
	s_waitcnt lgkmcnt(0)
	v_add_f32_e32 v3, v3, v4
	s_delay_alu instid0(VALU_DEP_3)
	s_and_b32 vcc_lo, exec_lo, s0
	s_cbranch_vccnz .LBB142_13
; %bb.12:
	s_delay_alu instid0(VALU_DEP_2)
	v_add_co_u32 v4, vcc_lo, s8, v0
	v_add_co_ci_u32_e32 v5, vcc_lo, s9, v1, vcc_lo
	global_load_b32 v2, v[4:5], off
	s_waitcnt vmcnt(0)
	v_fmac_f32_e32 v3, s2, v2
.LBB142_13:
	s_delay_alu instid0(VALU_DEP_2)
	v_add_co_u32 v0, vcc_lo, s8, v0
	v_add_co_ci_u32_e32 v1, vcc_lo, s9, v1, vcc_lo
	global_store_b32 v[0:1], v3, off
.LBB142_14:
	s_nop 0
	s_sendmsg sendmsg(MSG_DEALLOC_VGPRS)
	s_endpgm
	.section	.rodata,"a",@progbits
	.p2align	6, 0x0
	.amdhsa_kernel _ZN9rocsparseL41csrmvn_lrb_medium_rows_warp_reduce_kernelILj256ELj32Eli18rocsparse_bfloat16S1_ffEEvbT1_lPT2_S4_jNS_24const_host_device_scalarIT6_EEPKS2_PKS3_PKT3_PKT4_S7_PT5_21rocsparse_index_base_b
		.amdhsa_group_segment_fixed_size 0
		.amdhsa_private_segment_fixed_size 0
		.amdhsa_kernarg_size 112
		.amdhsa_user_sgpr_count 15
		.amdhsa_user_sgpr_dispatch_ptr 0
		.amdhsa_user_sgpr_queue_ptr 0
		.amdhsa_user_sgpr_kernarg_segment_ptr 1
		.amdhsa_user_sgpr_dispatch_id 0
		.amdhsa_user_sgpr_private_segment_size 0
		.amdhsa_wavefront_size32 1
		.amdhsa_uses_dynamic_stack 0
		.amdhsa_enable_private_segment 0
		.amdhsa_system_sgpr_workgroup_id_x 1
		.amdhsa_system_sgpr_workgroup_id_y 0
		.amdhsa_system_sgpr_workgroup_id_z 0
		.amdhsa_system_sgpr_workgroup_info 0
		.amdhsa_system_vgpr_workitem_id 0
		.amdhsa_next_free_vgpr 15
		.amdhsa_next_free_sgpr 20
		.amdhsa_reserve_vcc 1
		.amdhsa_float_round_mode_32 0
		.amdhsa_float_round_mode_16_64 0
		.amdhsa_float_denorm_mode_32 3
		.amdhsa_float_denorm_mode_16_64 3
		.amdhsa_dx10_clamp 1
		.amdhsa_ieee_mode 1
		.amdhsa_fp16_overflow 0
		.amdhsa_workgroup_processor_mode 1
		.amdhsa_memory_ordered 1
		.amdhsa_forward_progress 0
		.amdhsa_shared_vgpr_count 0
		.amdhsa_exception_fp_ieee_invalid_op 0
		.amdhsa_exception_fp_denorm_src 0
		.amdhsa_exception_fp_ieee_div_zero 0
		.amdhsa_exception_fp_ieee_overflow 0
		.amdhsa_exception_fp_ieee_underflow 0
		.amdhsa_exception_fp_ieee_inexact 0
		.amdhsa_exception_int_div_zero 0
	.end_amdhsa_kernel
	.section	.text._ZN9rocsparseL41csrmvn_lrb_medium_rows_warp_reduce_kernelILj256ELj32Eli18rocsparse_bfloat16S1_ffEEvbT1_lPT2_S4_jNS_24const_host_device_scalarIT6_EEPKS2_PKS3_PKT3_PKT4_S7_PT5_21rocsparse_index_base_b,"axG",@progbits,_ZN9rocsparseL41csrmvn_lrb_medium_rows_warp_reduce_kernelILj256ELj32Eli18rocsparse_bfloat16S1_ffEEvbT1_lPT2_S4_jNS_24const_host_device_scalarIT6_EEPKS2_PKS3_PKT3_PKT4_S7_PT5_21rocsparse_index_base_b,comdat
.Lfunc_end142:
	.size	_ZN9rocsparseL41csrmvn_lrb_medium_rows_warp_reduce_kernelILj256ELj32Eli18rocsparse_bfloat16S1_ffEEvbT1_lPT2_S4_jNS_24const_host_device_scalarIT6_EEPKS2_PKS3_PKT3_PKT4_S7_PT5_21rocsparse_index_base_b, .Lfunc_end142-_ZN9rocsparseL41csrmvn_lrb_medium_rows_warp_reduce_kernelILj256ELj32Eli18rocsparse_bfloat16S1_ffEEvbT1_lPT2_S4_jNS_24const_host_device_scalarIT6_EEPKS2_PKS3_PKT3_PKT4_S7_PT5_21rocsparse_index_base_b
                                        ; -- End function
	.section	.AMDGPU.csdata,"",@progbits
; Kernel info:
; codeLenInByte = 936
; NumSgprs: 22
; NumVgprs: 15
; ScratchSize: 0
; MemoryBound: 0
; FloatMode: 240
; IeeeMode: 1
; LDSByteSize: 0 bytes/workgroup (compile time only)
; SGPRBlocks: 2
; VGPRBlocks: 1
; NumSGPRsForWavesPerEU: 22
; NumVGPRsForWavesPerEU: 15
; Occupancy: 16
; WaveLimiterHint : 1
; COMPUTE_PGM_RSRC2:SCRATCH_EN: 0
; COMPUTE_PGM_RSRC2:USER_SGPR: 15
; COMPUTE_PGM_RSRC2:TRAP_HANDLER: 0
; COMPUTE_PGM_RSRC2:TGID_X_EN: 1
; COMPUTE_PGM_RSRC2:TGID_Y_EN: 0
; COMPUTE_PGM_RSRC2:TGID_Z_EN: 0
; COMPUTE_PGM_RSRC2:TIDIG_COMP_CNT: 0
	.section	.text._ZN9rocsparseL41csrmvn_lrb_medium_rows_warp_reduce_kernelILj256ELj64Eli18rocsparse_bfloat16S1_ffEEvbT1_lPT2_S4_jNS_24const_host_device_scalarIT6_EEPKS2_PKS3_PKT3_PKT4_S7_PT5_21rocsparse_index_base_b,"axG",@progbits,_ZN9rocsparseL41csrmvn_lrb_medium_rows_warp_reduce_kernelILj256ELj64Eli18rocsparse_bfloat16S1_ffEEvbT1_lPT2_S4_jNS_24const_host_device_scalarIT6_EEPKS2_PKS3_PKT3_PKT4_S7_PT5_21rocsparse_index_base_b,comdat
	.globl	_ZN9rocsparseL41csrmvn_lrb_medium_rows_warp_reduce_kernelILj256ELj64Eli18rocsparse_bfloat16S1_ffEEvbT1_lPT2_S4_jNS_24const_host_device_scalarIT6_EEPKS2_PKS3_PKT3_PKT4_S7_PT5_21rocsparse_index_base_b ; -- Begin function _ZN9rocsparseL41csrmvn_lrb_medium_rows_warp_reduce_kernelILj256ELj64Eli18rocsparse_bfloat16S1_ffEEvbT1_lPT2_S4_jNS_24const_host_device_scalarIT6_EEPKS2_PKS3_PKT3_PKT4_S7_PT5_21rocsparse_index_base_b
	.p2align	8
	.type	_ZN9rocsparseL41csrmvn_lrb_medium_rows_warp_reduce_kernelILj256ELj64Eli18rocsparse_bfloat16S1_ffEEvbT1_lPT2_S4_jNS_24const_host_device_scalarIT6_EEPKS2_PKS3_PKT3_PKT4_S7_PT5_21rocsparse_index_base_b,@function
_ZN9rocsparseL41csrmvn_lrb_medium_rows_warp_reduce_kernelILj256ELj64Eli18rocsparse_bfloat16S1_ffEEvbT1_lPT2_S4_jNS_24const_host_device_scalarIT6_EEPKS2_PKS3_PKT3_PKT4_S7_PT5_21rocsparse_index_base_b: ; @_ZN9rocsparseL41csrmvn_lrb_medium_rows_warp_reduce_kernelILj256ELj64Eli18rocsparse_bfloat16S1_ffEEvbT1_lPT2_S4_jNS_24const_host_device_scalarIT6_EEPKS2_PKS3_PKT3_PKT4_S7_PT5_21rocsparse_index_base_b
; %bb.0:
	s_clause 0x2
	s_load_b64 s[4:5], s[0:1], 0x68
	s_load_b64 s[6:7], s[0:1], 0x30
	;; [unrolled: 1-line block ×3, first 2 shown]
	s_waitcnt lgkmcnt(0)
	s_bitcmp1_b32 s5, 0
	s_cselect_b32 s5, -1, 0
	s_delay_alu instid0(SALU_CYCLE_1)
	s_and_b32 vcc_lo, exec_lo, s5
	s_xor_b32 s5, s5, -1
	s_cbranch_vccnz .LBB143_2
; %bb.1:
	s_load_b32 s6, s[6:7], 0x0
.LBB143_2:
	s_and_not1_b32 vcc_lo, exec_lo, s5
	s_cbranch_vccnz .LBB143_4
; %bb.3:
	s_load_b32 s2, s[2:3], 0x0
.LBB143_4:
	s_waitcnt lgkmcnt(0)
	v_cmp_neq_f32_e64 s3, s6, 0
	v_cmp_neq_f32_e64 s5, s2, 1.0
	s_delay_alu instid0(VALU_DEP_1) | instskip(NEXT) | instid1(SALU_CYCLE_1)
	s_or_b32 s3, s3, s5
	s_and_not1_b32 vcc_lo, exec_lo, s3
	s_cbranch_vccnz .LBB143_14
; %bb.5:
	s_load_b64 s[8:9], s[0:1], 0x10
	v_lshrrev_b32_e32 v1, 6, v0
	s_mov_b32 s3, exec_lo
	s_delay_alu instid0(VALU_DEP_1) | instskip(NEXT) | instid1(VALU_DEP_1)
	v_lshl_or_b32 v1, s15, 2, v1
	v_ashrrev_i32_e32 v2, 31, v1
	s_waitcnt lgkmcnt(0)
	s_delay_alu instid0(VALU_DEP_1)
	v_cmpx_gt_i64_e64 s[8:9], v[1:2]
	s_cbranch_execz .LBB143_14
; %bb.6:
	s_clause 0x1
	s_load_b32 s10, s[0:1], 0x28
	s_load_b128 s[12:15], s[0:1], 0x18
	s_mov_b32 s11, 0
	v_dual_mov_b32 v11, 0 :: v_dual_and_b32 v0, 63, v0
	s_waitcnt lgkmcnt(0)
	s_lshl_b64 s[8:9], s[10:11], 2
	s_delay_alu instid0(SALU_CYCLE_1)
	s_add_u32 s8, s14, s8
	s_addc_u32 s9, s15, s9
	s_load_b32 s3, s[8:9], 0x0
	s_load_b64 s[8:9], s[0:1], 0x38
	s_waitcnt lgkmcnt(0)
	v_add_nc_u32_e32 v1, s3, v1
	v_sub_co_u32 v9, s3, v0, s4
	s_delay_alu instid0(VALU_DEP_1) | instskip(NEXT) | instid1(VALU_DEP_3)
	v_sub_co_ci_u32_e64 v10, null, 0, 0, s3
	v_ashrrev_i32_e32 v2, 31, v1
	s_mov_b32 s3, exec_lo
	s_delay_alu instid0(VALU_DEP_1) | instskip(NEXT) | instid1(VALU_DEP_1)
	v_lshlrev_b64 v[1:2], 2, v[1:2]
	v_add_co_u32 v1, vcc_lo, s12, v1
	s_delay_alu instid0(VALU_DEP_2) | instskip(SKIP_3) | instid1(VALU_DEP_1)
	v_add_co_ci_u32_e32 v2, vcc_lo, s13, v2, vcc_lo
	global_load_b32 v1, v[1:2], off
	s_waitcnt vmcnt(0)
	v_ashrrev_i32_e32 v2, 31, v1
	v_lshlrev_b64 v[3:4], 3, v[1:2]
	s_delay_alu instid0(VALU_DEP_1) | instskip(NEXT) | instid1(VALU_DEP_2)
	v_add_co_u32 v3, vcc_lo, s8, v3
	v_add_co_ci_u32_e32 v4, vcc_lo, s9, v4, vcc_lo
	s_load_b64 s[8:9], s[0:1], 0x60
	global_load_b128 v[5:8], v[3:4], off
	s_waitcnt vmcnt(0)
	v_sub_co_u32 v3, vcc_lo, v7, s4
	v_subrev_co_ci_u32_e32 v4, vcc_lo, 0, v8, vcc_lo
	v_add_co_u32 v5, vcc_lo, v5, v9
	v_add_co_ci_u32_e32 v6, vcc_lo, v6, v10, vcc_lo
	s_delay_alu instid0(VALU_DEP_1)
	v_cmpx_lt_i64_e64 v[5:6], v[3:4]
	s_cbranch_execz .LBB143_10
; %bb.7:
	s_clause 0x1
	s_load_b128 s[16:19], s[0:1], 0x40
	s_load_b64 s[12:13], s[0:1], 0x50
	v_lshlrev_b64 v[7:8], 1, v[5:6]
	v_lshlrev_b64 v[9:10], 2, v[5:6]
	v_mov_b32_e32 v11, 0
	s_waitcnt lgkmcnt(0)
	s_delay_alu instid0(VALU_DEP_3) | instskip(NEXT) | instid1(VALU_DEP_4)
	v_add_co_u32 v7, vcc_lo, s18, v7
	v_add_co_ci_u32_e32 v8, vcc_lo, s19, v8, vcc_lo
	s_delay_alu instid0(VALU_DEP_4)
	v_add_co_u32 v9, vcc_lo, s16, v9
	v_add_co_ci_u32_e32 v10, vcc_lo, s17, v10, vcc_lo
	s_set_inst_prefetch_distance 0x1
	.p2align	6
.LBB143_8:                              ; =>This Inner Loop Header: Depth=1
	global_load_b32 v12, v[9:10], off
	global_load_u16 v14, v[7:8], off
	v_add_co_u32 v9, s0, 0x100, v9
	s_delay_alu instid0(VALU_DEP_1) | instskip(SKIP_2) | instid1(VALU_DEP_1)
	v_add_co_ci_u32_e64 v10, s0, 0, v10, s0
	s_waitcnt vmcnt(1)
	v_subrev_nc_u32_e32 v12, s4, v12
	v_ashrrev_i32_e32 v13, 31, v12
	s_delay_alu instid0(VALU_DEP_1) | instskip(NEXT) | instid1(VALU_DEP_1)
	v_lshlrev_b64 v[12:13], 1, v[12:13]
	v_add_co_u32 v12, vcc_lo, s12, v12
	s_delay_alu instid0(VALU_DEP_2)
	v_add_co_ci_u32_e32 v13, vcc_lo, s13, v13, vcc_lo
	v_add_co_u32 v5, vcc_lo, v5, 64
	v_add_co_ci_u32_e32 v6, vcc_lo, 0, v6, vcc_lo
	global_load_u16 v12, v[12:13], off
	s_waitcnt vmcnt(1)
	v_lshlrev_b32_e32 v13, 16, v14
	v_add_co_u32 v7, vcc_lo, 0x80, v7
	v_add_co_ci_u32_e32 v8, vcc_lo, 0, v8, vcc_lo
	s_delay_alu instid0(VALU_DEP_3) | instskip(SKIP_4) | instid1(VALU_DEP_1)
	v_mul_f32_e32 v13, s6, v13
	v_cmp_ge_i64_e32 vcc_lo, v[5:6], v[3:4]
	s_or_b32 s11, vcc_lo, s11
	s_waitcnt vmcnt(0)
	v_lshlrev_b32_e32 v12, 16, v12
	v_fmac_f32_e32 v11, v13, v12
	s_and_not1_b32 exec_lo, exec_lo, s11
	s_cbranch_execnz .LBB143_8
; %bb.9:
	s_set_inst_prefetch_distance 0x2
	s_or_b32 exec_lo, exec_lo, s11
.LBB143_10:
	s_delay_alu instid0(SALU_CYCLE_1) | instskip(SKIP_1) | instid1(VALU_DEP_1)
	s_or_b32 exec_lo, exec_lo, s3
	v_mbcnt_lo_u32_b32 v3, -1, 0
	v_or_b32_e32 v4, 32, v3
	v_xor_b32_e32 v5, 16, v3
	v_xor_b32_e32 v6, 8, v3
	s_delay_alu instid0(VALU_DEP_3) | instskip(SKIP_1) | instid1(VALU_DEP_4)
	v_cmp_gt_i32_e32 vcc_lo, 32, v4
	v_cndmask_b32_e32 v4, v3, v4, vcc_lo
	v_cmp_gt_i32_e32 vcc_lo, 32, v5
	v_cndmask_b32_e32 v5, v3, v5, vcc_lo
	;; [unrolled: 2-line block ×3, first 2 shown]
	s_delay_alu instid0(VALU_DEP_1) | instskip(NEXT) | instid1(VALU_DEP_4)
	v_lshlrev_b32_e32 v6, 2, v6
	v_lshlrev_b32_e32 v5, 2, v5
	;; [unrolled: 1-line block ×3, first 2 shown]
	ds_bpermute_b32 v4, v4, v11
	s_waitcnt lgkmcnt(0)
	v_add_f32_e32 v4, v11, v4
	ds_bpermute_b32 v5, v5, v4
	s_waitcnt lgkmcnt(0)
	v_add_f32_e32 v4, v4, v5
	ds_bpermute_b32 v5, v6, v4
	v_xor_b32_e32 v6, 4, v3
	s_delay_alu instid0(VALU_DEP_1) | instskip(SKIP_1) | instid1(VALU_DEP_1)
	v_cmp_gt_i32_e32 vcc_lo, 32, v6
	v_cndmask_b32_e32 v6, v3, v6, vcc_lo
	v_lshlrev_b32_e32 v6, 2, v6
	s_waitcnt lgkmcnt(0)
	v_add_f32_e32 v4, v4, v5
	ds_bpermute_b32 v5, v6, v4
	v_xor_b32_e32 v6, 2, v3
	s_delay_alu instid0(VALU_DEP_1) | instskip(SKIP_1) | instid1(VALU_DEP_1)
	v_cmp_gt_i32_e32 vcc_lo, 32, v6
	v_cndmask_b32_e32 v6, v3, v6, vcc_lo
	v_lshlrev_b32_e32 v6, 2, v6
	s_waitcnt lgkmcnt(0)
	v_add_f32_e32 v4, v4, v5
	ds_bpermute_b32 v5, v6, v4
	v_xor_b32_e32 v6, 1, v3
	s_delay_alu instid0(VALU_DEP_1) | instskip(SKIP_3) | instid1(VALU_DEP_2)
	v_cmp_gt_i32_e32 vcc_lo, 32, v6
	v_cndmask_b32_e32 v6, v3, v6, vcc_lo
	v_cmp_eq_u32_e32 vcc_lo, 63, v0
	s_waitcnt lgkmcnt(0)
	v_dual_add_f32 v3, v4, v5 :: v_dual_lshlrev_b32 v4, 2, v6
	ds_bpermute_b32 v4, v4, v3
	s_and_b32 exec_lo, exec_lo, vcc_lo
	s_cbranch_execz .LBB143_14
; %bb.11:
	v_cmp_eq_f32_e64 s0, s2, 0
	v_lshlrev_b64 v[0:1], 2, v[1:2]
	s_waitcnt lgkmcnt(0)
	v_add_f32_e32 v3, v3, v4
	s_delay_alu instid0(VALU_DEP_3)
	s_and_b32 vcc_lo, exec_lo, s0
	s_cbranch_vccnz .LBB143_13
; %bb.12:
	s_delay_alu instid0(VALU_DEP_2)
	v_add_co_u32 v4, vcc_lo, s8, v0
	v_add_co_ci_u32_e32 v5, vcc_lo, s9, v1, vcc_lo
	global_load_b32 v2, v[4:5], off
	s_waitcnt vmcnt(0)
	v_fmac_f32_e32 v3, s2, v2
.LBB143_13:
	s_delay_alu instid0(VALU_DEP_2)
	v_add_co_u32 v0, vcc_lo, s8, v0
	v_add_co_ci_u32_e32 v1, vcc_lo, s9, v1, vcc_lo
	global_store_b32 v[0:1], v3, off
.LBB143_14:
	s_nop 0
	s_sendmsg sendmsg(MSG_DEALLOC_VGPRS)
	s_endpgm
	.section	.rodata,"a",@progbits
	.p2align	6, 0x0
	.amdhsa_kernel _ZN9rocsparseL41csrmvn_lrb_medium_rows_warp_reduce_kernelILj256ELj64Eli18rocsparse_bfloat16S1_ffEEvbT1_lPT2_S4_jNS_24const_host_device_scalarIT6_EEPKS2_PKS3_PKT3_PKT4_S7_PT5_21rocsparse_index_base_b
		.amdhsa_group_segment_fixed_size 0
		.amdhsa_private_segment_fixed_size 0
		.amdhsa_kernarg_size 112
		.amdhsa_user_sgpr_count 15
		.amdhsa_user_sgpr_dispatch_ptr 0
		.amdhsa_user_sgpr_queue_ptr 0
		.amdhsa_user_sgpr_kernarg_segment_ptr 1
		.amdhsa_user_sgpr_dispatch_id 0
		.amdhsa_user_sgpr_private_segment_size 0
		.amdhsa_wavefront_size32 1
		.amdhsa_uses_dynamic_stack 0
		.amdhsa_enable_private_segment 0
		.amdhsa_system_sgpr_workgroup_id_x 1
		.amdhsa_system_sgpr_workgroup_id_y 0
		.amdhsa_system_sgpr_workgroup_id_z 0
		.amdhsa_system_sgpr_workgroup_info 0
		.amdhsa_system_vgpr_workitem_id 0
		.amdhsa_next_free_vgpr 15
		.amdhsa_next_free_sgpr 20
		.amdhsa_reserve_vcc 1
		.amdhsa_float_round_mode_32 0
		.amdhsa_float_round_mode_16_64 0
		.amdhsa_float_denorm_mode_32 3
		.amdhsa_float_denorm_mode_16_64 3
		.amdhsa_dx10_clamp 1
		.amdhsa_ieee_mode 1
		.amdhsa_fp16_overflow 0
		.amdhsa_workgroup_processor_mode 1
		.amdhsa_memory_ordered 1
		.amdhsa_forward_progress 0
		.amdhsa_shared_vgpr_count 0
		.amdhsa_exception_fp_ieee_invalid_op 0
		.amdhsa_exception_fp_denorm_src 0
		.amdhsa_exception_fp_ieee_div_zero 0
		.amdhsa_exception_fp_ieee_overflow 0
		.amdhsa_exception_fp_ieee_underflow 0
		.amdhsa_exception_fp_ieee_inexact 0
		.amdhsa_exception_int_div_zero 0
	.end_amdhsa_kernel
	.section	.text._ZN9rocsparseL41csrmvn_lrb_medium_rows_warp_reduce_kernelILj256ELj64Eli18rocsparse_bfloat16S1_ffEEvbT1_lPT2_S4_jNS_24const_host_device_scalarIT6_EEPKS2_PKS3_PKT3_PKT4_S7_PT5_21rocsparse_index_base_b,"axG",@progbits,_ZN9rocsparseL41csrmvn_lrb_medium_rows_warp_reduce_kernelILj256ELj64Eli18rocsparse_bfloat16S1_ffEEvbT1_lPT2_S4_jNS_24const_host_device_scalarIT6_EEPKS2_PKS3_PKT3_PKT4_S7_PT5_21rocsparse_index_base_b,comdat
.Lfunc_end143:
	.size	_ZN9rocsparseL41csrmvn_lrb_medium_rows_warp_reduce_kernelILj256ELj64Eli18rocsparse_bfloat16S1_ffEEvbT1_lPT2_S4_jNS_24const_host_device_scalarIT6_EEPKS2_PKS3_PKT3_PKT4_S7_PT5_21rocsparse_index_base_b, .Lfunc_end143-_ZN9rocsparseL41csrmvn_lrb_medium_rows_warp_reduce_kernelILj256ELj64Eli18rocsparse_bfloat16S1_ffEEvbT1_lPT2_S4_jNS_24const_host_device_scalarIT6_EEPKS2_PKS3_PKT3_PKT4_S7_PT5_21rocsparse_index_base_b
                                        ; -- End function
	.section	.AMDGPU.csdata,"",@progbits
; Kernel info:
; codeLenInByte = 984
; NumSgprs: 22
; NumVgprs: 15
; ScratchSize: 0
; MemoryBound: 0
; FloatMode: 240
; IeeeMode: 1
; LDSByteSize: 0 bytes/workgroup (compile time only)
; SGPRBlocks: 2
; VGPRBlocks: 1
; NumSGPRsForWavesPerEU: 22
; NumVGPRsForWavesPerEU: 15
; Occupancy: 16
; WaveLimiterHint : 1
; COMPUTE_PGM_RSRC2:SCRATCH_EN: 0
; COMPUTE_PGM_RSRC2:USER_SGPR: 15
; COMPUTE_PGM_RSRC2:TRAP_HANDLER: 0
; COMPUTE_PGM_RSRC2:TGID_X_EN: 1
; COMPUTE_PGM_RSRC2:TGID_Y_EN: 0
; COMPUTE_PGM_RSRC2:TGID_Z_EN: 0
; COMPUTE_PGM_RSRC2:TIDIG_COMP_CNT: 0
	.section	.text._ZN9rocsparseL29csrmvn_lrb_medium_rows_kernelILj256Eli18rocsparse_bfloat16S1_ffEEvbT0_PT1_S4_jNS_24const_host_device_scalarIT5_EEPKS2_PKS3_PKT2_PKT3_S7_PT4_21rocsparse_index_base_b,"axG",@progbits,_ZN9rocsparseL29csrmvn_lrb_medium_rows_kernelILj256Eli18rocsparse_bfloat16S1_ffEEvbT0_PT1_S4_jNS_24const_host_device_scalarIT5_EEPKS2_PKS3_PKT2_PKT3_S7_PT4_21rocsparse_index_base_b,comdat
	.globl	_ZN9rocsparseL29csrmvn_lrb_medium_rows_kernelILj256Eli18rocsparse_bfloat16S1_ffEEvbT0_PT1_S4_jNS_24const_host_device_scalarIT5_EEPKS2_PKS3_PKT2_PKT3_S7_PT4_21rocsparse_index_base_b ; -- Begin function _ZN9rocsparseL29csrmvn_lrb_medium_rows_kernelILj256Eli18rocsparse_bfloat16S1_ffEEvbT0_PT1_S4_jNS_24const_host_device_scalarIT5_EEPKS2_PKS3_PKT2_PKT3_S7_PT4_21rocsparse_index_base_b
	.p2align	8
	.type	_ZN9rocsparseL29csrmvn_lrb_medium_rows_kernelILj256Eli18rocsparse_bfloat16S1_ffEEvbT0_PT1_S4_jNS_24const_host_device_scalarIT5_EEPKS2_PKS3_PKT2_PKT3_S7_PT4_21rocsparse_index_base_b,@function
_ZN9rocsparseL29csrmvn_lrb_medium_rows_kernelILj256Eli18rocsparse_bfloat16S1_ffEEvbT0_PT1_S4_jNS_24const_host_device_scalarIT5_EEPKS2_PKS3_PKT2_PKT3_S7_PT4_21rocsparse_index_base_b: ; @_ZN9rocsparseL29csrmvn_lrb_medium_rows_kernelILj256Eli18rocsparse_bfloat16S1_ffEEvbT0_PT1_S4_jNS_24const_host_device_scalarIT5_EEPKS2_PKS3_PKT2_PKT3_S7_PT4_21rocsparse_index_base_b
; %bb.0:
	s_clause 0x2
	s_load_b64 s[8:9], s[0:1], 0x60
	s_load_b64 s[10:11], s[0:1], 0x28
	;; [unrolled: 1-line block ×3, first 2 shown]
	s_waitcnt lgkmcnt(0)
	s_bitcmp1_b32 s9, 0
	s_cselect_b32 s4, -1, 0
	s_delay_alu instid0(SALU_CYCLE_1)
	s_and_b32 vcc_lo, exec_lo, s4
	s_xor_b32 s4, s4, -1
	s_cbranch_vccnz .LBB144_2
; %bb.1:
	s_load_b32 s10, s[10:11], 0x0
.LBB144_2:
	s_and_not1_b32 vcc_lo, exec_lo, s4
	s_cbranch_vccnz .LBB144_4
; %bb.3:
	s_load_b32 s2, s[2:3], 0x0
.LBB144_4:
	s_waitcnt lgkmcnt(0)
	v_cmp_neq_f32_e64 s3, s10, 0
	v_cmp_neq_f32_e64 s4, s2, 1.0
	s_mov_b32 s5, 0
	s_delay_alu instid0(VALU_DEP_1) | instskip(NEXT) | instid1(SALU_CYCLE_1)
	s_or_b32 s3, s3, s4
	s_and_not1_b32 vcc_lo, exec_lo, s3
	s_cbranch_vccnz .LBB144_29
; %bb.5:
	s_clause 0x1
	s_load_b32 s4, s[0:1], 0x20
	s_load_b128 s[16:19], s[0:1], 0x10
	v_mov_b32_e32 v7, 0
	s_waitcnt lgkmcnt(0)
	s_lshl_b64 s[4:5], s[4:5], 2
	s_delay_alu instid0(SALU_CYCLE_1)
	s_add_u32 s4, s18, s4
	s_addc_u32 s5, s19, s5
	s_load_b32 s3, s[4:5], 0x0
	s_waitcnt lgkmcnt(0)
	s_add_i32 s4, s3, s15
	v_sub_co_u32 v1, s3, v0, s8
	s_ashr_i32 s5, s4, 31
	v_sub_co_ci_u32_e64 v2, null, 0, 0, s3
	s_lshl_b64 s[4:5], s[4:5], 2
	s_mov_b32 s3, exec_lo
	s_add_u32 s4, s16, s4
	s_addc_u32 s5, s17, s5
	s_load_b32 s4, s[4:5], 0x0
	s_load_b64 s[6:7], s[0:1], 0x30
	s_waitcnt lgkmcnt(0)
	s_ashr_i32 s5, s4, 31
	s_delay_alu instid0(SALU_CYCLE_1) | instskip(NEXT) | instid1(SALU_CYCLE_1)
	s_lshl_b64 s[12:13], s[4:5], 3
	s_add_u32 s6, s6, s12
	s_addc_u32 s7, s7, s13
	s_load_b128 s[12:15], s[6:7], 0x0
	s_load_b64 s[6:7], s[0:1], 0x58
	s_waitcnt lgkmcnt(0)
	v_add_co_u32 v1, vcc_lo, s12, v1
	v_add_co_ci_u32_e32 v2, vcc_lo, s13, v2, vcc_lo
	s_sub_u32 s12, s14, s8
	s_subb_u32 s13, s15, 0
	s_delay_alu instid0(VALU_DEP_1) | instid1(SALU_CYCLE_1)
	v_cmpx_gt_i64_e64 s[12:13], v[1:2]
	s_cbranch_execz .LBB144_9
; %bb.6:
	s_clause 0x1
	s_load_b128 s[16:19], s[0:1], 0x38
	s_load_b64 s[14:15], s[0:1], 0x48
	v_lshlrev_b64 v[3:4], 1, v[1:2]
	v_lshlrev_b64 v[5:6], 2, v[1:2]
	v_mov_b32_e32 v7, 0
	s_mov_b32 s1, 0
	s_waitcnt lgkmcnt(0)
	s_delay_alu instid0(VALU_DEP_3)
	v_add_co_u32 v3, vcc_lo, s18, v3
	v_add_co_ci_u32_e32 v4, vcc_lo, s19, v4, vcc_lo
	v_add_co_u32 v5, vcc_lo, s16, v5
	v_add_co_ci_u32_e32 v6, vcc_lo, s17, v6, vcc_lo
	s_set_inst_prefetch_distance 0x1
	.p2align	6
.LBB144_7:                              ; =>This Inner Loop Header: Depth=1
	global_load_b32 v8, v[5:6], off
	global_load_u16 v10, v[3:4], off
	v_add_co_u32 v5, s0, 0x400, v5
	s_delay_alu instid0(VALU_DEP_1) | instskip(SKIP_2) | instid1(VALU_DEP_1)
	v_add_co_ci_u32_e64 v6, s0, 0, v6, s0
	s_waitcnt vmcnt(1)
	v_subrev_nc_u32_e32 v8, s8, v8
	v_ashrrev_i32_e32 v9, 31, v8
	s_delay_alu instid0(VALU_DEP_1) | instskip(NEXT) | instid1(VALU_DEP_1)
	v_lshlrev_b64 v[8:9], 1, v[8:9]
	v_add_co_u32 v8, vcc_lo, s14, v8
	s_delay_alu instid0(VALU_DEP_2)
	v_add_co_ci_u32_e32 v9, vcc_lo, s15, v9, vcc_lo
	v_add_co_u32 v1, vcc_lo, 0x100, v1
	v_add_co_ci_u32_e32 v2, vcc_lo, 0, v2, vcc_lo
	global_load_u16 v8, v[8:9], off
	s_waitcnt vmcnt(1)
	v_lshlrev_b32_e32 v9, 16, v10
	v_add_co_u32 v3, vcc_lo, 0x200, v3
	v_add_co_ci_u32_e32 v4, vcc_lo, 0, v4, vcc_lo
	s_delay_alu instid0(VALU_DEP_3) | instskip(SKIP_4) | instid1(VALU_DEP_1)
	v_mul_f32_e32 v9, s10, v9
	v_cmp_le_i64_e32 vcc_lo, s[12:13], v[1:2]
	s_or_b32 s1, vcc_lo, s1
	s_waitcnt vmcnt(0)
	v_lshlrev_b32_e32 v8, 16, v8
	v_fmac_f32_e32 v7, v9, v8
	s_and_not1_b32 exec_lo, exec_lo, s1
	s_cbranch_execnz .LBB144_7
; %bb.8:
	s_set_inst_prefetch_distance 0x2
	s_or_b32 exec_lo, exec_lo, s1
.LBB144_9:
	s_delay_alu instid0(SALU_CYCLE_1)
	s_or_b32 exec_lo, exec_lo, s3
	v_lshlrev_b32_e32 v1, 2, v0
	s_mov_b32 s0, exec_lo
	ds_store_b32 v1, v7
	s_waitcnt lgkmcnt(0)
	s_barrier
	buffer_gl0_inv
	v_cmpx_gt_u32_e32 0x80, v0
	s_cbranch_execz .LBB144_11
; %bb.10:
	ds_load_2addr_stride64_b32 v[2:3], v1 offset1:2
	s_waitcnt lgkmcnt(0)
	v_add_f32_e32 v2, v2, v3
	ds_store_b32 v1, v2
.LBB144_11:
	s_or_b32 exec_lo, exec_lo, s0
	s_delay_alu instid0(SALU_CYCLE_1)
	s_mov_b32 s0, exec_lo
	s_waitcnt lgkmcnt(0)
	s_barrier
	buffer_gl0_inv
	v_cmpx_gt_u32_e32 64, v0
	s_cbranch_execz .LBB144_13
; %bb.12:
	ds_load_2addr_stride64_b32 v[2:3], v1 offset1:1
	s_waitcnt lgkmcnt(0)
	v_add_f32_e32 v2, v2, v3
	ds_store_b32 v1, v2
.LBB144_13:
	s_or_b32 exec_lo, exec_lo, s0
	s_delay_alu instid0(SALU_CYCLE_1)
	s_mov_b32 s0, exec_lo
	s_waitcnt lgkmcnt(0)
	s_barrier
	buffer_gl0_inv
	v_cmpx_gt_u32_e32 32, v0
	s_cbranch_execz .LBB144_15
; %bb.14:
	ds_load_2addr_b32 v[2:3], v1 offset1:32
	s_waitcnt lgkmcnt(0)
	v_add_f32_e32 v2, v2, v3
	ds_store_b32 v1, v2
.LBB144_15:
	s_or_b32 exec_lo, exec_lo, s0
	s_delay_alu instid0(SALU_CYCLE_1)
	s_mov_b32 s0, exec_lo
	s_waitcnt lgkmcnt(0)
	s_barrier
	buffer_gl0_inv
	v_cmpx_gt_u32_e32 16, v0
	s_cbranch_execz .LBB144_17
; %bb.16:
	ds_load_2addr_b32 v[2:3], v1 offset1:16
	s_waitcnt lgkmcnt(0)
	v_add_f32_e32 v2, v2, v3
	ds_store_b32 v1, v2
.LBB144_17:
	;; [unrolled: 14-line block ×5, first 2 shown]
	s_or_b32 exec_lo, exec_lo, s0
	v_cmp_eq_u32_e32 vcc_lo, 0, v0
	s_waitcnt lgkmcnt(0)
	s_barrier
	buffer_gl0_inv
	s_and_saveexec_b32 s0, vcc_lo
	s_cbranch_execz .LBB144_25
; %bb.24:
	v_mov_b32_e32 v2, 0
	ds_load_b64 v[0:1], v2
	s_waitcnt lgkmcnt(0)
	v_add_f32_e32 v0, v0, v1
	ds_store_b32 v2, v0
.LBB144_25:
	s_or_b32 exec_lo, exec_lo, s0
	s_waitcnt lgkmcnt(0)
	s_barrier
	buffer_gl0_inv
	s_and_saveexec_b32 s0, vcc_lo
	s_cbranch_execz .LBB144_29
; %bb.26:
	v_mov_b32_e32 v0, 0
	v_cmp_eq_f32_e64 s0, s2, 0
	ds_load_b32 v1, v0
	s_and_b32 vcc_lo, exec_lo, s0
	s_cbranch_vccnz .LBB144_28
; %bb.27:
	s_lshl_b64 s[0:1], s[4:5], 2
	s_delay_alu instid0(SALU_CYCLE_1)
	s_add_u32 s0, s6, s0
	s_addc_u32 s1, s7, s1
	s_load_b32 s0, s[0:1], 0x0
	s_waitcnt lgkmcnt(0)
	v_fmac_f32_e64 v1, s2, s0
.LBB144_28:
	s_lshl_b64 s[0:1], s[4:5], 2
	s_delay_alu instid0(SALU_CYCLE_1)
	s_add_u32 s0, s6, s0
	s_addc_u32 s1, s7, s1
	s_waitcnt lgkmcnt(0)
	global_store_b32 v0, v1, s[0:1]
.LBB144_29:
	s_nop 0
	s_sendmsg sendmsg(MSG_DEALLOC_VGPRS)
	s_endpgm
	.section	.rodata,"a",@progbits
	.p2align	6, 0x0
	.amdhsa_kernel _ZN9rocsparseL29csrmvn_lrb_medium_rows_kernelILj256Eli18rocsparse_bfloat16S1_ffEEvbT0_PT1_S4_jNS_24const_host_device_scalarIT5_EEPKS2_PKS3_PKT2_PKT3_S7_PT4_21rocsparse_index_base_b
		.amdhsa_group_segment_fixed_size 1024
		.amdhsa_private_segment_fixed_size 0
		.amdhsa_kernarg_size 104
		.amdhsa_user_sgpr_count 15
		.amdhsa_user_sgpr_dispatch_ptr 0
		.amdhsa_user_sgpr_queue_ptr 0
		.amdhsa_user_sgpr_kernarg_segment_ptr 1
		.amdhsa_user_sgpr_dispatch_id 0
		.amdhsa_user_sgpr_private_segment_size 0
		.amdhsa_wavefront_size32 1
		.amdhsa_uses_dynamic_stack 0
		.amdhsa_enable_private_segment 0
		.amdhsa_system_sgpr_workgroup_id_x 1
		.amdhsa_system_sgpr_workgroup_id_y 0
		.amdhsa_system_sgpr_workgroup_id_z 0
		.amdhsa_system_sgpr_workgroup_info 0
		.amdhsa_system_vgpr_workitem_id 0
		.amdhsa_next_free_vgpr 11
		.amdhsa_next_free_sgpr 20
		.amdhsa_reserve_vcc 1
		.amdhsa_float_round_mode_32 0
		.amdhsa_float_round_mode_16_64 0
		.amdhsa_float_denorm_mode_32 3
		.amdhsa_float_denorm_mode_16_64 3
		.amdhsa_dx10_clamp 1
		.amdhsa_ieee_mode 1
		.amdhsa_fp16_overflow 0
		.amdhsa_workgroup_processor_mode 1
		.amdhsa_memory_ordered 1
		.amdhsa_forward_progress 0
		.amdhsa_shared_vgpr_count 0
		.amdhsa_exception_fp_ieee_invalid_op 0
		.amdhsa_exception_fp_denorm_src 0
		.amdhsa_exception_fp_ieee_div_zero 0
		.amdhsa_exception_fp_ieee_overflow 0
		.amdhsa_exception_fp_ieee_underflow 0
		.amdhsa_exception_fp_ieee_inexact 0
		.amdhsa_exception_int_div_zero 0
	.end_amdhsa_kernel
	.section	.text._ZN9rocsparseL29csrmvn_lrb_medium_rows_kernelILj256Eli18rocsparse_bfloat16S1_ffEEvbT0_PT1_S4_jNS_24const_host_device_scalarIT5_EEPKS2_PKS3_PKT2_PKT3_S7_PT4_21rocsparse_index_base_b,"axG",@progbits,_ZN9rocsparseL29csrmvn_lrb_medium_rows_kernelILj256Eli18rocsparse_bfloat16S1_ffEEvbT0_PT1_S4_jNS_24const_host_device_scalarIT5_EEPKS2_PKS3_PKT2_PKT3_S7_PT4_21rocsparse_index_base_b,comdat
.Lfunc_end144:
	.size	_ZN9rocsparseL29csrmvn_lrb_medium_rows_kernelILj256Eli18rocsparse_bfloat16S1_ffEEvbT0_PT1_S4_jNS_24const_host_device_scalarIT5_EEPKS2_PKS3_PKT2_PKT3_S7_PT4_21rocsparse_index_base_b, .Lfunc_end144-_ZN9rocsparseL29csrmvn_lrb_medium_rows_kernelILj256Eli18rocsparse_bfloat16S1_ffEEvbT0_PT1_S4_jNS_24const_host_device_scalarIT5_EEPKS2_PKS3_PKT2_PKT3_S7_PT4_21rocsparse_index_base_b
                                        ; -- End function
	.section	.AMDGPU.csdata,"",@progbits
; Kernel info:
; codeLenInByte = 1192
; NumSgprs: 22
; NumVgprs: 11
; ScratchSize: 0
; MemoryBound: 0
; FloatMode: 240
; IeeeMode: 1
; LDSByteSize: 1024 bytes/workgroup (compile time only)
; SGPRBlocks: 2
; VGPRBlocks: 1
; NumSGPRsForWavesPerEU: 22
; NumVGPRsForWavesPerEU: 11
; Occupancy: 16
; WaveLimiterHint : 1
; COMPUTE_PGM_RSRC2:SCRATCH_EN: 0
; COMPUTE_PGM_RSRC2:USER_SGPR: 15
; COMPUTE_PGM_RSRC2:TRAP_HANDLER: 0
; COMPUTE_PGM_RSRC2:TGID_X_EN: 1
; COMPUTE_PGM_RSRC2:TGID_Y_EN: 0
; COMPUTE_PGM_RSRC2:TGID_Z_EN: 0
; COMPUTE_PGM_RSRC2:TIDIG_COMP_CNT: 0
	.section	.text._ZN9rocsparseL27csrmvn_lrb_long_rows_kernelIli18rocsparse_bfloat16S1_ffEEvbT_PjPT0_S5_jNS_24const_host_device_scalarIT4_EEPKS2_PKS4_PKT1_PKT2_S8_PT3_21rocsparse_index_base_b,"axG",@progbits,_ZN9rocsparseL27csrmvn_lrb_long_rows_kernelIli18rocsparse_bfloat16S1_ffEEvbT_PjPT0_S5_jNS_24const_host_device_scalarIT4_EEPKS2_PKS4_PKT1_PKT2_S8_PT3_21rocsparse_index_base_b,comdat
	.globl	_ZN9rocsparseL27csrmvn_lrb_long_rows_kernelIli18rocsparse_bfloat16S1_ffEEvbT_PjPT0_S5_jNS_24const_host_device_scalarIT4_EEPKS2_PKS4_PKT1_PKT2_S8_PT3_21rocsparse_index_base_b ; -- Begin function _ZN9rocsparseL27csrmvn_lrb_long_rows_kernelIli18rocsparse_bfloat16S1_ffEEvbT_PjPT0_S5_jNS_24const_host_device_scalarIT4_EEPKS2_PKS4_PKT1_PKT2_S8_PT3_21rocsparse_index_base_b
	.p2align	8
	.type	_ZN9rocsparseL27csrmvn_lrb_long_rows_kernelIli18rocsparse_bfloat16S1_ffEEvbT_PjPT0_S5_jNS_24const_host_device_scalarIT4_EEPKS2_PKS4_PKT1_PKT2_S8_PT3_21rocsparse_index_base_b,@function
_ZN9rocsparseL27csrmvn_lrb_long_rows_kernelIli18rocsparse_bfloat16S1_ffEEvbT_PjPT0_S5_jNS_24const_host_device_scalarIT4_EEPKS2_PKS4_PKT1_PKT2_S8_PT3_21rocsparse_index_base_b: ; @_ZN9rocsparseL27csrmvn_lrb_long_rows_kernelIli18rocsparse_bfloat16S1_ffEEvbT_PjPT0_S5_jNS_24const_host_device_scalarIT4_EEPKS2_PKS4_PKT1_PKT2_S8_PT3_21rocsparse_index_base_b
; %bb.0:
	s_clause 0x2
	s_load_b64 s[16:17], s[0:1], 0x68
	s_load_b64 s[18:19], s[0:1], 0x30
	;; [unrolled: 1-line block ×3, first 2 shown]
	s_mov_b32 s8, s15
	s_waitcnt lgkmcnt(0)
	s_bitcmp1_b32 s17, 0
	s_cselect_b32 s2, -1, 0
	s_delay_alu instid0(SALU_CYCLE_1)
	s_and_b32 vcc_lo, exec_lo, s2
	s_xor_b32 s2, s2, -1
	s_cbranch_vccnz .LBB145_2
; %bb.1:
	s_load_b32 s18, s[18:19], 0x0
.LBB145_2:
	s_and_not1_b32 vcc_lo, exec_lo, s2
	s_cbranch_vccnz .LBB145_4
; %bb.3:
	s_load_b32 s20, s[20:21], 0x0
.LBB145_4:
	s_waitcnt lgkmcnt(0)
	v_cmp_neq_f32_e64 s2, s18, 0
	v_cmp_neq_f32_e64 s3, s20, 1.0
	s_delay_alu instid0(VALU_DEP_1)
	s_or_b32 s2, s2, s3
	s_mov_b32 s3, 0
	s_and_not1_b32 vcc_lo, exec_lo, s2
	s_cbranch_vccnz .LBB145_39
; %bb.5:
	s_clause 0x1
	s_load_b32 s2, s[0:1], 0x28
	s_load_b64 s[4:5], s[0:1], 0x20
	v_mov_b32_e32 v7, 0
	s_mov_b32 s21, exec_lo
	s_waitcnt lgkmcnt(0)
	s_lshl_b64 s[6:7], s[2:3], 2
	s_delay_alu instid0(SALU_CYCLE_1)
	s_add_u32 s4, s4, s6
	s_addc_u32 s5, s5, s7
	s_lshl_b32 s2, -1, s2
	s_load_b32 s10, s[4:5], 0x0
	s_not_b32 s2, s2
	s_load_b128 s[4:7], s[0:1], 0x10
	s_mul_hi_u32 s2, s2, 0x2aaaaaab
	s_delay_alu instid0(SALU_CYCLE_1) | instskip(NEXT) | instid1(SALU_CYCLE_1)
	s_lshr_b32 s2, s2, 7
	s_add_i32 s9, s2, 1
	s_not_b32 s2, s2
	v_cvt_f32_u32_e32 v1, s9
	s_delay_alu instid0(VALU_DEP_1) | instskip(SKIP_2) | instid1(VALU_DEP_1)
	v_rcp_iflag_f32_e32 v1, v1
	s_waitcnt_depctr 0xfff
	v_mul_f32_e32 v1, 0x4f7ffffe, v1
	v_cvt_u32_f32_e32 v1, v1
	s_delay_alu instid0(VALU_DEP_1) | instskip(NEXT) | instid1(VALU_DEP_1)
	v_readfirstlane_b32 s3, v1
	s_mul_i32 s2, s2, s3
	s_delay_alu instid0(SALU_CYCLE_1) | instskip(NEXT) | instid1(SALU_CYCLE_1)
	s_mul_hi_u32 s2, s3, s2
	s_add_i32 s3, s3, s2
	s_delay_alu instid0(SALU_CYCLE_1) | instskip(NEXT) | instid1(SALU_CYCLE_1)
	s_mul_hi_u32 s2, s8, s3
	s_mul_i32 s3, s2, s9
	s_add_i32 s11, s2, 1
	s_sub_i32 s3, s8, s3
	s_delay_alu instid0(SALU_CYCLE_1)
	s_sub_i32 s12, s3, s9
	s_cmp_ge_u32 s3, s9
	s_cselect_b32 s2, s11, s2
	s_cselect_b32 s3, s12, s3
	s_add_i32 s11, s2, 1
	s_cmp_ge_u32 s3, s9
	s_cselect_b32 s11, s11, s2
	s_waitcnt lgkmcnt(0)
	s_add_i32 s2, s11, s10
	s_mul_i32 s14, s11, s9
	s_ashr_i32 s3, s2, 31
	s_sub_i32 s19, s8, s14
	s_lshl_b64 s[2:3], s[2:3], 2
	v_or_b32_e32 v1, s19, v0
	s_add_u32 s2, s6, s2
	s_addc_u32 s3, s7, s3
	s_load_b32 s2, s[2:3], 0x0
	s_load_b64 s[6:7], s[0:1], 0x38
	s_waitcnt lgkmcnt(0)
	s_ashr_i32 s3, s2, 31
	s_delay_alu instid0(SALU_CYCLE_1) | instskip(NEXT) | instid1(SALU_CYCLE_1)
	s_lshl_b64 s[10:11], s[2:3], 3
	s_add_u32 s10, s6, s10
	s_addc_u32 s11, s7, s11
	s_ashr_i32 s9, s8, 31
	s_load_b64 s[6:7], s[0:1], 0x60
	s_lshl_b64 s[8:9], s[8:9], 2
	s_delay_alu instid0(SALU_CYCLE_1)
	s_add_u32 s12, s4, s8
	s_addc_u32 s13, s5, s9
	s_load_b128 s[8:11], s[10:11], 0x0
	s_load_b32 s17, s[12:13], 0x0
	v_cmpx_eq_u32_e32 0, v1
	s_cbranch_execz .LBB145_9
; %bb.6:
	s_lshl_b64 s[24:25], s[2:3], 2
	s_mov_b32 s23, exec_lo
	s_waitcnt lgkmcnt(0)
	s_add_u32 s24, s6, s24
	s_addc_u32 s25, s7, s25
	v_mbcnt_lo_u32_b32 v2, s23, 0
	s_load_b32 s22, s[24:25], 0x0
	v_add_f32_e64 v1, s20, -1.0
	s_mov_b32 s20, exec_lo
	s_waitcnt vmcnt(0) expcnt(0) lgkmcnt(0)
	v_cmpx_eq_u32_e32 0, v2
	s_cbranch_execz .LBB145_8
; %bb.7:
	s_ashr_i32 s15, s14, 31
	s_delay_alu instid0(SALU_CYCLE_1) | instskip(NEXT) | instid1(SALU_CYCLE_1)
	s_lshl_b64 s[24:25], s[14:15], 2
	s_add_u32 s24, s4, s24
	s_addc_u32 s25, s5, s25
	s_bcnt1_i32_b32 s15, s23
	s_delay_alu instid0(SALU_CYCLE_1) | instskip(NEXT) | instid1(SALU_CYCLE_1)
	s_and_b32 s15, s15, 1
	v_dual_mov_b32 v2, 0 :: v_dual_mov_b32 v3, s15
	global_atomic_xor_b32 v2, v3, s[24:25]
.LBB145_8:
	s_or_b32 exec_lo, exec_lo, s20
	v_mul_f32_e32 v7, s22, v1
.LBB145_9:
	s_or_b32 exec_lo, exec_lo, s21
	s_mul_i32 s20, s19, 3
	s_mov_b32 s21, 0
	s_delay_alu instid0(SALU_CYCLE_1)
	s_lshl_b64 s[22:23], s[20:21], 8
	s_waitcnt lgkmcnt(0)
	s_sub_u32 s8, s8, s16
	s_subb_u32 s9, s9, 0
	s_add_u32 s15, s8, s22
	s_addc_u32 s20, s9, s23
	s_sub_u32 s8, s10, s16
	s_subb_u32 s9, s11, 0
	s_add_u32 s10, s15, 0x300
	s_addc_u32 s11, s20, 0
	v_add_co_u32 v1, s15, s15, v0
	v_cmp_lt_i64_e64 s22, s[10:11], s[8:9]
	v_add_co_ci_u32_e64 v2, null, s20, 0, s15
	s_delay_alu instid0(VALU_DEP_2)
	s_and_b32 s15, s22, exec_lo
	s_cselect_b32 s9, s11, s9
	s_cselect_b32 s8, s10, s8
	s_mov_b32 s15, exec_lo
	v_cmpx_gt_i64_e64 s[8:9], v[1:2]
	s_cbranch_execz .LBB145_13
; %bb.10:
	s_clause 0x1
	s_load_b128 s[24:27], s[0:1], 0x40
	s_load_b64 s[10:11], s[0:1], 0x50
	v_lshlrev_b64 v[3:4], 1, v[1:2]
	v_lshlrev_b64 v[5:6], 2, v[1:2]
	s_waitcnt lgkmcnt(0)
	s_delay_alu instid0(VALU_DEP_2) | instskip(NEXT) | instid1(VALU_DEP_3)
	v_add_co_u32 v3, vcc_lo, s26, v3
	v_add_co_ci_u32_e32 v4, vcc_lo, s27, v4, vcc_lo
	s_delay_alu instid0(VALU_DEP_3) | instskip(NEXT) | instid1(VALU_DEP_4)
	v_add_co_u32 v5, vcc_lo, s24, v5
	v_add_co_ci_u32_e32 v6, vcc_lo, s25, v6, vcc_lo
	s_set_inst_prefetch_distance 0x1
	.p2align	6
.LBB145_11:                             ; =>This Inner Loop Header: Depth=1
	global_load_b32 v8, v[5:6], off
	global_load_u16 v10, v[3:4], off
	v_add_co_u32 v5, s0, 0x400, v5
	s_delay_alu instid0(VALU_DEP_1) | instskip(SKIP_2) | instid1(VALU_DEP_1)
	v_add_co_ci_u32_e64 v6, s0, 0, v6, s0
	s_waitcnt vmcnt(1)
	v_subrev_nc_u32_e32 v8, s16, v8
	v_ashrrev_i32_e32 v9, 31, v8
	s_delay_alu instid0(VALU_DEP_1) | instskip(NEXT) | instid1(VALU_DEP_1)
	v_lshlrev_b64 v[8:9], 1, v[8:9]
	v_add_co_u32 v8, vcc_lo, s10, v8
	s_delay_alu instid0(VALU_DEP_2)
	v_add_co_ci_u32_e32 v9, vcc_lo, s11, v9, vcc_lo
	v_add_co_u32 v1, vcc_lo, 0x100, v1
	v_add_co_ci_u32_e32 v2, vcc_lo, 0, v2, vcc_lo
	global_load_u16 v8, v[8:9], off
	s_waitcnt vmcnt(1)
	v_lshlrev_b32_e32 v9, 16, v10
	v_add_co_u32 v3, vcc_lo, 0x200, v3
	v_add_co_ci_u32_e32 v4, vcc_lo, 0, v4, vcc_lo
	s_delay_alu instid0(VALU_DEP_3) | instskip(SKIP_4) | instid1(VALU_DEP_1)
	v_mul_f32_e32 v9, s18, v9
	v_cmp_le_i64_e32 vcc_lo, s[8:9], v[1:2]
	s_or_b32 s21, vcc_lo, s21
	s_waitcnt vmcnt(0)
	v_lshlrev_b32_e32 v8, 16, v8
	v_fmac_f32_e32 v7, v9, v8
	s_and_not1_b32 exec_lo, exec_lo, s21
	s_cbranch_execnz .LBB145_11
; %bb.12:
	s_set_inst_prefetch_distance 0x2
	s_or_b32 exec_lo, exec_lo, s21
.LBB145_13:
	s_delay_alu instid0(SALU_CYCLE_1)
	s_or_b32 exec_lo, exec_lo, s15
	v_lshlrev_b32_e32 v1, 2, v0
	s_mov_b32 s0, exec_lo
	ds_store_b32 v1, v7
	s_waitcnt lgkmcnt(0)
	s_waitcnt_vscnt null, 0x0
	s_barrier
	buffer_gl0_inv
	v_cmpx_gt_u32_e32 0x80, v0
	s_cbranch_execz .LBB145_15
; %bb.14:
	ds_load_2addr_stride64_b32 v[2:3], v1 offset1:2
	s_waitcnt lgkmcnt(0)
	v_add_f32_e32 v2, v2, v3
	ds_store_b32 v1, v2
.LBB145_15:
	s_or_b32 exec_lo, exec_lo, s0
	s_delay_alu instid0(SALU_CYCLE_1)
	s_mov_b32 s0, exec_lo
	s_waitcnt lgkmcnt(0)
	s_barrier
	buffer_gl0_inv
	v_cmpx_gt_u32_e32 64, v0
	s_cbranch_execz .LBB145_17
; %bb.16:
	ds_load_2addr_stride64_b32 v[2:3], v1 offset1:1
	s_waitcnt lgkmcnt(0)
	v_add_f32_e32 v2, v2, v3
	ds_store_b32 v1, v2
.LBB145_17:
	s_or_b32 exec_lo, exec_lo, s0
	s_delay_alu instid0(SALU_CYCLE_1)
	s_mov_b32 s0, exec_lo
	s_waitcnt lgkmcnt(0)
	s_barrier
	buffer_gl0_inv
	v_cmpx_gt_u32_e32 32, v0
	s_cbranch_execz .LBB145_19
; %bb.18:
	ds_load_2addr_b32 v[2:3], v1 offset1:32
	s_waitcnt lgkmcnt(0)
	v_add_f32_e32 v2, v2, v3
	ds_store_b32 v1, v2
.LBB145_19:
	s_or_b32 exec_lo, exec_lo, s0
	s_delay_alu instid0(SALU_CYCLE_1)
	s_mov_b32 s0, exec_lo
	s_waitcnt lgkmcnt(0)
	s_barrier
	buffer_gl0_inv
	v_cmpx_gt_u32_e32 16, v0
	s_cbranch_execz .LBB145_21
; %bb.20:
	ds_load_2addr_b32 v[2:3], v1 offset1:16
	s_waitcnt lgkmcnt(0)
	v_add_f32_e32 v2, v2, v3
	ds_store_b32 v1, v2
.LBB145_21:
	;; [unrolled: 14-line block ×5, first 2 shown]
	s_or_b32 exec_lo, exec_lo, s0
	v_cmp_eq_u32_e32 vcc_lo, 0, v0
	s_waitcnt lgkmcnt(0)
	s_barrier
	buffer_gl0_inv
	s_and_saveexec_b32 s0, vcc_lo
	s_cbranch_execz .LBB145_29
; %bb.28:
	v_mov_b32_e32 v2, 0
	ds_load_b64 v[0:1], v2
	s_waitcnt lgkmcnt(0)
	v_add_f32_e32 v0, v0, v1
	ds_store_b32 v2, v0
.LBB145_29:
	s_or_b32 exec_lo, exec_lo, s0
	s_waitcnt lgkmcnt(0)
	s_barrier
	buffer_gl0_inv
	s_and_saveexec_b32 s0, vcc_lo
	s_cbranch_execz .LBB145_39
; %bb.30:
	s_cmp_eq_u32 s19, 0
	s_cbranch_scc1 .LBB145_36
; %bb.31:
	s_ashr_i32 s15, s14, 31
	v_mov_b32_e32 v0, 0
	s_lshl_b64 s[0:1], s[14:15], 2
	s_delay_alu instid0(SALU_CYCLE_1)
	s_add_u32 s0, s4, s0
	s_addc_u32 s1, s5, s1
	s_branch .LBB145_33
.LBB145_32:                             ;   in Loop: Header=BB145_33 Depth=1
	s_or_b32 exec_lo, exec_lo, s4
	s_waitcnt vmcnt(0)
	v_readfirstlane_b32 s4, v1
	s_delay_alu instid0(VALU_DEP_1)
	s_cmp_eq_u32 s4, s17
	s_cbranch_scc0 .LBB145_35
.LBB145_33:                             ; =>This Inner Loop Header: Depth=1
	v_mbcnt_lo_u32_b32 v1, exec_lo, 0
	s_delay_alu instid0(VALU_DEP_1)
	v_cmp_eq_u32_e32 vcc_lo, 0, v1
                                        ; implicit-def: $vgpr1
	s_and_saveexec_b32 s4, vcc_lo
	s_cbranch_execz .LBB145_32
; %bb.34:                               ;   in Loop: Header=BB145_33 Depth=1
	global_load_b32 v1, v0, s[0:1] glc
	s_branch .LBB145_32
.LBB145_35:
	v_mov_b32_e32 v0, 0
	global_load_b32 v1, v0, s[12:13]
	s_waitcnt vmcnt(0)
	v_xor_b32_e32 v1, 1, v1
	global_store_b32 v0, v1, s[12:13]
.LBB145_36:
	s_mov_b32 s4, exec_lo
	s_delay_alu instid0(SALU_CYCLE_1) | instskip(NEXT) | instid1(VALU_DEP_1)
	v_mbcnt_lo_u32_b32 v0, s4, 0
	v_cmp_eq_u32_e32 vcc_lo, 0, v0
	s_and_b32 s0, exec_lo, vcc_lo
	s_delay_alu instid0(SALU_CYCLE_1)
	s_mov_b32 exec_lo, s0
	s_cbranch_execz .LBB145_39
; %bb.37:
	s_lshl_b64 s[0:1], s[2:3], 2
	s_delay_alu instid0(SALU_CYCLE_1) | instskip(SKIP_2) | instid1(SALU_CYCLE_1)
	s_add_u32 s0, s6, s0
	s_addc_u32 s1, s7, s1
	s_bcnt1_i32_b32 s2, s4
	v_cvt_f32_ubyte0_e32 v3, s2
	v_mov_b32_e32 v2, 0
	s_mov_b32 s2, 0
	global_load_b32 v1, v2, s[0:1]
	ds_load_b32 v0, v2
	s_waitcnt lgkmcnt(0)
	v_mul_f32_e32 v3, v0, v3
.LBB145_38:                             ; =>This Inner Loop Header: Depth=1
	s_waitcnt vmcnt(0)
	s_delay_alu instid0(VALU_DEP_1)
	v_add_f32_e32 v0, v1, v3
	global_atomic_cmpswap_b32 v0, v2, v[0:1], s[0:1] glc
	s_waitcnt vmcnt(0)
	v_cmp_eq_u32_e32 vcc_lo, v0, v1
	v_mov_b32_e32 v1, v0
	s_or_b32 s2, vcc_lo, s2
	s_delay_alu instid0(SALU_CYCLE_1)
	s_and_not1_b32 exec_lo, exec_lo, s2
	s_cbranch_execnz .LBB145_38
.LBB145_39:
	s_nop 0
	s_sendmsg sendmsg(MSG_DEALLOC_VGPRS)
	s_endpgm
	.section	.rodata,"a",@progbits
	.p2align	6, 0x0
	.amdhsa_kernel _ZN9rocsparseL27csrmvn_lrb_long_rows_kernelIli18rocsparse_bfloat16S1_ffEEvbT_PjPT0_S5_jNS_24const_host_device_scalarIT4_EEPKS2_PKS4_PKT1_PKT2_S8_PT3_21rocsparse_index_base_b
		.amdhsa_group_segment_fixed_size 1024
		.amdhsa_private_segment_fixed_size 0
		.amdhsa_kernarg_size 112
		.amdhsa_user_sgpr_count 15
		.amdhsa_user_sgpr_dispatch_ptr 0
		.amdhsa_user_sgpr_queue_ptr 0
		.amdhsa_user_sgpr_kernarg_segment_ptr 1
		.amdhsa_user_sgpr_dispatch_id 0
		.amdhsa_user_sgpr_private_segment_size 0
		.amdhsa_wavefront_size32 1
		.amdhsa_uses_dynamic_stack 0
		.amdhsa_enable_private_segment 0
		.amdhsa_system_sgpr_workgroup_id_x 1
		.amdhsa_system_sgpr_workgroup_id_y 0
		.amdhsa_system_sgpr_workgroup_id_z 0
		.amdhsa_system_sgpr_workgroup_info 0
		.amdhsa_system_vgpr_workitem_id 0
		.amdhsa_next_free_vgpr 11
		.amdhsa_next_free_sgpr 28
		.amdhsa_reserve_vcc 1
		.amdhsa_float_round_mode_32 0
		.amdhsa_float_round_mode_16_64 0
		.amdhsa_float_denorm_mode_32 3
		.amdhsa_float_denorm_mode_16_64 3
		.amdhsa_dx10_clamp 1
		.amdhsa_ieee_mode 1
		.amdhsa_fp16_overflow 0
		.amdhsa_workgroup_processor_mode 1
		.amdhsa_memory_ordered 1
		.amdhsa_forward_progress 0
		.amdhsa_shared_vgpr_count 0
		.amdhsa_exception_fp_ieee_invalid_op 0
		.amdhsa_exception_fp_denorm_src 0
		.amdhsa_exception_fp_ieee_div_zero 0
		.amdhsa_exception_fp_ieee_overflow 0
		.amdhsa_exception_fp_ieee_underflow 0
		.amdhsa_exception_fp_ieee_inexact 0
		.amdhsa_exception_int_div_zero 0
	.end_amdhsa_kernel
	.section	.text._ZN9rocsparseL27csrmvn_lrb_long_rows_kernelIli18rocsparse_bfloat16S1_ffEEvbT_PjPT0_S5_jNS_24const_host_device_scalarIT4_EEPKS2_PKS4_PKT1_PKT2_S8_PT3_21rocsparse_index_base_b,"axG",@progbits,_ZN9rocsparseL27csrmvn_lrb_long_rows_kernelIli18rocsparse_bfloat16S1_ffEEvbT_PjPT0_S5_jNS_24const_host_device_scalarIT4_EEPKS2_PKS4_PKT1_PKT2_S8_PT3_21rocsparse_index_base_b,comdat
.Lfunc_end145:
	.size	_ZN9rocsparseL27csrmvn_lrb_long_rows_kernelIli18rocsparse_bfloat16S1_ffEEvbT_PjPT0_S5_jNS_24const_host_device_scalarIT4_EEPKS2_PKS4_PKT1_PKT2_S8_PT3_21rocsparse_index_base_b, .Lfunc_end145-_ZN9rocsparseL27csrmvn_lrb_long_rows_kernelIli18rocsparse_bfloat16S1_ffEEvbT_PjPT0_S5_jNS_24const_host_device_scalarIT4_EEPKS2_PKS4_PKT1_PKT2_S8_PT3_21rocsparse_index_base_b
                                        ; -- End function
	.section	.AMDGPU.csdata,"",@progbits
; Kernel info:
; codeLenInByte = 1736
; NumSgprs: 30
; NumVgprs: 11
; ScratchSize: 0
; MemoryBound: 0
; FloatMode: 240
; IeeeMode: 1
; LDSByteSize: 1024 bytes/workgroup (compile time only)
; SGPRBlocks: 3
; VGPRBlocks: 1
; NumSGPRsForWavesPerEU: 30
; NumVGPRsForWavesPerEU: 11
; Occupancy: 16
; WaveLimiterHint : 1
; COMPUTE_PGM_RSRC2:SCRATCH_EN: 0
; COMPUTE_PGM_RSRC2:USER_SGPR: 15
; COMPUTE_PGM_RSRC2:TRAP_HANDLER: 0
; COMPUTE_PGM_RSRC2:TGID_X_EN: 1
; COMPUTE_PGM_RSRC2:TGID_Y_EN: 0
; COMPUTE_PGM_RSRC2:TGID_Z_EN: 0
; COMPUTE_PGM_RSRC2:TIDIG_COMP_CNT: 0
	.section	.text._ZN9rocsparseL28csrmvn_lrb_short_rows_kernelIll18rocsparse_bfloat16S1_ffEEvbT_PT0_S4_jNS_24const_host_device_scalarIT4_EEPKS2_PKS3_PKT1_PKT2_S7_PT3_21rocsparse_index_base_b,"axG",@progbits,_ZN9rocsparseL28csrmvn_lrb_short_rows_kernelIll18rocsparse_bfloat16S1_ffEEvbT_PT0_S4_jNS_24const_host_device_scalarIT4_EEPKS2_PKS3_PKT1_PKT2_S7_PT3_21rocsparse_index_base_b,comdat
	.globl	_ZN9rocsparseL28csrmvn_lrb_short_rows_kernelIll18rocsparse_bfloat16S1_ffEEvbT_PT0_S4_jNS_24const_host_device_scalarIT4_EEPKS2_PKS3_PKT1_PKT2_S7_PT3_21rocsparse_index_base_b ; -- Begin function _ZN9rocsparseL28csrmvn_lrb_short_rows_kernelIll18rocsparse_bfloat16S1_ffEEvbT_PT0_S4_jNS_24const_host_device_scalarIT4_EEPKS2_PKS3_PKT1_PKT2_S7_PT3_21rocsparse_index_base_b
	.p2align	8
	.type	_ZN9rocsparseL28csrmvn_lrb_short_rows_kernelIll18rocsparse_bfloat16S1_ffEEvbT_PT0_S4_jNS_24const_host_device_scalarIT4_EEPKS2_PKS3_PKT1_PKT2_S7_PT3_21rocsparse_index_base_b,@function
_ZN9rocsparseL28csrmvn_lrb_short_rows_kernelIll18rocsparse_bfloat16S1_ffEEvbT_PT0_S4_jNS_24const_host_device_scalarIT4_EEPKS2_PKS3_PKT1_PKT2_S7_PT3_21rocsparse_index_base_b: ; @_ZN9rocsparseL28csrmvn_lrb_short_rows_kernelIll18rocsparse_bfloat16S1_ffEEvbT_PT0_S4_jNS_24const_host_device_scalarIT4_EEPKS2_PKS3_PKT1_PKT2_S7_PT3_21rocsparse_index_base_b
; %bb.0:
	s_clause 0x2
	s_load_b64 s[20:21], s[0:1], 0x60
	s_load_b64 s[22:23], s[0:1], 0x28
	;; [unrolled: 1-line block ×3, first 2 shown]
	s_waitcnt lgkmcnt(0)
	s_bitcmp1_b32 s21, 0
	s_cselect_b32 s4, -1, 0
	s_delay_alu instid0(SALU_CYCLE_1)
	s_and_b32 vcc_lo, exec_lo, s4
	s_xor_b32 s4, s4, -1
	s_cbranch_vccnz .LBB146_2
; %bb.1:
	s_load_b32 s22, s[22:23], 0x0
.LBB146_2:
	s_and_not1_b32 vcc_lo, exec_lo, s4
	s_cbranch_vccnz .LBB146_4
; %bb.3:
	s_load_b32 s2, s[2:3], 0x0
.LBB146_4:
	s_waitcnt lgkmcnt(0)
	v_cmp_neq_f32_e64 s3, s22, 0
	v_cmp_neq_f32_e64 s4, s2, 1.0
	s_mov_b32 s13, 0
	s_delay_alu instid0(VALU_DEP_1) | instskip(NEXT) | instid1(SALU_CYCLE_1)
	s_or_b32 s3, s3, s4
	s_and_not1_b32 vcc_lo, exec_lo, s3
	s_cbranch_vccnz .LBB146_18
; %bb.5:
	s_clause 0x1
	s_load_b32 s12, s[0:1], 0x20
	s_load_b128 s[16:19], s[0:1], 0x10
	s_mov_b32 s7, s13
	s_waitcnt lgkmcnt(0)
	s_lshl_b64 s[4:5], s[12:13], 3
	s_delay_alu instid0(SALU_CYCLE_1) | instskip(SKIP_2) | instid1(SALU_CYCLE_1)
	s_add_u32 s4, s18, s4
	s_addc_u32 s5, s19, s5
	s_add_i32 s6, s12, 1
	s_lshl_b64 s[6:7], s[6:7], 3
	s_delay_alu instid0(SALU_CYCLE_1)
	s_add_u32 s6, s18, s6
	s_addc_u32 s7, s19, s7
	s_clause 0x1
	s_load_b64 s[18:19], s[4:5], 0x0
	s_load_b32 s3, s[6:7], 0x0
	s_lshl_b32 s14, s15, 8
	s_delay_alu instid0(SALU_CYCLE_1) | instskip(SKIP_2) | instid1(SALU_CYCLE_1)
	s_add_i32 s4, s14, 0x100
	s_waitcnt lgkmcnt(0)
	s_sub_i32 s3, s3, s18
	s_min_u32 s3, s3, s4
	s_cmp_gt_u32 s12, 23
	s_cbranch_scc1 .LBB146_12
; %bb.6:
	s_load_b256 s[4:11], s[0:1], 0x30
	v_mov_b32_e32 v5, 0
	s_lshl_b64 s[24:25], s[18:19], 3
	v_bfe_u32 v6, v0, 0, s12
	v_lshl_add_u32 v8, v0, 2, 0
	s_lshl_b32 s13, 0x100, s12
	v_mov_b32_e32 v7, v5
	s_add_u32 s15, s16, s24
	s_addc_u32 s21, s17, s25
	s_mov_b32 s23, 0
	s_branch .LBB146_9
.LBB146_7:                              ;   in Loop: Header=BB146_9 Depth=1
	s_or_b32 exec_lo, exec_lo, s25
	ds_store_b32 v8, v3
.LBB146_8:                              ;   in Loop: Header=BB146_9 Depth=1
	s_or_b32 exec_lo, exec_lo, s24
	v_add_nc_u32_e32 v8, 0x400, v8
	s_addk_i32 s23, 0x100
	s_delay_alu instid0(SALU_CYCLE_1)
	s_cmp_ge_u32 s23, s13
	s_cbranch_scc1 .LBB146_12
.LBB146_9:                              ; =>This Inner Loop Header: Depth=1
	v_add_nc_u32_e32 v1, s23, v0
	s_mov_b32 s24, exec_lo
	s_delay_alu instid0(VALU_DEP_1) | instskip(NEXT) | instid1(VALU_DEP_1)
	v_lshrrev_b32_e32 v1, s12, v1
	v_add_nc_u32_e32 v4, s14, v1
	s_delay_alu instid0(VALU_DEP_1)
	v_cmpx_gt_u32_e64 s3, v4
	s_cbranch_execz .LBB146_8
; %bb.10:                               ;   in Loop: Header=BB146_9 Depth=1
	v_lshlrev_b64 v[1:2], 3, v[4:5]
	s_delay_alu instid0(VALU_DEP_1) | instskip(NEXT) | instid1(VALU_DEP_2)
	v_add_co_u32 v1, vcc_lo, s15, v1
	v_add_co_ci_u32_e32 v2, vcc_lo, s21, v2, vcc_lo
	global_load_b64 v[1:2], v[1:2], off
	s_waitcnt vmcnt(0)
	v_lshlrev_b64 v[1:2], 3, v[1:2]
	s_waitcnt lgkmcnt(0)
	s_delay_alu instid0(VALU_DEP_1) | instskip(NEXT) | instid1(VALU_DEP_2)
	v_add_co_u32 v1, vcc_lo, s4, v1
	v_add_co_ci_u32_e32 v2, vcc_lo, s5, v2, vcc_lo
	global_load_b128 v[1:4], v[1:2], off
	s_waitcnt vmcnt(0)
	v_sub_co_u32 v3, vcc_lo, v3, v1
	v_sub_co_ci_u32_e32 v4, vcc_lo, v4, v2, vcc_lo
	s_delay_alu instid0(VALU_DEP_1)
	v_cmp_gt_i64_e32 vcc_lo, v[3:4], v[6:7]
	v_mov_b32_e32 v3, 0
	s_and_saveexec_b32 s25, vcc_lo
	s_cbranch_execz .LBB146_7
; %bb.11:                               ;   in Loop: Header=BB146_9 Depth=1
	v_sub_co_u32 v1, vcc_lo, v1, s20
	v_subrev_co_ci_u32_e32 v2, vcc_lo, 0, v2, vcc_lo
	s_delay_alu instid0(VALU_DEP_2) | instskip(NEXT) | instid1(VALU_DEP_2)
	v_add_co_u32 v1, vcc_lo, v1, v6
	v_add_co_ci_u32_e32 v2, vcc_lo, 0, v2, vcc_lo
	s_delay_alu instid0(VALU_DEP_1) | instskip(SKIP_1) | instid1(VALU_DEP_2)
	v_lshlrev_b64 v[3:4], 3, v[1:2]
	v_lshlrev_b64 v[1:2], 1, v[1:2]
	v_add_co_u32 v3, vcc_lo, s6, v3
	s_delay_alu instid0(VALU_DEP_3)
	v_add_co_ci_u32_e32 v4, vcc_lo, s7, v4, vcc_lo
	global_load_b64 v[3:4], v[3:4], off
	s_waitcnt vmcnt(0)
	v_sub_co_u32 v3, vcc_lo, v3, s20
	v_subrev_co_ci_u32_e32 v4, vcc_lo, 0, v4, vcc_lo
	v_add_co_u32 v1, vcc_lo, s8, v1
	v_add_co_ci_u32_e32 v2, vcc_lo, s9, v2, vcc_lo
	s_delay_alu instid0(VALU_DEP_3)
	v_lshlrev_b64 v[3:4], 1, v[3:4]
	global_load_u16 v9, v[1:2], off
	v_add_co_u32 v1, vcc_lo, s10, v3
	v_add_co_ci_u32_e32 v2, vcc_lo, s11, v4, vcc_lo
	global_load_u16 v1, v[1:2], off
	s_waitcnt vmcnt(1)
	v_lshlrev_b32_e32 v2, 16, v9
	s_waitcnt vmcnt(0)
	s_delay_alu instid0(VALU_DEP_1) | instskip(NEXT) | instid1(VALU_DEP_1)
	v_dual_mul_f32 v2, s22, v2 :: v_dual_lshlrev_b32 v1, 16, v1
	v_mul_f32_e32 v3, v2, v1
	s_branch .LBB146_7
.LBB146_12:
	s_sub_i32 s3, s3, s14
	s_waitcnt lgkmcnt(0)
	v_cmp_gt_u32_e32 vcc_lo, s3, v0
	s_barrier
	buffer_gl0_inv
	s_and_saveexec_b32 s3, vcc_lo
	s_cbranch_execz .LBB146_18
; %bb.13:
	s_lshl_b64 s[4:5], s[18:19], 3
	s_mov_b32 s15, 0
	s_add_u32 s3, s16, s4
	s_addc_u32 s6, s17, s5
	s_lshl_b64 s[4:5], s[14:15], 3
	v_lshlrev_b32_e32 v1, 3, v0
	s_add_u32 s4, s3, s4
	s_addc_u32 s5, s6, s5
	s_load_b64 s[0:1], s[0:1], 0x58
	v_dual_mov_b32 v3, 0 :: v_dual_lshlrev_b32 v0, s12, v0
	global_load_b64 v[1:2], v1, s[4:5]
	s_mov_b32 s3, 1
	v_lshl_add_u32 v0, v0, 2, 0
.LBB146_14:                             ; =>This Inner Loop Header: Depth=1
	ds_load_b32 v4, v0
	v_add_nc_u32_e32 v0, 4, v0
	s_lshr_b32 s4, s3, s12
	s_add_i32 s3, s3, 1
	s_cmp_lg_u32 s4, 0
	s_waitcnt lgkmcnt(0)
	v_add_f32_e32 v3, v3, v4
	s_cbranch_scc0 .LBB146_14
; %bb.15:
	v_cmp_neq_f32_e64 s3, s2, 0
	s_waitcnt vmcnt(0)
	v_lshlrev_b64 v[0:1], 2, v[1:2]
	s_delay_alu instid0(VALU_DEP_2)
	s_and_b32 vcc_lo, exec_lo, s3
	s_cbranch_vccz .LBB146_17
; %bb.16:
	s_delay_alu instid0(VALU_DEP_1) | instskip(NEXT) | instid1(VALU_DEP_2)
	v_add_co_u32 v4, vcc_lo, s0, v0
	v_add_co_ci_u32_e32 v5, vcc_lo, s1, v1, vcc_lo
	global_load_b32 v2, v[4:5], off
	s_waitcnt vmcnt(0)
	v_fmac_f32_e32 v3, s2, v2
.LBB146_17:
	s_delay_alu instid0(VALU_DEP_1) | instskip(NEXT) | instid1(VALU_DEP_2)
	v_add_co_u32 v0, vcc_lo, s0, v0
	v_add_co_ci_u32_e32 v1, vcc_lo, s1, v1, vcc_lo
	global_store_b32 v[0:1], v3, off
.LBB146_18:
	s_nop 0
	s_sendmsg sendmsg(MSG_DEALLOC_VGPRS)
	s_endpgm
	.section	.rodata,"a",@progbits
	.p2align	6, 0x0
	.amdhsa_kernel _ZN9rocsparseL28csrmvn_lrb_short_rows_kernelIll18rocsparse_bfloat16S1_ffEEvbT_PT0_S4_jNS_24const_host_device_scalarIT4_EEPKS2_PKS3_PKT1_PKT2_S7_PT3_21rocsparse_index_base_b
		.amdhsa_group_segment_fixed_size 0
		.amdhsa_private_segment_fixed_size 0
		.amdhsa_kernarg_size 104
		.amdhsa_user_sgpr_count 15
		.amdhsa_user_sgpr_dispatch_ptr 0
		.amdhsa_user_sgpr_queue_ptr 0
		.amdhsa_user_sgpr_kernarg_segment_ptr 1
		.amdhsa_user_sgpr_dispatch_id 0
		.amdhsa_user_sgpr_private_segment_size 0
		.amdhsa_wavefront_size32 1
		.amdhsa_uses_dynamic_stack 0
		.amdhsa_enable_private_segment 0
		.amdhsa_system_sgpr_workgroup_id_x 1
		.amdhsa_system_sgpr_workgroup_id_y 0
		.amdhsa_system_sgpr_workgroup_id_z 0
		.amdhsa_system_sgpr_workgroup_info 0
		.amdhsa_system_vgpr_workitem_id 0
		.amdhsa_next_free_vgpr 10
		.amdhsa_next_free_sgpr 26
		.amdhsa_reserve_vcc 1
		.amdhsa_float_round_mode_32 0
		.amdhsa_float_round_mode_16_64 0
		.amdhsa_float_denorm_mode_32 3
		.amdhsa_float_denorm_mode_16_64 3
		.amdhsa_dx10_clamp 1
		.amdhsa_ieee_mode 1
		.amdhsa_fp16_overflow 0
		.amdhsa_workgroup_processor_mode 1
		.amdhsa_memory_ordered 1
		.amdhsa_forward_progress 0
		.amdhsa_shared_vgpr_count 0
		.amdhsa_exception_fp_ieee_invalid_op 0
		.amdhsa_exception_fp_denorm_src 0
		.amdhsa_exception_fp_ieee_div_zero 0
		.amdhsa_exception_fp_ieee_overflow 0
		.amdhsa_exception_fp_ieee_underflow 0
		.amdhsa_exception_fp_ieee_inexact 0
		.amdhsa_exception_int_div_zero 0
	.end_amdhsa_kernel
	.section	.text._ZN9rocsparseL28csrmvn_lrb_short_rows_kernelIll18rocsparse_bfloat16S1_ffEEvbT_PT0_S4_jNS_24const_host_device_scalarIT4_EEPKS2_PKS3_PKT1_PKT2_S7_PT3_21rocsparse_index_base_b,"axG",@progbits,_ZN9rocsparseL28csrmvn_lrb_short_rows_kernelIll18rocsparse_bfloat16S1_ffEEvbT_PT0_S4_jNS_24const_host_device_scalarIT4_EEPKS2_PKS3_PKT1_PKT2_S7_PT3_21rocsparse_index_base_b,comdat
.Lfunc_end146:
	.size	_ZN9rocsparseL28csrmvn_lrb_short_rows_kernelIll18rocsparse_bfloat16S1_ffEEvbT_PT0_S4_jNS_24const_host_device_scalarIT4_EEPKS2_PKS3_PKT1_PKT2_S7_PT3_21rocsparse_index_base_b, .Lfunc_end146-_ZN9rocsparseL28csrmvn_lrb_short_rows_kernelIll18rocsparse_bfloat16S1_ffEEvbT_PT0_S4_jNS_24const_host_device_scalarIT4_EEPKS2_PKS3_PKT1_PKT2_S7_PT3_21rocsparse_index_base_b
                                        ; -- End function
	.section	.AMDGPU.csdata,"",@progbits
; Kernel info:
; codeLenInByte = 892
; NumSgprs: 28
; NumVgprs: 10
; ScratchSize: 0
; MemoryBound: 0
; FloatMode: 240
; IeeeMode: 1
; LDSByteSize: 0 bytes/workgroup (compile time only)
; SGPRBlocks: 3
; VGPRBlocks: 1
; NumSGPRsForWavesPerEU: 28
; NumVGPRsForWavesPerEU: 10
; Occupancy: 16
; WaveLimiterHint : 1
; COMPUTE_PGM_RSRC2:SCRATCH_EN: 0
; COMPUTE_PGM_RSRC2:USER_SGPR: 15
; COMPUTE_PGM_RSRC2:TRAP_HANDLER: 0
; COMPUTE_PGM_RSRC2:TGID_X_EN: 1
; COMPUTE_PGM_RSRC2:TGID_Y_EN: 0
; COMPUTE_PGM_RSRC2:TGID_Z_EN: 0
; COMPUTE_PGM_RSRC2:TIDIG_COMP_CNT: 0
	.section	.text._ZN9rocsparseL30csrmvn_lrb_short_rows_2_kernelIll18rocsparse_bfloat16S1_ffEEvbT_PT0_S4_jNS_24const_host_device_scalarIT4_EEPKS2_PKS3_PKT1_PKT2_S7_PT3_21rocsparse_index_base_b,"axG",@progbits,_ZN9rocsparseL30csrmvn_lrb_short_rows_2_kernelIll18rocsparse_bfloat16S1_ffEEvbT_PT0_S4_jNS_24const_host_device_scalarIT4_EEPKS2_PKS3_PKT1_PKT2_S7_PT3_21rocsparse_index_base_b,comdat
	.globl	_ZN9rocsparseL30csrmvn_lrb_short_rows_2_kernelIll18rocsparse_bfloat16S1_ffEEvbT_PT0_S4_jNS_24const_host_device_scalarIT4_EEPKS2_PKS3_PKT1_PKT2_S7_PT3_21rocsparse_index_base_b ; -- Begin function _ZN9rocsparseL30csrmvn_lrb_short_rows_2_kernelIll18rocsparse_bfloat16S1_ffEEvbT_PT0_S4_jNS_24const_host_device_scalarIT4_EEPKS2_PKS3_PKT1_PKT2_S7_PT3_21rocsparse_index_base_b
	.p2align	8
	.type	_ZN9rocsparseL30csrmvn_lrb_short_rows_2_kernelIll18rocsparse_bfloat16S1_ffEEvbT_PT0_S4_jNS_24const_host_device_scalarIT4_EEPKS2_PKS3_PKT1_PKT2_S7_PT3_21rocsparse_index_base_b,@function
_ZN9rocsparseL30csrmvn_lrb_short_rows_2_kernelIll18rocsparse_bfloat16S1_ffEEvbT_PT0_S4_jNS_24const_host_device_scalarIT4_EEPKS2_PKS3_PKT1_PKT2_S7_PT3_21rocsparse_index_base_b: ; @_ZN9rocsparseL30csrmvn_lrb_short_rows_2_kernelIll18rocsparse_bfloat16S1_ffEEvbT_PT0_S4_jNS_24const_host_device_scalarIT4_EEPKS2_PKS3_PKT1_PKT2_S7_PT3_21rocsparse_index_base_b
; %bb.0:
	s_clause 0x2
	s_load_b64 s[18:19], s[0:1], 0x60
	s_load_b64 s[16:17], s[0:1], 0x28
	;; [unrolled: 1-line block ×3, first 2 shown]
	s_waitcnt lgkmcnt(0)
	s_bitcmp1_b32 s19, 0
	s_cselect_b32 s2, -1, 0
	s_delay_alu instid0(SALU_CYCLE_1)
	s_and_b32 vcc_lo, exec_lo, s2
	s_xor_b32 s2, s2, -1
	s_cbranch_vccnz .LBB147_2
; %bb.1:
	s_load_b32 s16, s[16:17], 0x0
.LBB147_2:
	s_and_not1_b32 vcc_lo, exec_lo, s2
	s_cbranch_vccnz .LBB147_4
; %bb.3:
	s_load_b32 s8, s[8:9], 0x0
.LBB147_4:
	s_waitcnt lgkmcnt(0)
	v_cmp_neq_f32_e64 s2, s16, 0
	v_cmp_neq_f32_e64 s3, s8, 1.0
	s_mov_b32 s11, 0
	s_delay_alu instid0(VALU_DEP_1) | instskip(NEXT) | instid1(SALU_CYCLE_1)
	s_or_b32 s2, s2, s3
	s_and_not1_b32 vcc_lo, exec_lo, s2
	s_cbranch_vccnz .LBB147_30
; %bb.5:
	s_clause 0x1
	s_load_b32 s10, s[0:1], 0x20
	s_load_b128 s[20:23], s[0:1], 0x10
	s_mov_b32 s5, s11
	v_mov_b32_e32 v6, 0
	s_waitcnt lgkmcnt(0)
	s_lshl_b64 s[2:3], s[10:11], 3
	v_lshrrev_b32_e32 v1, s10, v0
	s_add_u32 s2, s22, s2
	s_addc_u32 s3, s23, s3
	s_add_i32 s4, s10, 1
	v_bfe_u32 v5, v0, 0, s10
	s_lshl_b64 s[4:5], s[4:5], 3
	s_delay_alu instid0(SALU_CYCLE_1)
	s_add_u32 s4, s22, s4
	s_addc_u32 s5, s23, s5
	s_clause 0x1
	s_load_b64 s[22:23], s[2:3], 0x0
	s_load_b32 s11, s[4:5], 0x0
	s_clause 0x1
	s_load_b64 s[12:13], s[0:1], 0x58
	s_load_b256 s[0:7], s[0:1], 0x30
	s_lshr_b32 s9, 0x400, s10
	s_delay_alu instid0(SALU_CYCLE_1) | instskip(NEXT) | instid1(SALU_CYCLE_1)
	s_mul_i32 s14, s9, s15
	s_add_i32 s15, s14, s9
	v_add_nc_u32_e32 v1, s14, v1
	s_waitcnt lgkmcnt(0)
	s_sub_i32 s11, s11, s22
	s_lshl_b64 s[22:23], s[22:23], 3
	s_min_u32 s11, s11, s15
	s_add_u32 s17, s20, s22
	s_addc_u32 s19, s21, s23
	s_mov_b32 s15, exec_lo
	v_cmpx_gt_u32_e64 s11, v1
	s_cbranch_execz .LBB147_9
; %bb.6:
	v_mov_b32_e32 v2, v6
	s_delay_alu instid0(VALU_DEP_1) | instskip(NEXT) | instid1(VALU_DEP_1)
	v_lshlrev_b64 v[1:2], 3, v[1:2]
	v_add_co_u32 v1, vcc_lo, s17, v1
	s_delay_alu instid0(VALU_DEP_2) | instskip(SKIP_3) | instid1(VALU_DEP_1)
	v_add_co_ci_u32_e32 v2, vcc_lo, s19, v2, vcc_lo
	global_load_b64 v[1:2], v[1:2], off
	s_waitcnt vmcnt(0)
	v_lshlrev_b64 v[1:2], 3, v[1:2]
	v_add_co_u32 v1, vcc_lo, s0, v1
	s_delay_alu instid0(VALU_DEP_2) | instskip(SKIP_4) | instid1(VALU_DEP_1)
	v_add_co_ci_u32_e32 v2, vcc_lo, s1, v2, vcc_lo
	global_load_b128 v[1:4], v[1:2], off
	s_waitcnt vmcnt(0)
	v_sub_co_u32 v3, vcc_lo, v3, v1
	v_sub_co_ci_u32_e32 v4, vcc_lo, v4, v2, vcc_lo
	v_cmp_gt_i64_e32 vcc_lo, v[3:4], v[5:6]
	v_mov_b32_e32 v3, v6
	s_and_saveexec_b32 s20, vcc_lo
	s_cbranch_execz .LBB147_8
; %bb.7:
	v_sub_co_u32 v1, vcc_lo, v1, s18
	v_subrev_co_ci_u32_e32 v2, vcc_lo, 0, v2, vcc_lo
	s_delay_alu instid0(VALU_DEP_2) | instskip(NEXT) | instid1(VALU_DEP_2)
	v_add_co_u32 v1, vcc_lo, v1, v5
	v_add_co_ci_u32_e32 v2, vcc_lo, 0, v2, vcc_lo
	s_delay_alu instid0(VALU_DEP_1) | instskip(SKIP_1) | instid1(VALU_DEP_2)
	v_lshlrev_b64 v[3:4], 3, v[1:2]
	v_lshlrev_b64 v[1:2], 1, v[1:2]
	v_add_co_u32 v3, vcc_lo, s2, v3
	s_delay_alu instid0(VALU_DEP_3)
	v_add_co_ci_u32_e32 v4, vcc_lo, s3, v4, vcc_lo
	global_load_b64 v[3:4], v[3:4], off
	s_waitcnt vmcnt(0)
	v_sub_co_u32 v3, vcc_lo, v3, s18
	v_subrev_co_ci_u32_e32 v4, vcc_lo, 0, v4, vcc_lo
	v_add_co_u32 v1, vcc_lo, s4, v1
	v_add_co_ci_u32_e32 v2, vcc_lo, s5, v2, vcc_lo
	s_delay_alu instid0(VALU_DEP_3)
	v_lshlrev_b64 v[3:4], 1, v[3:4]
	global_load_u16 v7, v[1:2], off
	v_add_co_u32 v1, vcc_lo, s6, v3
	v_add_co_ci_u32_e32 v2, vcc_lo, s7, v4, vcc_lo
	global_load_u16 v1, v[1:2], off
	s_waitcnt vmcnt(1)
	v_lshlrev_b32_e32 v2, 16, v7
	s_waitcnt vmcnt(0)
	s_delay_alu instid0(VALU_DEP_1) | instskip(NEXT) | instid1(VALU_DEP_1)
	v_dual_mul_f32 v2, s16, v2 :: v_dual_lshlrev_b32 v1, 16, v1
	v_mul_f32_e32 v3, v2, v1
.LBB147_8:
	s_or_b32 exec_lo, exec_lo, s20
	v_lshlrev_b32_e32 v1, 2, v0
	ds_store_b32 v1, v3
.LBB147_9:
	s_or_b32 exec_lo, exec_lo, s15
	v_or_b32_e32 v1, 0x100, v0
	s_mov_b32 s15, exec_lo
	s_delay_alu instid0(VALU_DEP_1) | instskip(NEXT) | instid1(VALU_DEP_1)
	v_lshrrev_b32_e32 v1, s10, v1
	v_add_nc_u32_e32 v7, s14, v1
	s_delay_alu instid0(VALU_DEP_1)
	v_cmpx_gt_u32_e64 s11, v7
	s_cbranch_execz .LBB147_13
; %bb.10:
	v_mov_b32_e32 v8, 0
	s_mov_b32 s20, exec_lo
	s_delay_alu instid0(VALU_DEP_1) | instskip(NEXT) | instid1(VALU_DEP_1)
	v_lshlrev_b64 v[1:2], 3, v[7:8]
	v_add_co_u32 v1, vcc_lo, s17, v1
	s_delay_alu instid0(VALU_DEP_2) | instskip(SKIP_3) | instid1(VALU_DEP_1)
	v_add_co_ci_u32_e32 v2, vcc_lo, s19, v2, vcc_lo
	global_load_b64 v[1:2], v[1:2], off
	s_waitcnt vmcnt(0)
	v_lshlrev_b64 v[1:2], 3, v[1:2]
	v_add_co_u32 v1, vcc_lo, s0, v1
	s_delay_alu instid0(VALU_DEP_2) | instskip(SKIP_4) | instid1(VALU_DEP_1)
	v_add_co_ci_u32_e32 v2, vcc_lo, s1, v2, vcc_lo
	global_load_b128 v[1:4], v[1:2], off
	s_waitcnt vmcnt(0)
	v_sub_co_u32 v3, vcc_lo, v3, v1
	v_sub_co_ci_u32_e32 v4, vcc_lo, v4, v2, vcc_lo
	v_cmpx_gt_i64_e64 v[3:4], v[5:6]
	s_cbranch_execz .LBB147_12
; %bb.11:
	v_sub_co_u32 v1, vcc_lo, v1, s18
	v_subrev_co_ci_u32_e32 v2, vcc_lo, 0, v2, vcc_lo
	s_delay_alu instid0(VALU_DEP_2) | instskip(NEXT) | instid1(VALU_DEP_2)
	v_add_co_u32 v1, vcc_lo, v1, v5
	v_add_co_ci_u32_e32 v2, vcc_lo, 0, v2, vcc_lo
	s_delay_alu instid0(VALU_DEP_1) | instskip(SKIP_1) | instid1(VALU_DEP_2)
	v_lshlrev_b64 v[3:4], 3, v[1:2]
	v_lshlrev_b64 v[1:2], 1, v[1:2]
	v_add_co_u32 v3, vcc_lo, s2, v3
	s_delay_alu instid0(VALU_DEP_3)
	v_add_co_ci_u32_e32 v4, vcc_lo, s3, v4, vcc_lo
	global_load_b64 v[3:4], v[3:4], off
	s_waitcnt vmcnt(0)
	v_sub_co_u32 v3, vcc_lo, v3, s18
	v_subrev_co_ci_u32_e32 v4, vcc_lo, 0, v4, vcc_lo
	v_add_co_u32 v1, vcc_lo, s4, v1
	v_add_co_ci_u32_e32 v2, vcc_lo, s5, v2, vcc_lo
	s_delay_alu instid0(VALU_DEP_3)
	v_lshlrev_b64 v[3:4], 1, v[3:4]
	global_load_u16 v7, v[1:2], off
	v_add_co_u32 v1, vcc_lo, s6, v3
	v_add_co_ci_u32_e32 v2, vcc_lo, s7, v4, vcc_lo
	global_load_u16 v1, v[1:2], off
	s_waitcnt vmcnt(1)
	v_lshlrev_b32_e32 v2, 16, v7
	s_waitcnt vmcnt(0)
	s_delay_alu instid0(VALU_DEP_1) | instskip(NEXT) | instid1(VALU_DEP_1)
	v_dual_mul_f32 v2, s16, v2 :: v_dual_lshlrev_b32 v1, 16, v1
	v_mul_f32_e32 v8, v2, v1
.LBB147_12:
	s_or_b32 exec_lo, exec_lo, s20
	v_lshlrev_b32_e32 v1, 2, v0
	ds_store_b32 v1, v8 offset:1024
.LBB147_13:
	s_or_b32 exec_lo, exec_lo, s15
	v_or_b32_e32 v1, 0x200, v0
	s_mov_b32 s15, exec_lo
	s_delay_alu instid0(VALU_DEP_1) | instskip(NEXT) | instid1(VALU_DEP_1)
	v_lshrrev_b32_e32 v1, s10, v1
	v_add_nc_u32_e32 v7, s14, v1
	s_delay_alu instid0(VALU_DEP_1)
	v_cmpx_gt_u32_e64 s11, v7
	s_cbranch_execz .LBB147_17
; %bb.14:
	v_mov_b32_e32 v8, 0
	s_mov_b32 s20, exec_lo
	s_delay_alu instid0(VALU_DEP_1) | instskip(NEXT) | instid1(VALU_DEP_1)
	v_lshlrev_b64 v[1:2], 3, v[7:8]
	v_add_co_u32 v1, vcc_lo, s17, v1
	s_delay_alu instid0(VALU_DEP_2) | instskip(SKIP_3) | instid1(VALU_DEP_1)
	v_add_co_ci_u32_e32 v2, vcc_lo, s19, v2, vcc_lo
	global_load_b64 v[1:2], v[1:2], off
	s_waitcnt vmcnt(0)
	v_lshlrev_b64 v[1:2], 3, v[1:2]
	v_add_co_u32 v1, vcc_lo, s0, v1
	s_delay_alu instid0(VALU_DEP_2) | instskip(SKIP_4) | instid1(VALU_DEP_1)
	v_add_co_ci_u32_e32 v2, vcc_lo, s1, v2, vcc_lo
	global_load_b128 v[1:4], v[1:2], off
	s_waitcnt vmcnt(0)
	v_sub_co_u32 v3, vcc_lo, v3, v1
	v_sub_co_ci_u32_e32 v4, vcc_lo, v4, v2, vcc_lo
	v_cmpx_gt_i64_e64 v[3:4], v[5:6]
	s_cbranch_execz .LBB147_16
; %bb.15:
	v_sub_co_u32 v1, vcc_lo, v1, s18
	v_subrev_co_ci_u32_e32 v2, vcc_lo, 0, v2, vcc_lo
	s_delay_alu instid0(VALU_DEP_2) | instskip(NEXT) | instid1(VALU_DEP_2)
	v_add_co_u32 v1, vcc_lo, v1, v5
	v_add_co_ci_u32_e32 v2, vcc_lo, 0, v2, vcc_lo
	s_delay_alu instid0(VALU_DEP_1) | instskip(SKIP_1) | instid1(VALU_DEP_2)
	v_lshlrev_b64 v[3:4], 3, v[1:2]
	v_lshlrev_b64 v[1:2], 1, v[1:2]
	v_add_co_u32 v3, vcc_lo, s2, v3
	s_delay_alu instid0(VALU_DEP_3)
	v_add_co_ci_u32_e32 v4, vcc_lo, s3, v4, vcc_lo
	global_load_b64 v[3:4], v[3:4], off
	s_waitcnt vmcnt(0)
	v_sub_co_u32 v3, vcc_lo, v3, s18
	v_subrev_co_ci_u32_e32 v4, vcc_lo, 0, v4, vcc_lo
	v_add_co_u32 v1, vcc_lo, s4, v1
	v_add_co_ci_u32_e32 v2, vcc_lo, s5, v2, vcc_lo
	s_delay_alu instid0(VALU_DEP_3)
	v_lshlrev_b64 v[3:4], 1, v[3:4]
	global_load_u16 v7, v[1:2], off
	v_add_co_u32 v1, vcc_lo, s6, v3
	v_add_co_ci_u32_e32 v2, vcc_lo, s7, v4, vcc_lo
	global_load_u16 v1, v[1:2], off
	s_waitcnt vmcnt(1)
	v_lshlrev_b32_e32 v2, 16, v7
	s_waitcnt vmcnt(0)
	s_delay_alu instid0(VALU_DEP_1) | instskip(NEXT) | instid1(VALU_DEP_1)
	v_dual_mul_f32 v2, s16, v2 :: v_dual_lshlrev_b32 v1, 16, v1
	v_mul_f32_e32 v8, v2, v1
.LBB147_16:
	s_or_b32 exec_lo, exec_lo, s20
	v_lshlrev_b32_e32 v1, 2, v0
	ds_store_b32 v1, v8 offset:2048
.LBB147_17:
	s_or_b32 exec_lo, exec_lo, s15
	v_or_b32_e32 v1, 0x300, v0
	s_mov_b32 s15, exec_lo
	s_delay_alu instid0(VALU_DEP_1) | instskip(NEXT) | instid1(VALU_DEP_1)
	v_lshrrev_b32_e32 v1, s10, v1
	v_add_nc_u32_e32 v7, s14, v1
	s_delay_alu instid0(VALU_DEP_1)
	v_cmpx_gt_u32_e64 s11, v7
	s_cbranch_execz .LBB147_21
; %bb.18:
	v_mov_b32_e32 v8, 0
	s_delay_alu instid0(VALU_DEP_1) | instskip(NEXT) | instid1(VALU_DEP_1)
	v_lshlrev_b64 v[1:2], 3, v[7:8]
	v_add_co_u32 v1, vcc_lo, s17, v1
	s_delay_alu instid0(VALU_DEP_2) | instskip(SKIP_3) | instid1(VALU_DEP_1)
	v_add_co_ci_u32_e32 v2, vcc_lo, s19, v2, vcc_lo
	global_load_b64 v[1:2], v[1:2], off
	s_waitcnt vmcnt(0)
	v_lshlrev_b64 v[1:2], 3, v[1:2]
	v_add_co_u32 v1, vcc_lo, s0, v1
	s_delay_alu instid0(VALU_DEP_2)
	v_add_co_ci_u32_e32 v2, vcc_lo, s1, v2, vcc_lo
	s_mov_b32 s0, exec_lo
	global_load_b128 v[1:4], v[1:2], off
	s_waitcnt vmcnt(0)
	v_sub_co_u32 v3, vcc_lo, v3, v1
	v_sub_co_ci_u32_e32 v4, vcc_lo, v4, v2, vcc_lo
	s_delay_alu instid0(VALU_DEP_1)
	v_cmpx_gt_i64_e64 v[3:4], v[5:6]
	s_cbranch_execz .LBB147_20
; %bb.19:
	v_sub_co_u32 v1, vcc_lo, v1, s18
	v_subrev_co_ci_u32_e32 v2, vcc_lo, 0, v2, vcc_lo
	s_delay_alu instid0(VALU_DEP_2) | instskip(NEXT) | instid1(VALU_DEP_2)
	v_add_co_u32 v1, vcc_lo, v1, v5
	v_add_co_ci_u32_e32 v2, vcc_lo, 0, v2, vcc_lo
	s_delay_alu instid0(VALU_DEP_1) | instskip(SKIP_1) | instid1(VALU_DEP_2)
	v_lshlrev_b64 v[3:4], 3, v[1:2]
	v_lshlrev_b64 v[1:2], 1, v[1:2]
	v_add_co_u32 v3, vcc_lo, s2, v3
	s_delay_alu instid0(VALU_DEP_3)
	v_add_co_ci_u32_e32 v4, vcc_lo, s3, v4, vcc_lo
	global_load_b64 v[3:4], v[3:4], off
	s_waitcnt vmcnt(0)
	v_sub_co_u32 v3, vcc_lo, v3, s18
	v_subrev_co_ci_u32_e32 v4, vcc_lo, 0, v4, vcc_lo
	v_add_co_u32 v1, vcc_lo, s4, v1
	v_add_co_ci_u32_e32 v2, vcc_lo, s5, v2, vcc_lo
	s_delay_alu instid0(VALU_DEP_3)
	v_lshlrev_b64 v[3:4], 1, v[3:4]
	global_load_u16 v5, v[1:2], off
	v_add_co_u32 v1, vcc_lo, s6, v3
	v_add_co_ci_u32_e32 v2, vcc_lo, s7, v4, vcc_lo
	global_load_u16 v1, v[1:2], off
	s_waitcnt vmcnt(1)
	v_lshlrev_b32_e32 v2, 16, v5
	s_waitcnt vmcnt(0)
	s_delay_alu instid0(VALU_DEP_1) | instskip(NEXT) | instid1(VALU_DEP_1)
	v_dual_mul_f32 v2, s16, v2 :: v_dual_lshlrev_b32 v1, 16, v1
	v_mul_f32_e32 v8, v2, v1
.LBB147_20:
	s_or_b32 exec_lo, exec_lo, s0
	v_lshlrev_b32_e32 v1, 2, v0
	ds_store_b32 v1, v8 offset:3072
.LBB147_21:
	s_or_b32 exec_lo, exec_lo, s15
	s_cmp_lt_u32 s10, 11
	s_waitcnt lgkmcnt(0)
	s_barrier
	buffer_gl0_inv
	s_cbranch_scc0 .LBB147_30
; %bb.22:
	s_mov_b32 s15, 0
	v_cmp_neq_f32_e64 s0, s8, 0
	s_lshl_b64 s[2:3], s[14:15], 3
	v_mov_b32_e32 v2, 0
	s_sub_i32 s1, s11, s14
	s_add_u32 s2, s17, s2
	s_addc_u32 s3, s19, s3
	s_set_inst_prefetch_distance 0x1
	s_branch .LBB147_25
	.p2align	6
.LBB147_23:                             ;   in Loop: Header=BB147_25 Depth=1
	s_delay_alu instid0(VALU_DEP_1) | instskip(NEXT) | instid1(VALU_DEP_2)
	v_add_co_u32 v3, vcc_lo, s12, v3
	v_add_co_ci_u32_e32 v4, vcc_lo, s13, v4, vcc_lo
	global_store_b32 v[3:4], v1, off
.LBB147_24:                             ;   in Loop: Header=BB147_25 Depth=1
	s_or_b32 exec_lo, exec_lo, s4
	s_addk_i32 s15, 0x100
	s_delay_alu instid0(SALU_CYCLE_1)
	s_cmp_lt_u32 s15, s9
	s_cbranch_scc0 .LBB147_30
.LBB147_25:                             ; =>This Loop Header: Depth=1
                                        ;     Child Loop BB147_27 Depth 2
	v_add_nc_u32_e32 v1, s15, v0
	s_mov_b32 s4, exec_lo
	s_delay_alu instid0(VALU_DEP_1)
	v_cmpx_gt_u32_e64 s1, v1
	s_cbranch_execz .LBB147_24
; %bb.26:                               ;   in Loop: Header=BB147_25 Depth=1
	v_lshlrev_b64 v[3:4], 3, v[1:2]
	v_lshlrev_b32_e32 v1, s10, v1
	s_mov_b32 s5, 1
	s_delay_alu instid0(VALU_DEP_1) | instskip(NEXT) | instid1(VALU_DEP_3)
	v_lshlrev_b32_e32 v5, 2, v1
	v_add_co_u32 v3, vcc_lo, s2, v3
	s_delay_alu instid0(VALU_DEP_4)
	v_add_co_ci_u32_e32 v4, vcc_lo, s3, v4, vcc_lo
	v_mov_b32_e32 v1, 0
	global_load_b64 v[3:4], v[3:4], off
.LBB147_27:                             ;   Parent Loop BB147_25 Depth=1
                                        ; =>  This Inner Loop Header: Depth=2
	ds_load_b32 v6, v5
	v_add_nc_u32_e32 v5, 4, v5
	s_lshr_b32 s6, s5, s10
	s_add_i32 s5, s5, 1
	s_cmp_lg_u32 s6, 0
	s_waitcnt lgkmcnt(0)
	v_add_f32_e32 v1, v1, v6
	s_cbranch_scc0 .LBB147_27
; %bb.28:                               ;   in Loop: Header=BB147_25 Depth=1
	s_waitcnt vmcnt(0)
	v_lshlrev_b64 v[3:4], 2, v[3:4]
	s_and_b32 vcc_lo, exec_lo, s0
	s_cbranch_vccz .LBB147_23
; %bb.29:                               ;   in Loop: Header=BB147_25 Depth=1
	s_delay_alu instid0(VALU_DEP_1) | instskip(NEXT) | instid1(VALU_DEP_2)
	v_add_co_u32 v5, vcc_lo, s12, v3
	v_add_co_ci_u32_e32 v6, vcc_lo, s13, v4, vcc_lo
	global_load_b32 v5, v[5:6], off
	s_waitcnt vmcnt(0)
	v_fmac_f32_e32 v1, s8, v5
	s_branch .LBB147_23
.LBB147_30:
	s_set_inst_prefetch_distance 0x2
	s_nop 0
	s_sendmsg sendmsg(MSG_DEALLOC_VGPRS)
	s_endpgm
	.section	.rodata,"a",@progbits
	.p2align	6, 0x0
	.amdhsa_kernel _ZN9rocsparseL30csrmvn_lrb_short_rows_2_kernelIll18rocsparse_bfloat16S1_ffEEvbT_PT0_S4_jNS_24const_host_device_scalarIT4_EEPKS2_PKS3_PKT1_PKT2_S7_PT3_21rocsparse_index_base_b
		.amdhsa_group_segment_fixed_size 4096
		.amdhsa_private_segment_fixed_size 0
		.amdhsa_kernarg_size 104
		.amdhsa_user_sgpr_count 15
		.amdhsa_user_sgpr_dispatch_ptr 0
		.amdhsa_user_sgpr_queue_ptr 0
		.amdhsa_user_sgpr_kernarg_segment_ptr 1
		.amdhsa_user_sgpr_dispatch_id 0
		.amdhsa_user_sgpr_private_segment_size 0
		.amdhsa_wavefront_size32 1
		.amdhsa_uses_dynamic_stack 0
		.amdhsa_enable_private_segment 0
		.amdhsa_system_sgpr_workgroup_id_x 1
		.amdhsa_system_sgpr_workgroup_id_y 0
		.amdhsa_system_sgpr_workgroup_id_z 0
		.amdhsa_system_sgpr_workgroup_info 0
		.amdhsa_system_vgpr_workitem_id 0
		.amdhsa_next_free_vgpr 9
		.amdhsa_next_free_sgpr 24
		.amdhsa_reserve_vcc 1
		.amdhsa_float_round_mode_32 0
		.amdhsa_float_round_mode_16_64 0
		.amdhsa_float_denorm_mode_32 3
		.amdhsa_float_denorm_mode_16_64 3
		.amdhsa_dx10_clamp 1
		.amdhsa_ieee_mode 1
		.amdhsa_fp16_overflow 0
		.amdhsa_workgroup_processor_mode 1
		.amdhsa_memory_ordered 1
		.amdhsa_forward_progress 0
		.amdhsa_shared_vgpr_count 0
		.amdhsa_exception_fp_ieee_invalid_op 0
		.amdhsa_exception_fp_denorm_src 0
		.amdhsa_exception_fp_ieee_div_zero 0
		.amdhsa_exception_fp_ieee_overflow 0
		.amdhsa_exception_fp_ieee_underflow 0
		.amdhsa_exception_fp_ieee_inexact 0
		.amdhsa_exception_int_div_zero 0
	.end_amdhsa_kernel
	.section	.text._ZN9rocsparseL30csrmvn_lrb_short_rows_2_kernelIll18rocsparse_bfloat16S1_ffEEvbT_PT0_S4_jNS_24const_host_device_scalarIT4_EEPKS2_PKS3_PKT1_PKT2_S7_PT3_21rocsparse_index_base_b,"axG",@progbits,_ZN9rocsparseL30csrmvn_lrb_short_rows_2_kernelIll18rocsparse_bfloat16S1_ffEEvbT_PT0_S4_jNS_24const_host_device_scalarIT4_EEPKS2_PKS3_PKT1_PKT2_S7_PT3_21rocsparse_index_base_b,comdat
.Lfunc_end147:
	.size	_ZN9rocsparseL30csrmvn_lrb_short_rows_2_kernelIll18rocsparse_bfloat16S1_ffEEvbT_PT0_S4_jNS_24const_host_device_scalarIT4_EEPKS2_PKS3_PKT1_PKT2_S7_PT3_21rocsparse_index_base_b, .Lfunc_end147-_ZN9rocsparseL30csrmvn_lrb_short_rows_2_kernelIll18rocsparse_bfloat16S1_ffEEvbT_PT0_S4_jNS_24const_host_device_scalarIT4_EEPKS2_PKS3_PKT1_PKT2_S7_PT3_21rocsparse_index_base_b
                                        ; -- End function
	.section	.AMDGPU.csdata,"",@progbits
; Kernel info:
; codeLenInByte = 1900
; NumSgprs: 26
; NumVgprs: 9
; ScratchSize: 0
; MemoryBound: 0
; FloatMode: 240
; IeeeMode: 1
; LDSByteSize: 4096 bytes/workgroup (compile time only)
; SGPRBlocks: 3
; VGPRBlocks: 1
; NumSGPRsForWavesPerEU: 26
; NumVGPRsForWavesPerEU: 9
; Occupancy: 16
; WaveLimiterHint : 1
; COMPUTE_PGM_RSRC2:SCRATCH_EN: 0
; COMPUTE_PGM_RSRC2:USER_SGPR: 15
; COMPUTE_PGM_RSRC2:TRAP_HANDLER: 0
; COMPUTE_PGM_RSRC2:TGID_X_EN: 1
; COMPUTE_PGM_RSRC2:TGID_Y_EN: 0
; COMPUTE_PGM_RSRC2:TGID_Z_EN: 0
; COMPUTE_PGM_RSRC2:TIDIG_COMP_CNT: 0
	.section	.text._ZN9rocsparseL41csrmvn_lrb_medium_rows_warp_reduce_kernelILj256ELj32Ell18rocsparse_bfloat16S1_ffEEvbT1_lPT2_S4_jNS_24const_host_device_scalarIT6_EEPKS2_PKS3_PKT3_PKT4_S7_PT5_21rocsparse_index_base_b,"axG",@progbits,_ZN9rocsparseL41csrmvn_lrb_medium_rows_warp_reduce_kernelILj256ELj32Ell18rocsparse_bfloat16S1_ffEEvbT1_lPT2_S4_jNS_24const_host_device_scalarIT6_EEPKS2_PKS3_PKT3_PKT4_S7_PT5_21rocsparse_index_base_b,comdat
	.globl	_ZN9rocsparseL41csrmvn_lrb_medium_rows_warp_reduce_kernelILj256ELj32Ell18rocsparse_bfloat16S1_ffEEvbT1_lPT2_S4_jNS_24const_host_device_scalarIT6_EEPKS2_PKS3_PKT3_PKT4_S7_PT5_21rocsparse_index_base_b ; -- Begin function _ZN9rocsparseL41csrmvn_lrb_medium_rows_warp_reduce_kernelILj256ELj32Ell18rocsparse_bfloat16S1_ffEEvbT1_lPT2_S4_jNS_24const_host_device_scalarIT6_EEPKS2_PKS3_PKT3_PKT4_S7_PT5_21rocsparse_index_base_b
	.p2align	8
	.type	_ZN9rocsparseL41csrmvn_lrb_medium_rows_warp_reduce_kernelILj256ELj32Ell18rocsparse_bfloat16S1_ffEEvbT1_lPT2_S4_jNS_24const_host_device_scalarIT6_EEPKS2_PKS3_PKT3_PKT4_S7_PT5_21rocsparse_index_base_b,@function
_ZN9rocsparseL41csrmvn_lrb_medium_rows_warp_reduce_kernelILj256ELj32Ell18rocsparse_bfloat16S1_ffEEvbT1_lPT2_S4_jNS_24const_host_device_scalarIT6_EEPKS2_PKS3_PKT3_PKT4_S7_PT5_21rocsparse_index_base_b: ; @_ZN9rocsparseL41csrmvn_lrb_medium_rows_warp_reduce_kernelILj256ELj32Ell18rocsparse_bfloat16S1_ffEEvbT1_lPT2_S4_jNS_24const_host_device_scalarIT6_EEPKS2_PKS3_PKT3_PKT4_S7_PT5_21rocsparse_index_base_b
; %bb.0:
	s_clause 0x2
	s_load_b64 s[4:5], s[0:1], 0x68
	s_load_b64 s[6:7], s[0:1], 0x30
	;; [unrolled: 1-line block ×3, first 2 shown]
	s_waitcnt lgkmcnt(0)
	s_bitcmp1_b32 s5, 0
	s_cselect_b32 s5, -1, 0
	s_delay_alu instid0(SALU_CYCLE_1)
	s_and_b32 vcc_lo, exec_lo, s5
	s_xor_b32 s5, s5, -1
	s_cbranch_vccnz .LBB148_2
; %bb.1:
	s_load_b32 s6, s[6:7], 0x0
.LBB148_2:
	s_and_not1_b32 vcc_lo, exec_lo, s5
	s_cbranch_vccnz .LBB148_4
; %bb.3:
	s_load_b32 s2, s[2:3], 0x0
.LBB148_4:
	s_waitcnt lgkmcnt(0)
	v_cmp_neq_f32_e64 s3, s6, 0
	v_cmp_neq_f32_e64 s5, s2, 1.0
	s_delay_alu instid0(VALU_DEP_1) | instskip(NEXT) | instid1(SALU_CYCLE_1)
	s_or_b32 s3, s3, s5
	s_and_not1_b32 vcc_lo, exec_lo, s3
	s_cbranch_vccnz .LBB148_14
; %bb.5:
	s_load_b64 s[8:9], s[0:1], 0x10
	v_lshrrev_b32_e32 v1, 5, v0
	s_mov_b32 s3, exec_lo
	s_delay_alu instid0(VALU_DEP_1) | instskip(NEXT) | instid1(VALU_DEP_1)
	v_lshl_or_b32 v1, s15, 3, v1
	v_ashrrev_i32_e32 v2, 31, v1
	s_waitcnt lgkmcnt(0)
	s_delay_alu instid0(VALU_DEP_1)
	v_cmpx_gt_i64_e64 s[8:9], v[1:2]
	s_cbranch_execz .LBB148_14
; %bb.6:
	s_clause 0x1
	s_load_b32 s10, s[0:1], 0x28
	s_load_b128 s[12:15], s[0:1], 0x18
	s_mov_b32 s11, 0
	v_lshlrev_b64 v[1:2], 3, v[1:2]
	v_dual_mov_b32 v11, 0 :: v_dual_and_b32 v0, 31, v0
	s_waitcnt lgkmcnt(0)
	s_lshl_b64 s[8:9], s[10:11], 3
	s_delay_alu instid0(SALU_CYCLE_1) | instskip(SKIP_4) | instid1(SALU_CYCLE_1)
	s_add_u32 s8, s14, s8
	s_addc_u32 s9, s15, s9
	s_load_b64 s[8:9], s[8:9], 0x0
	s_waitcnt lgkmcnt(0)
	s_lshl_b64 s[8:9], s[8:9], 3
	s_add_u32 s3, s12, s8
	s_addc_u32 s5, s13, s9
	v_add_co_u32 v1, vcc_lo, s3, v1
	v_add_co_ci_u32_e32 v2, vcc_lo, s5, v2, vcc_lo
	s_load_b64 s[8:9], s[0:1], 0x38
	v_sub_co_u32 v9, s3, v0, s4
	global_load_b64 v[1:2], v[1:2], off
	v_sub_co_ci_u32_e64 v10, null, 0, 0, s3
	s_mov_b32 s3, exec_lo
	s_waitcnt vmcnt(0)
	v_lshlrev_b64 v[3:4], 3, v[1:2]
	s_waitcnt lgkmcnt(0)
	s_delay_alu instid0(VALU_DEP_1) | instskip(NEXT) | instid1(VALU_DEP_2)
	v_add_co_u32 v3, vcc_lo, s8, v3
	v_add_co_ci_u32_e32 v4, vcc_lo, s9, v4, vcc_lo
	s_load_b64 s[8:9], s[0:1], 0x60
	global_load_b128 v[5:8], v[3:4], off
	s_waitcnt vmcnt(0)
	v_sub_co_u32 v3, vcc_lo, v7, s4
	v_subrev_co_ci_u32_e32 v4, vcc_lo, 0, v8, vcc_lo
	v_add_co_u32 v5, vcc_lo, v5, v9
	v_add_co_ci_u32_e32 v6, vcc_lo, v6, v10, vcc_lo
	s_delay_alu instid0(VALU_DEP_1)
	v_cmpx_lt_i64_e64 v[5:6], v[3:4]
	s_cbranch_execz .LBB148_10
; %bb.7:
	s_clause 0x1
	s_load_b128 s[16:19], s[0:1], 0x40
	s_load_b64 s[12:13], s[0:1], 0x50
	v_lshlrev_b64 v[7:8], 1, v[5:6]
	v_lshlrev_b64 v[9:10], 3, v[5:6]
	v_mov_b32_e32 v11, 0
	s_waitcnt lgkmcnt(0)
	s_delay_alu instid0(VALU_DEP_3) | instskip(NEXT) | instid1(VALU_DEP_4)
	v_add_co_u32 v7, vcc_lo, s18, v7
	v_add_co_ci_u32_e32 v8, vcc_lo, s19, v8, vcc_lo
	s_delay_alu instid0(VALU_DEP_4)
	v_add_co_u32 v9, vcc_lo, s16, v9
	v_add_co_ci_u32_e32 v10, vcc_lo, s17, v10, vcc_lo
	s_set_inst_prefetch_distance 0x1
	.p2align	6
.LBB148_8:                              ; =>This Inner Loop Header: Depth=1
	global_load_b64 v[12:13], v[9:10], off
	global_load_u16 v14, v[7:8], off
	v_add_co_u32 v9, s0, 0x100, v9
	s_delay_alu instid0(VALU_DEP_1) | instskip(SKIP_3) | instid1(VALU_DEP_1)
	v_add_co_ci_u32_e64 v10, s0, 0, v10, s0
	s_waitcnt vmcnt(1)
	v_sub_co_u32 v12, vcc_lo, v12, s4
	v_subrev_co_ci_u32_e32 v13, vcc_lo, 0, v13, vcc_lo
	v_lshlrev_b64 v[12:13], 1, v[12:13]
	s_delay_alu instid0(VALU_DEP_1) | instskip(NEXT) | instid1(VALU_DEP_2)
	v_add_co_u32 v12, vcc_lo, s12, v12
	v_add_co_ci_u32_e32 v13, vcc_lo, s13, v13, vcc_lo
	v_add_co_u32 v5, vcc_lo, v5, 32
	v_add_co_ci_u32_e32 v6, vcc_lo, 0, v6, vcc_lo
	global_load_u16 v12, v[12:13], off
	s_waitcnt vmcnt(1)
	v_lshlrev_b32_e32 v13, 16, v14
	v_add_co_u32 v7, vcc_lo, v7, 64
	v_add_co_ci_u32_e32 v8, vcc_lo, 0, v8, vcc_lo
	s_delay_alu instid0(VALU_DEP_3) | instskip(SKIP_4) | instid1(VALU_DEP_1)
	v_mul_f32_e32 v13, s6, v13
	v_cmp_ge_i64_e32 vcc_lo, v[5:6], v[3:4]
	s_or_b32 s11, vcc_lo, s11
	s_waitcnt vmcnt(0)
	v_lshlrev_b32_e32 v12, 16, v12
	v_fmac_f32_e32 v11, v13, v12
	s_and_not1_b32 exec_lo, exec_lo, s11
	s_cbranch_execnz .LBB148_8
; %bb.9:
	s_set_inst_prefetch_distance 0x2
	s_or_b32 exec_lo, exec_lo, s11
.LBB148_10:
	s_delay_alu instid0(SALU_CYCLE_1) | instskip(SKIP_1) | instid1(VALU_DEP_1)
	s_or_b32 exec_lo, exec_lo, s3
	v_mbcnt_lo_u32_b32 v3, -1, 0
	v_xor_b32_e32 v4, 16, v3
	v_xor_b32_e32 v5, 8, v3
	v_xor_b32_e32 v6, 4, v3
	s_delay_alu instid0(VALU_DEP_3) | instskip(SKIP_1) | instid1(VALU_DEP_4)
	v_cmp_gt_i32_e32 vcc_lo, 32, v4
	v_cndmask_b32_e32 v4, v3, v4, vcc_lo
	v_cmp_gt_i32_e32 vcc_lo, 32, v5
	v_cndmask_b32_e32 v5, v3, v5, vcc_lo
	;; [unrolled: 2-line block ×3, first 2 shown]
	s_delay_alu instid0(VALU_DEP_1) | instskip(NEXT) | instid1(VALU_DEP_4)
	v_lshlrev_b32_e32 v6, 2, v6
	v_lshlrev_b32_e32 v5, 2, v5
	;; [unrolled: 1-line block ×3, first 2 shown]
	ds_bpermute_b32 v4, v4, v11
	s_waitcnt lgkmcnt(0)
	v_add_f32_e32 v4, v11, v4
	ds_bpermute_b32 v5, v5, v4
	s_waitcnt lgkmcnt(0)
	v_add_f32_e32 v4, v4, v5
	ds_bpermute_b32 v5, v6, v4
	v_xor_b32_e32 v6, 2, v3
	s_delay_alu instid0(VALU_DEP_1) | instskip(SKIP_1) | instid1(VALU_DEP_1)
	v_cmp_gt_i32_e32 vcc_lo, 32, v6
	v_cndmask_b32_e32 v6, v3, v6, vcc_lo
	v_lshlrev_b32_e32 v6, 2, v6
	s_waitcnt lgkmcnt(0)
	v_add_f32_e32 v4, v4, v5
	ds_bpermute_b32 v5, v6, v4
	v_xor_b32_e32 v6, 1, v3
	s_delay_alu instid0(VALU_DEP_1) | instskip(SKIP_3) | instid1(VALU_DEP_2)
	v_cmp_gt_i32_e32 vcc_lo, 32, v6
	v_cndmask_b32_e32 v6, v3, v6, vcc_lo
	v_cmp_eq_u32_e32 vcc_lo, 31, v0
	s_waitcnt lgkmcnt(0)
	v_dual_add_f32 v3, v4, v5 :: v_dual_lshlrev_b32 v4, 2, v6
	ds_bpermute_b32 v4, v4, v3
	s_and_b32 exec_lo, exec_lo, vcc_lo
	s_cbranch_execz .LBB148_14
; %bb.11:
	v_cmp_eq_f32_e64 s0, s2, 0
	v_lshlrev_b64 v[0:1], 2, v[1:2]
	s_waitcnt lgkmcnt(0)
	v_add_f32_e32 v3, v3, v4
	s_delay_alu instid0(VALU_DEP_3)
	s_and_b32 vcc_lo, exec_lo, s0
	s_cbranch_vccnz .LBB148_13
; %bb.12:
	s_delay_alu instid0(VALU_DEP_2)
	v_add_co_u32 v4, vcc_lo, s8, v0
	v_add_co_ci_u32_e32 v5, vcc_lo, s9, v1, vcc_lo
	global_load_b32 v2, v[4:5], off
	s_waitcnt vmcnt(0)
	v_fmac_f32_e32 v3, s2, v2
.LBB148_13:
	s_delay_alu instid0(VALU_DEP_2)
	v_add_co_u32 v0, vcc_lo, s8, v0
	v_add_co_ci_u32_e32 v1, vcc_lo, s9, v1, vcc_lo
	global_store_b32 v[0:1], v3, off
.LBB148_14:
	s_nop 0
	s_sendmsg sendmsg(MSG_DEALLOC_VGPRS)
	s_endpgm
	.section	.rodata,"a",@progbits
	.p2align	6, 0x0
	.amdhsa_kernel _ZN9rocsparseL41csrmvn_lrb_medium_rows_warp_reduce_kernelILj256ELj32Ell18rocsparse_bfloat16S1_ffEEvbT1_lPT2_S4_jNS_24const_host_device_scalarIT6_EEPKS2_PKS3_PKT3_PKT4_S7_PT5_21rocsparse_index_base_b
		.amdhsa_group_segment_fixed_size 0
		.amdhsa_private_segment_fixed_size 0
		.amdhsa_kernarg_size 112
		.amdhsa_user_sgpr_count 15
		.amdhsa_user_sgpr_dispatch_ptr 0
		.amdhsa_user_sgpr_queue_ptr 0
		.amdhsa_user_sgpr_kernarg_segment_ptr 1
		.amdhsa_user_sgpr_dispatch_id 0
		.amdhsa_user_sgpr_private_segment_size 0
		.amdhsa_wavefront_size32 1
		.amdhsa_uses_dynamic_stack 0
		.amdhsa_enable_private_segment 0
		.amdhsa_system_sgpr_workgroup_id_x 1
		.amdhsa_system_sgpr_workgroup_id_y 0
		.amdhsa_system_sgpr_workgroup_id_z 0
		.amdhsa_system_sgpr_workgroup_info 0
		.amdhsa_system_vgpr_workitem_id 0
		.amdhsa_next_free_vgpr 15
		.amdhsa_next_free_sgpr 20
		.amdhsa_reserve_vcc 1
		.amdhsa_float_round_mode_32 0
		.amdhsa_float_round_mode_16_64 0
		.amdhsa_float_denorm_mode_32 3
		.amdhsa_float_denorm_mode_16_64 3
		.amdhsa_dx10_clamp 1
		.amdhsa_ieee_mode 1
		.amdhsa_fp16_overflow 0
		.amdhsa_workgroup_processor_mode 1
		.amdhsa_memory_ordered 1
		.amdhsa_forward_progress 0
		.amdhsa_shared_vgpr_count 0
		.amdhsa_exception_fp_ieee_invalid_op 0
		.amdhsa_exception_fp_denorm_src 0
		.amdhsa_exception_fp_ieee_div_zero 0
		.amdhsa_exception_fp_ieee_overflow 0
		.amdhsa_exception_fp_ieee_underflow 0
		.amdhsa_exception_fp_ieee_inexact 0
		.amdhsa_exception_int_div_zero 0
	.end_amdhsa_kernel
	.section	.text._ZN9rocsparseL41csrmvn_lrb_medium_rows_warp_reduce_kernelILj256ELj32Ell18rocsparse_bfloat16S1_ffEEvbT1_lPT2_S4_jNS_24const_host_device_scalarIT6_EEPKS2_PKS3_PKT3_PKT4_S7_PT5_21rocsparse_index_base_b,"axG",@progbits,_ZN9rocsparseL41csrmvn_lrb_medium_rows_warp_reduce_kernelILj256ELj32Ell18rocsparse_bfloat16S1_ffEEvbT1_lPT2_S4_jNS_24const_host_device_scalarIT6_EEPKS2_PKS3_PKT3_PKT4_S7_PT5_21rocsparse_index_base_b,comdat
.Lfunc_end148:
	.size	_ZN9rocsparseL41csrmvn_lrb_medium_rows_warp_reduce_kernelILj256ELj32Ell18rocsparse_bfloat16S1_ffEEvbT1_lPT2_S4_jNS_24const_host_device_scalarIT6_EEPKS2_PKS3_PKT3_PKT4_S7_PT5_21rocsparse_index_base_b, .Lfunc_end148-_ZN9rocsparseL41csrmvn_lrb_medium_rows_warp_reduce_kernelILj256ELj32Ell18rocsparse_bfloat16S1_ffEEvbT1_lPT2_S4_jNS_24const_host_device_scalarIT6_EEPKS2_PKS3_PKT3_PKT4_S7_PT5_21rocsparse_index_base_b
                                        ; -- End function
	.section	.AMDGPU.csdata,"",@progbits
; Kernel info:
; codeLenInByte = 936
; NumSgprs: 22
; NumVgprs: 15
; ScratchSize: 0
; MemoryBound: 0
; FloatMode: 240
; IeeeMode: 1
; LDSByteSize: 0 bytes/workgroup (compile time only)
; SGPRBlocks: 2
; VGPRBlocks: 1
; NumSGPRsForWavesPerEU: 22
; NumVGPRsForWavesPerEU: 15
; Occupancy: 16
; WaveLimiterHint : 1
; COMPUTE_PGM_RSRC2:SCRATCH_EN: 0
; COMPUTE_PGM_RSRC2:USER_SGPR: 15
; COMPUTE_PGM_RSRC2:TRAP_HANDLER: 0
; COMPUTE_PGM_RSRC2:TGID_X_EN: 1
; COMPUTE_PGM_RSRC2:TGID_Y_EN: 0
; COMPUTE_PGM_RSRC2:TGID_Z_EN: 0
; COMPUTE_PGM_RSRC2:TIDIG_COMP_CNT: 0
	.section	.text._ZN9rocsparseL41csrmvn_lrb_medium_rows_warp_reduce_kernelILj256ELj64Ell18rocsparse_bfloat16S1_ffEEvbT1_lPT2_S4_jNS_24const_host_device_scalarIT6_EEPKS2_PKS3_PKT3_PKT4_S7_PT5_21rocsparse_index_base_b,"axG",@progbits,_ZN9rocsparseL41csrmvn_lrb_medium_rows_warp_reduce_kernelILj256ELj64Ell18rocsparse_bfloat16S1_ffEEvbT1_lPT2_S4_jNS_24const_host_device_scalarIT6_EEPKS2_PKS3_PKT3_PKT4_S7_PT5_21rocsparse_index_base_b,comdat
	.globl	_ZN9rocsparseL41csrmvn_lrb_medium_rows_warp_reduce_kernelILj256ELj64Ell18rocsparse_bfloat16S1_ffEEvbT1_lPT2_S4_jNS_24const_host_device_scalarIT6_EEPKS2_PKS3_PKT3_PKT4_S7_PT5_21rocsparse_index_base_b ; -- Begin function _ZN9rocsparseL41csrmvn_lrb_medium_rows_warp_reduce_kernelILj256ELj64Ell18rocsparse_bfloat16S1_ffEEvbT1_lPT2_S4_jNS_24const_host_device_scalarIT6_EEPKS2_PKS3_PKT3_PKT4_S7_PT5_21rocsparse_index_base_b
	.p2align	8
	.type	_ZN9rocsparseL41csrmvn_lrb_medium_rows_warp_reduce_kernelILj256ELj64Ell18rocsparse_bfloat16S1_ffEEvbT1_lPT2_S4_jNS_24const_host_device_scalarIT6_EEPKS2_PKS3_PKT3_PKT4_S7_PT5_21rocsparse_index_base_b,@function
_ZN9rocsparseL41csrmvn_lrb_medium_rows_warp_reduce_kernelILj256ELj64Ell18rocsparse_bfloat16S1_ffEEvbT1_lPT2_S4_jNS_24const_host_device_scalarIT6_EEPKS2_PKS3_PKT3_PKT4_S7_PT5_21rocsparse_index_base_b: ; @_ZN9rocsparseL41csrmvn_lrb_medium_rows_warp_reduce_kernelILj256ELj64Ell18rocsparse_bfloat16S1_ffEEvbT1_lPT2_S4_jNS_24const_host_device_scalarIT6_EEPKS2_PKS3_PKT3_PKT4_S7_PT5_21rocsparse_index_base_b
; %bb.0:
	s_clause 0x2
	s_load_b64 s[4:5], s[0:1], 0x68
	s_load_b64 s[6:7], s[0:1], 0x30
	;; [unrolled: 1-line block ×3, first 2 shown]
	s_waitcnt lgkmcnt(0)
	s_bitcmp1_b32 s5, 0
	s_cselect_b32 s5, -1, 0
	s_delay_alu instid0(SALU_CYCLE_1)
	s_and_b32 vcc_lo, exec_lo, s5
	s_xor_b32 s5, s5, -1
	s_cbranch_vccnz .LBB149_2
; %bb.1:
	s_load_b32 s6, s[6:7], 0x0
.LBB149_2:
	s_and_not1_b32 vcc_lo, exec_lo, s5
	s_cbranch_vccnz .LBB149_4
; %bb.3:
	s_load_b32 s2, s[2:3], 0x0
.LBB149_4:
	s_waitcnt lgkmcnt(0)
	v_cmp_neq_f32_e64 s3, s6, 0
	v_cmp_neq_f32_e64 s5, s2, 1.0
	s_delay_alu instid0(VALU_DEP_1) | instskip(NEXT) | instid1(SALU_CYCLE_1)
	s_or_b32 s3, s3, s5
	s_and_not1_b32 vcc_lo, exec_lo, s3
	s_cbranch_vccnz .LBB149_14
; %bb.5:
	s_load_b64 s[8:9], s[0:1], 0x10
	v_lshrrev_b32_e32 v1, 6, v0
	s_mov_b32 s3, exec_lo
	s_delay_alu instid0(VALU_DEP_1) | instskip(NEXT) | instid1(VALU_DEP_1)
	v_lshl_or_b32 v1, s15, 2, v1
	v_ashrrev_i32_e32 v2, 31, v1
	s_waitcnt lgkmcnt(0)
	s_delay_alu instid0(VALU_DEP_1)
	v_cmpx_gt_i64_e64 s[8:9], v[1:2]
	s_cbranch_execz .LBB149_14
; %bb.6:
	s_clause 0x1
	s_load_b32 s10, s[0:1], 0x28
	s_load_b128 s[12:15], s[0:1], 0x18
	s_mov_b32 s11, 0
	v_lshlrev_b64 v[1:2], 3, v[1:2]
	v_dual_mov_b32 v11, 0 :: v_dual_and_b32 v0, 63, v0
	s_waitcnt lgkmcnt(0)
	s_lshl_b64 s[8:9], s[10:11], 3
	s_delay_alu instid0(SALU_CYCLE_1) | instskip(SKIP_4) | instid1(SALU_CYCLE_1)
	s_add_u32 s8, s14, s8
	s_addc_u32 s9, s15, s9
	s_load_b64 s[8:9], s[8:9], 0x0
	s_waitcnt lgkmcnt(0)
	s_lshl_b64 s[8:9], s[8:9], 3
	s_add_u32 s3, s12, s8
	s_addc_u32 s5, s13, s9
	v_add_co_u32 v1, vcc_lo, s3, v1
	v_add_co_ci_u32_e32 v2, vcc_lo, s5, v2, vcc_lo
	s_load_b64 s[8:9], s[0:1], 0x38
	v_sub_co_u32 v9, s3, v0, s4
	global_load_b64 v[1:2], v[1:2], off
	v_sub_co_ci_u32_e64 v10, null, 0, 0, s3
	s_mov_b32 s3, exec_lo
	s_waitcnt vmcnt(0)
	v_lshlrev_b64 v[3:4], 3, v[1:2]
	s_waitcnt lgkmcnt(0)
	s_delay_alu instid0(VALU_DEP_1) | instskip(NEXT) | instid1(VALU_DEP_2)
	v_add_co_u32 v3, vcc_lo, s8, v3
	v_add_co_ci_u32_e32 v4, vcc_lo, s9, v4, vcc_lo
	s_load_b64 s[8:9], s[0:1], 0x60
	global_load_b128 v[5:8], v[3:4], off
	s_waitcnt vmcnt(0)
	v_sub_co_u32 v3, vcc_lo, v7, s4
	v_subrev_co_ci_u32_e32 v4, vcc_lo, 0, v8, vcc_lo
	v_add_co_u32 v5, vcc_lo, v5, v9
	v_add_co_ci_u32_e32 v6, vcc_lo, v6, v10, vcc_lo
	s_delay_alu instid0(VALU_DEP_1)
	v_cmpx_lt_i64_e64 v[5:6], v[3:4]
	s_cbranch_execz .LBB149_10
; %bb.7:
	s_clause 0x1
	s_load_b128 s[16:19], s[0:1], 0x40
	s_load_b64 s[12:13], s[0:1], 0x50
	v_lshlrev_b64 v[7:8], 1, v[5:6]
	v_lshlrev_b64 v[9:10], 3, v[5:6]
	v_mov_b32_e32 v11, 0
	s_waitcnt lgkmcnt(0)
	s_delay_alu instid0(VALU_DEP_3) | instskip(NEXT) | instid1(VALU_DEP_4)
	v_add_co_u32 v7, vcc_lo, s18, v7
	v_add_co_ci_u32_e32 v8, vcc_lo, s19, v8, vcc_lo
	s_delay_alu instid0(VALU_DEP_4)
	v_add_co_u32 v9, vcc_lo, s16, v9
	v_add_co_ci_u32_e32 v10, vcc_lo, s17, v10, vcc_lo
	s_set_inst_prefetch_distance 0x1
	.p2align	6
.LBB149_8:                              ; =>This Inner Loop Header: Depth=1
	global_load_b64 v[12:13], v[9:10], off
	global_load_u16 v14, v[7:8], off
	v_add_co_u32 v9, s0, 0x200, v9
	s_delay_alu instid0(VALU_DEP_1) | instskip(SKIP_3) | instid1(VALU_DEP_1)
	v_add_co_ci_u32_e64 v10, s0, 0, v10, s0
	s_waitcnt vmcnt(1)
	v_sub_co_u32 v12, vcc_lo, v12, s4
	v_subrev_co_ci_u32_e32 v13, vcc_lo, 0, v13, vcc_lo
	v_lshlrev_b64 v[12:13], 1, v[12:13]
	s_delay_alu instid0(VALU_DEP_1) | instskip(NEXT) | instid1(VALU_DEP_2)
	v_add_co_u32 v12, vcc_lo, s12, v12
	v_add_co_ci_u32_e32 v13, vcc_lo, s13, v13, vcc_lo
	v_add_co_u32 v5, vcc_lo, v5, 64
	v_add_co_ci_u32_e32 v6, vcc_lo, 0, v6, vcc_lo
	global_load_u16 v12, v[12:13], off
	s_waitcnt vmcnt(1)
	v_lshlrev_b32_e32 v13, 16, v14
	v_add_co_u32 v7, vcc_lo, 0x80, v7
	v_add_co_ci_u32_e32 v8, vcc_lo, 0, v8, vcc_lo
	s_delay_alu instid0(VALU_DEP_3) | instskip(SKIP_4) | instid1(VALU_DEP_1)
	v_mul_f32_e32 v13, s6, v13
	v_cmp_ge_i64_e32 vcc_lo, v[5:6], v[3:4]
	s_or_b32 s11, vcc_lo, s11
	s_waitcnt vmcnt(0)
	v_lshlrev_b32_e32 v12, 16, v12
	v_fmac_f32_e32 v11, v13, v12
	s_and_not1_b32 exec_lo, exec_lo, s11
	s_cbranch_execnz .LBB149_8
; %bb.9:
	s_set_inst_prefetch_distance 0x2
	s_or_b32 exec_lo, exec_lo, s11
.LBB149_10:
	s_delay_alu instid0(SALU_CYCLE_1) | instskip(SKIP_1) | instid1(VALU_DEP_1)
	s_or_b32 exec_lo, exec_lo, s3
	v_mbcnt_lo_u32_b32 v3, -1, 0
	v_or_b32_e32 v4, 32, v3
	v_xor_b32_e32 v5, 16, v3
	v_xor_b32_e32 v6, 8, v3
	s_delay_alu instid0(VALU_DEP_3) | instskip(SKIP_1) | instid1(VALU_DEP_4)
	v_cmp_gt_i32_e32 vcc_lo, 32, v4
	v_cndmask_b32_e32 v4, v3, v4, vcc_lo
	v_cmp_gt_i32_e32 vcc_lo, 32, v5
	v_cndmask_b32_e32 v5, v3, v5, vcc_lo
	;; [unrolled: 2-line block ×3, first 2 shown]
	s_delay_alu instid0(VALU_DEP_1) | instskip(NEXT) | instid1(VALU_DEP_4)
	v_lshlrev_b32_e32 v6, 2, v6
	v_lshlrev_b32_e32 v5, 2, v5
	;; [unrolled: 1-line block ×3, first 2 shown]
	ds_bpermute_b32 v4, v4, v11
	s_waitcnt lgkmcnt(0)
	v_add_f32_e32 v4, v11, v4
	ds_bpermute_b32 v5, v5, v4
	s_waitcnt lgkmcnt(0)
	v_add_f32_e32 v4, v4, v5
	ds_bpermute_b32 v5, v6, v4
	v_xor_b32_e32 v6, 4, v3
	s_delay_alu instid0(VALU_DEP_1) | instskip(SKIP_1) | instid1(VALU_DEP_1)
	v_cmp_gt_i32_e32 vcc_lo, 32, v6
	v_cndmask_b32_e32 v6, v3, v6, vcc_lo
	v_lshlrev_b32_e32 v6, 2, v6
	s_waitcnt lgkmcnt(0)
	v_add_f32_e32 v4, v4, v5
	ds_bpermute_b32 v5, v6, v4
	v_xor_b32_e32 v6, 2, v3
	s_delay_alu instid0(VALU_DEP_1) | instskip(SKIP_1) | instid1(VALU_DEP_1)
	v_cmp_gt_i32_e32 vcc_lo, 32, v6
	v_cndmask_b32_e32 v6, v3, v6, vcc_lo
	v_lshlrev_b32_e32 v6, 2, v6
	s_waitcnt lgkmcnt(0)
	v_add_f32_e32 v4, v4, v5
	ds_bpermute_b32 v5, v6, v4
	v_xor_b32_e32 v6, 1, v3
	s_delay_alu instid0(VALU_DEP_1) | instskip(SKIP_3) | instid1(VALU_DEP_2)
	v_cmp_gt_i32_e32 vcc_lo, 32, v6
	v_cndmask_b32_e32 v6, v3, v6, vcc_lo
	v_cmp_eq_u32_e32 vcc_lo, 63, v0
	s_waitcnt lgkmcnt(0)
	v_dual_add_f32 v3, v4, v5 :: v_dual_lshlrev_b32 v4, 2, v6
	ds_bpermute_b32 v4, v4, v3
	s_and_b32 exec_lo, exec_lo, vcc_lo
	s_cbranch_execz .LBB149_14
; %bb.11:
	v_cmp_eq_f32_e64 s0, s2, 0
	v_lshlrev_b64 v[0:1], 2, v[1:2]
	s_waitcnt lgkmcnt(0)
	v_add_f32_e32 v3, v3, v4
	s_delay_alu instid0(VALU_DEP_3)
	s_and_b32 vcc_lo, exec_lo, s0
	s_cbranch_vccnz .LBB149_13
; %bb.12:
	s_delay_alu instid0(VALU_DEP_2)
	v_add_co_u32 v4, vcc_lo, s8, v0
	v_add_co_ci_u32_e32 v5, vcc_lo, s9, v1, vcc_lo
	global_load_b32 v2, v[4:5], off
	s_waitcnt vmcnt(0)
	v_fmac_f32_e32 v3, s2, v2
.LBB149_13:
	s_delay_alu instid0(VALU_DEP_2)
	v_add_co_u32 v0, vcc_lo, s8, v0
	v_add_co_ci_u32_e32 v1, vcc_lo, s9, v1, vcc_lo
	global_store_b32 v[0:1], v3, off
.LBB149_14:
	s_nop 0
	s_sendmsg sendmsg(MSG_DEALLOC_VGPRS)
	s_endpgm
	.section	.rodata,"a",@progbits
	.p2align	6, 0x0
	.amdhsa_kernel _ZN9rocsparseL41csrmvn_lrb_medium_rows_warp_reduce_kernelILj256ELj64Ell18rocsparse_bfloat16S1_ffEEvbT1_lPT2_S4_jNS_24const_host_device_scalarIT6_EEPKS2_PKS3_PKT3_PKT4_S7_PT5_21rocsparse_index_base_b
		.amdhsa_group_segment_fixed_size 0
		.amdhsa_private_segment_fixed_size 0
		.amdhsa_kernarg_size 112
		.amdhsa_user_sgpr_count 15
		.amdhsa_user_sgpr_dispatch_ptr 0
		.amdhsa_user_sgpr_queue_ptr 0
		.amdhsa_user_sgpr_kernarg_segment_ptr 1
		.amdhsa_user_sgpr_dispatch_id 0
		.amdhsa_user_sgpr_private_segment_size 0
		.amdhsa_wavefront_size32 1
		.amdhsa_uses_dynamic_stack 0
		.amdhsa_enable_private_segment 0
		.amdhsa_system_sgpr_workgroup_id_x 1
		.amdhsa_system_sgpr_workgroup_id_y 0
		.amdhsa_system_sgpr_workgroup_id_z 0
		.amdhsa_system_sgpr_workgroup_info 0
		.amdhsa_system_vgpr_workitem_id 0
		.amdhsa_next_free_vgpr 15
		.amdhsa_next_free_sgpr 20
		.amdhsa_reserve_vcc 1
		.amdhsa_float_round_mode_32 0
		.amdhsa_float_round_mode_16_64 0
		.amdhsa_float_denorm_mode_32 3
		.amdhsa_float_denorm_mode_16_64 3
		.amdhsa_dx10_clamp 1
		.amdhsa_ieee_mode 1
		.amdhsa_fp16_overflow 0
		.amdhsa_workgroup_processor_mode 1
		.amdhsa_memory_ordered 1
		.amdhsa_forward_progress 0
		.amdhsa_shared_vgpr_count 0
		.amdhsa_exception_fp_ieee_invalid_op 0
		.amdhsa_exception_fp_denorm_src 0
		.amdhsa_exception_fp_ieee_div_zero 0
		.amdhsa_exception_fp_ieee_overflow 0
		.amdhsa_exception_fp_ieee_underflow 0
		.amdhsa_exception_fp_ieee_inexact 0
		.amdhsa_exception_int_div_zero 0
	.end_amdhsa_kernel
	.section	.text._ZN9rocsparseL41csrmvn_lrb_medium_rows_warp_reduce_kernelILj256ELj64Ell18rocsparse_bfloat16S1_ffEEvbT1_lPT2_S4_jNS_24const_host_device_scalarIT6_EEPKS2_PKS3_PKT3_PKT4_S7_PT5_21rocsparse_index_base_b,"axG",@progbits,_ZN9rocsparseL41csrmvn_lrb_medium_rows_warp_reduce_kernelILj256ELj64Ell18rocsparse_bfloat16S1_ffEEvbT1_lPT2_S4_jNS_24const_host_device_scalarIT6_EEPKS2_PKS3_PKT3_PKT4_S7_PT5_21rocsparse_index_base_b,comdat
.Lfunc_end149:
	.size	_ZN9rocsparseL41csrmvn_lrb_medium_rows_warp_reduce_kernelILj256ELj64Ell18rocsparse_bfloat16S1_ffEEvbT1_lPT2_S4_jNS_24const_host_device_scalarIT6_EEPKS2_PKS3_PKT3_PKT4_S7_PT5_21rocsparse_index_base_b, .Lfunc_end149-_ZN9rocsparseL41csrmvn_lrb_medium_rows_warp_reduce_kernelILj256ELj64Ell18rocsparse_bfloat16S1_ffEEvbT1_lPT2_S4_jNS_24const_host_device_scalarIT6_EEPKS2_PKS3_PKT3_PKT4_S7_PT5_21rocsparse_index_base_b
                                        ; -- End function
	.section	.AMDGPU.csdata,"",@progbits
; Kernel info:
; codeLenInByte = 976
; NumSgprs: 22
; NumVgprs: 15
; ScratchSize: 0
; MemoryBound: 0
; FloatMode: 240
; IeeeMode: 1
; LDSByteSize: 0 bytes/workgroup (compile time only)
; SGPRBlocks: 2
; VGPRBlocks: 1
; NumSGPRsForWavesPerEU: 22
; NumVGPRsForWavesPerEU: 15
; Occupancy: 16
; WaveLimiterHint : 1
; COMPUTE_PGM_RSRC2:SCRATCH_EN: 0
; COMPUTE_PGM_RSRC2:USER_SGPR: 15
; COMPUTE_PGM_RSRC2:TRAP_HANDLER: 0
; COMPUTE_PGM_RSRC2:TGID_X_EN: 1
; COMPUTE_PGM_RSRC2:TGID_Y_EN: 0
; COMPUTE_PGM_RSRC2:TGID_Z_EN: 0
; COMPUTE_PGM_RSRC2:TIDIG_COMP_CNT: 0
	.section	.text._ZN9rocsparseL29csrmvn_lrb_medium_rows_kernelILj256Ell18rocsparse_bfloat16S1_ffEEvbT0_PT1_S4_jNS_24const_host_device_scalarIT5_EEPKS2_PKS3_PKT2_PKT3_S7_PT4_21rocsparse_index_base_b,"axG",@progbits,_ZN9rocsparseL29csrmvn_lrb_medium_rows_kernelILj256Ell18rocsparse_bfloat16S1_ffEEvbT0_PT1_S4_jNS_24const_host_device_scalarIT5_EEPKS2_PKS3_PKT2_PKT3_S7_PT4_21rocsparse_index_base_b,comdat
	.globl	_ZN9rocsparseL29csrmvn_lrb_medium_rows_kernelILj256Ell18rocsparse_bfloat16S1_ffEEvbT0_PT1_S4_jNS_24const_host_device_scalarIT5_EEPKS2_PKS3_PKT2_PKT3_S7_PT4_21rocsparse_index_base_b ; -- Begin function _ZN9rocsparseL29csrmvn_lrb_medium_rows_kernelILj256Ell18rocsparse_bfloat16S1_ffEEvbT0_PT1_S4_jNS_24const_host_device_scalarIT5_EEPKS2_PKS3_PKT2_PKT3_S7_PT4_21rocsparse_index_base_b
	.p2align	8
	.type	_ZN9rocsparseL29csrmvn_lrb_medium_rows_kernelILj256Ell18rocsparse_bfloat16S1_ffEEvbT0_PT1_S4_jNS_24const_host_device_scalarIT5_EEPKS2_PKS3_PKT2_PKT3_S7_PT4_21rocsparse_index_base_b,@function
_ZN9rocsparseL29csrmvn_lrb_medium_rows_kernelILj256Ell18rocsparse_bfloat16S1_ffEEvbT0_PT1_S4_jNS_24const_host_device_scalarIT5_EEPKS2_PKS3_PKT2_PKT3_S7_PT4_21rocsparse_index_base_b: ; @_ZN9rocsparseL29csrmvn_lrb_medium_rows_kernelILj256Ell18rocsparse_bfloat16S1_ffEEvbT0_PT1_S4_jNS_24const_host_device_scalarIT5_EEPKS2_PKS3_PKT2_PKT3_S7_PT4_21rocsparse_index_base_b
; %bb.0:
	s_clause 0x2
	s_load_b64 s[8:9], s[0:1], 0x60
	s_load_b64 s[10:11], s[0:1], 0x28
	;; [unrolled: 1-line block ×3, first 2 shown]
	s_mov_b32 s4, s15
	s_waitcnt lgkmcnt(0)
	s_bitcmp1_b32 s9, 0
	s_cselect_b32 s5, -1, 0
	s_delay_alu instid0(SALU_CYCLE_1)
	s_and_b32 vcc_lo, exec_lo, s5
	s_xor_b32 s5, s5, -1
	s_cbranch_vccnz .LBB150_2
; %bb.1:
	s_load_b32 s10, s[10:11], 0x0
.LBB150_2:
	s_and_not1_b32 vcc_lo, exec_lo, s5
	s_cbranch_vccnz .LBB150_4
; %bb.3:
	s_load_b32 s2, s[2:3], 0x0
.LBB150_4:
	s_waitcnt lgkmcnt(0)
	v_cmp_neq_f32_e64 s3, s10, 0
	v_cmp_neq_f32_e64 s5, s2, 1.0
	s_mov_b32 s7, 0
	s_delay_alu instid0(VALU_DEP_1) | instskip(NEXT) | instid1(SALU_CYCLE_1)
	s_or_b32 s3, s3, s5
	s_and_not1_b32 vcc_lo, exec_lo, s3
	s_cbranch_vccnz .LBB150_29
; %bb.5:
	s_clause 0x1
	s_load_b32 s6, s[0:1], 0x20
	s_load_b128 s[12:15], s[0:1], 0x10
	v_mov_b32_e32 v7, 0
	s_waitcnt lgkmcnt(0)
	s_lshl_b64 s[6:7], s[6:7], 3
	s_delay_alu instid0(SALU_CYCLE_1)
	s_add_u32 s6, s14, s6
	s_addc_u32 s7, s15, s7
	s_ashr_i32 s5, s4, 31
	s_load_b64 s[6:7], s[6:7], 0x0
	s_waitcnt lgkmcnt(0)
	s_lshl_b64 s[6:7], s[6:7], 3
	s_delay_alu instid0(SALU_CYCLE_1) | instskip(SKIP_2) | instid1(SALU_CYCLE_1)
	s_add_u32 s3, s12, s6
	s_addc_u32 s6, s13, s7
	s_lshl_b64 s[4:5], s[4:5], 3
	s_add_u32 s4, s3, s4
	s_addc_u32 s5, s6, s5
	s_load_b64 s[4:5], s[4:5], 0x0
	s_load_b64 s[6:7], s[0:1], 0x30
	v_sub_co_u32 v1, s3, v0, s8
	s_delay_alu instid0(VALU_DEP_1) | instskip(SKIP_3) | instid1(SALU_CYCLE_1)
	v_sub_co_ci_u32_e64 v2, null, 0, 0, s3
	s_mov_b32 s3, exec_lo
	s_waitcnt lgkmcnt(0)
	s_lshl_b64 s[12:13], s[4:5], 3
	s_add_u32 s6, s6, s12
	s_addc_u32 s7, s7, s13
	s_load_b128 s[12:15], s[6:7], 0x0
	s_load_b64 s[6:7], s[0:1], 0x58
	s_waitcnt lgkmcnt(0)
	v_add_co_u32 v1, vcc_lo, s12, v1
	v_add_co_ci_u32_e32 v2, vcc_lo, s13, v2, vcc_lo
	s_sub_u32 s12, s14, s8
	s_subb_u32 s13, s15, 0
	s_delay_alu instid0(VALU_DEP_1) | instid1(SALU_CYCLE_1)
	v_cmpx_gt_i64_e64 s[12:13], v[1:2]
	s_cbranch_execz .LBB150_9
; %bb.6:
	s_clause 0x1
	s_load_b128 s[16:19], s[0:1], 0x38
	s_load_b64 s[14:15], s[0:1], 0x48
	v_lshlrev_b64 v[3:4], 1, v[1:2]
	v_lshlrev_b64 v[5:6], 3, v[1:2]
	v_mov_b32_e32 v7, 0
	s_mov_b32 s1, 0
	s_waitcnt lgkmcnt(0)
	s_delay_alu instid0(VALU_DEP_3)
	v_add_co_u32 v3, vcc_lo, s18, v3
	v_add_co_ci_u32_e32 v4, vcc_lo, s19, v4, vcc_lo
	v_add_co_u32 v5, vcc_lo, s16, v5
	v_add_co_ci_u32_e32 v6, vcc_lo, s17, v6, vcc_lo
	s_set_inst_prefetch_distance 0x1
	.p2align	6
.LBB150_7:                              ; =>This Inner Loop Header: Depth=1
	global_load_b64 v[8:9], v[5:6], off
	global_load_u16 v10, v[3:4], off
	v_add_co_u32 v5, s0, 0x800, v5
	s_delay_alu instid0(VALU_DEP_1) | instskip(SKIP_3) | instid1(VALU_DEP_1)
	v_add_co_ci_u32_e64 v6, s0, 0, v6, s0
	s_waitcnt vmcnt(1)
	v_sub_co_u32 v8, vcc_lo, v8, s8
	v_subrev_co_ci_u32_e32 v9, vcc_lo, 0, v9, vcc_lo
	v_lshlrev_b64 v[8:9], 1, v[8:9]
	s_delay_alu instid0(VALU_DEP_1) | instskip(NEXT) | instid1(VALU_DEP_2)
	v_add_co_u32 v8, vcc_lo, s14, v8
	v_add_co_ci_u32_e32 v9, vcc_lo, s15, v9, vcc_lo
	v_add_co_u32 v1, vcc_lo, 0x100, v1
	v_add_co_ci_u32_e32 v2, vcc_lo, 0, v2, vcc_lo
	global_load_u16 v8, v[8:9], off
	s_waitcnt vmcnt(1)
	v_lshlrev_b32_e32 v9, 16, v10
	v_add_co_u32 v3, vcc_lo, 0x200, v3
	v_add_co_ci_u32_e32 v4, vcc_lo, 0, v4, vcc_lo
	s_delay_alu instid0(VALU_DEP_3) | instskip(SKIP_4) | instid1(VALU_DEP_1)
	v_mul_f32_e32 v9, s10, v9
	v_cmp_le_i64_e32 vcc_lo, s[12:13], v[1:2]
	s_or_b32 s1, vcc_lo, s1
	s_waitcnt vmcnt(0)
	v_lshlrev_b32_e32 v8, 16, v8
	v_fmac_f32_e32 v7, v9, v8
	s_and_not1_b32 exec_lo, exec_lo, s1
	s_cbranch_execnz .LBB150_7
; %bb.8:
	s_set_inst_prefetch_distance 0x2
	s_or_b32 exec_lo, exec_lo, s1
.LBB150_9:
	s_delay_alu instid0(SALU_CYCLE_1)
	s_or_b32 exec_lo, exec_lo, s3
	v_lshlrev_b32_e32 v1, 2, v0
	s_mov_b32 s0, exec_lo
	ds_store_b32 v1, v7
	s_waitcnt lgkmcnt(0)
	s_barrier
	buffer_gl0_inv
	v_cmpx_gt_u32_e32 0x80, v0
	s_cbranch_execz .LBB150_11
; %bb.10:
	ds_load_2addr_stride64_b32 v[2:3], v1 offset1:2
	s_waitcnt lgkmcnt(0)
	v_add_f32_e32 v2, v2, v3
	ds_store_b32 v1, v2
.LBB150_11:
	s_or_b32 exec_lo, exec_lo, s0
	s_delay_alu instid0(SALU_CYCLE_1)
	s_mov_b32 s0, exec_lo
	s_waitcnt lgkmcnt(0)
	s_barrier
	buffer_gl0_inv
	v_cmpx_gt_u32_e32 64, v0
	s_cbranch_execz .LBB150_13
; %bb.12:
	ds_load_2addr_stride64_b32 v[2:3], v1 offset1:1
	s_waitcnt lgkmcnt(0)
	v_add_f32_e32 v2, v2, v3
	ds_store_b32 v1, v2
.LBB150_13:
	s_or_b32 exec_lo, exec_lo, s0
	s_delay_alu instid0(SALU_CYCLE_1)
	s_mov_b32 s0, exec_lo
	s_waitcnt lgkmcnt(0)
	s_barrier
	buffer_gl0_inv
	v_cmpx_gt_u32_e32 32, v0
	s_cbranch_execz .LBB150_15
; %bb.14:
	ds_load_2addr_b32 v[2:3], v1 offset1:32
	s_waitcnt lgkmcnt(0)
	v_add_f32_e32 v2, v2, v3
	ds_store_b32 v1, v2
.LBB150_15:
	s_or_b32 exec_lo, exec_lo, s0
	s_delay_alu instid0(SALU_CYCLE_1)
	s_mov_b32 s0, exec_lo
	s_waitcnt lgkmcnt(0)
	s_barrier
	buffer_gl0_inv
	v_cmpx_gt_u32_e32 16, v0
	s_cbranch_execz .LBB150_17
; %bb.16:
	ds_load_2addr_b32 v[2:3], v1 offset1:16
	s_waitcnt lgkmcnt(0)
	v_add_f32_e32 v2, v2, v3
	ds_store_b32 v1, v2
.LBB150_17:
	;; [unrolled: 14-line block ×5, first 2 shown]
	s_or_b32 exec_lo, exec_lo, s0
	v_cmp_eq_u32_e32 vcc_lo, 0, v0
	s_waitcnt lgkmcnt(0)
	s_barrier
	buffer_gl0_inv
	s_and_saveexec_b32 s0, vcc_lo
	s_cbranch_execz .LBB150_25
; %bb.24:
	v_mov_b32_e32 v2, 0
	ds_load_b64 v[0:1], v2
	s_waitcnt lgkmcnt(0)
	v_add_f32_e32 v0, v0, v1
	ds_store_b32 v2, v0
.LBB150_25:
	s_or_b32 exec_lo, exec_lo, s0
	s_waitcnt lgkmcnt(0)
	s_barrier
	buffer_gl0_inv
	s_and_saveexec_b32 s0, vcc_lo
	s_cbranch_execz .LBB150_29
; %bb.26:
	v_mov_b32_e32 v0, 0
	v_cmp_eq_f32_e64 s0, s2, 0
	ds_load_b32 v1, v0
	s_and_b32 vcc_lo, exec_lo, s0
	s_cbranch_vccnz .LBB150_28
; %bb.27:
	s_lshl_b64 s[0:1], s[4:5], 2
	s_delay_alu instid0(SALU_CYCLE_1)
	s_add_u32 s0, s6, s0
	s_addc_u32 s1, s7, s1
	s_load_b32 s0, s[0:1], 0x0
	s_waitcnt lgkmcnt(0)
	v_fmac_f32_e64 v1, s2, s0
.LBB150_28:
	s_lshl_b64 s[0:1], s[4:5], 2
	s_delay_alu instid0(SALU_CYCLE_1)
	s_add_u32 s0, s6, s0
	s_addc_u32 s1, s7, s1
	s_waitcnt lgkmcnt(0)
	global_store_b32 v0, v1, s[0:1]
.LBB150_29:
	s_nop 0
	s_sendmsg sendmsg(MSG_DEALLOC_VGPRS)
	s_endpgm
	.section	.rodata,"a",@progbits
	.p2align	6, 0x0
	.amdhsa_kernel _ZN9rocsparseL29csrmvn_lrb_medium_rows_kernelILj256Ell18rocsparse_bfloat16S1_ffEEvbT0_PT1_S4_jNS_24const_host_device_scalarIT5_EEPKS2_PKS3_PKT2_PKT3_S7_PT4_21rocsparse_index_base_b
		.amdhsa_group_segment_fixed_size 1024
		.amdhsa_private_segment_fixed_size 0
		.amdhsa_kernarg_size 104
		.amdhsa_user_sgpr_count 15
		.amdhsa_user_sgpr_dispatch_ptr 0
		.amdhsa_user_sgpr_queue_ptr 0
		.amdhsa_user_sgpr_kernarg_segment_ptr 1
		.amdhsa_user_sgpr_dispatch_id 0
		.amdhsa_user_sgpr_private_segment_size 0
		.amdhsa_wavefront_size32 1
		.amdhsa_uses_dynamic_stack 0
		.amdhsa_enable_private_segment 0
		.amdhsa_system_sgpr_workgroup_id_x 1
		.amdhsa_system_sgpr_workgroup_id_y 0
		.amdhsa_system_sgpr_workgroup_id_z 0
		.amdhsa_system_sgpr_workgroup_info 0
		.amdhsa_system_vgpr_workitem_id 0
		.amdhsa_next_free_vgpr 11
		.amdhsa_next_free_sgpr 20
		.amdhsa_reserve_vcc 1
		.amdhsa_float_round_mode_32 0
		.amdhsa_float_round_mode_16_64 0
		.amdhsa_float_denorm_mode_32 3
		.amdhsa_float_denorm_mode_16_64 3
		.amdhsa_dx10_clamp 1
		.amdhsa_ieee_mode 1
		.amdhsa_fp16_overflow 0
		.amdhsa_workgroup_processor_mode 1
		.amdhsa_memory_ordered 1
		.amdhsa_forward_progress 0
		.amdhsa_shared_vgpr_count 0
		.amdhsa_exception_fp_ieee_invalid_op 0
		.amdhsa_exception_fp_denorm_src 0
		.amdhsa_exception_fp_ieee_div_zero 0
		.amdhsa_exception_fp_ieee_overflow 0
		.amdhsa_exception_fp_ieee_underflow 0
		.amdhsa_exception_fp_ieee_inexact 0
		.amdhsa_exception_int_div_zero 0
	.end_amdhsa_kernel
	.section	.text._ZN9rocsparseL29csrmvn_lrb_medium_rows_kernelILj256Ell18rocsparse_bfloat16S1_ffEEvbT0_PT1_S4_jNS_24const_host_device_scalarIT5_EEPKS2_PKS3_PKT2_PKT3_S7_PT4_21rocsparse_index_base_b,"axG",@progbits,_ZN9rocsparseL29csrmvn_lrb_medium_rows_kernelILj256Ell18rocsparse_bfloat16S1_ffEEvbT0_PT1_S4_jNS_24const_host_device_scalarIT5_EEPKS2_PKS3_PKT2_PKT3_S7_PT4_21rocsparse_index_base_b,comdat
.Lfunc_end150:
	.size	_ZN9rocsparseL29csrmvn_lrb_medium_rows_kernelILj256Ell18rocsparse_bfloat16S1_ffEEvbT0_PT1_S4_jNS_24const_host_device_scalarIT5_EEPKS2_PKS3_PKT2_PKT3_S7_PT4_21rocsparse_index_base_b, .Lfunc_end150-_ZN9rocsparseL29csrmvn_lrb_medium_rows_kernelILj256Ell18rocsparse_bfloat16S1_ffEEvbT0_PT1_S4_jNS_24const_host_device_scalarIT5_EEPKS2_PKS3_PKT2_PKT3_S7_PT4_21rocsparse_index_base_b
                                        ; -- End function
	.section	.AMDGPU.csdata,"",@progbits
; Kernel info:
; codeLenInByte = 1204
; NumSgprs: 22
; NumVgprs: 11
; ScratchSize: 0
; MemoryBound: 0
; FloatMode: 240
; IeeeMode: 1
; LDSByteSize: 1024 bytes/workgroup (compile time only)
; SGPRBlocks: 2
; VGPRBlocks: 1
; NumSGPRsForWavesPerEU: 22
; NumVGPRsForWavesPerEU: 11
; Occupancy: 16
; WaveLimiterHint : 1
; COMPUTE_PGM_RSRC2:SCRATCH_EN: 0
; COMPUTE_PGM_RSRC2:USER_SGPR: 15
; COMPUTE_PGM_RSRC2:TRAP_HANDLER: 0
; COMPUTE_PGM_RSRC2:TGID_X_EN: 1
; COMPUTE_PGM_RSRC2:TGID_Y_EN: 0
; COMPUTE_PGM_RSRC2:TGID_Z_EN: 0
; COMPUTE_PGM_RSRC2:TIDIG_COMP_CNT: 0
	.section	.text._ZN9rocsparseL27csrmvn_lrb_long_rows_kernelIll18rocsparse_bfloat16S1_ffEEvbT_PjPT0_S5_jNS_24const_host_device_scalarIT4_EEPKS2_PKS4_PKT1_PKT2_S8_PT3_21rocsparse_index_base_b,"axG",@progbits,_ZN9rocsparseL27csrmvn_lrb_long_rows_kernelIll18rocsparse_bfloat16S1_ffEEvbT_PjPT0_S5_jNS_24const_host_device_scalarIT4_EEPKS2_PKS4_PKT1_PKT2_S8_PT3_21rocsparse_index_base_b,comdat
	.globl	_ZN9rocsparseL27csrmvn_lrb_long_rows_kernelIll18rocsparse_bfloat16S1_ffEEvbT_PjPT0_S5_jNS_24const_host_device_scalarIT4_EEPKS2_PKS4_PKT1_PKT2_S8_PT3_21rocsparse_index_base_b ; -- Begin function _ZN9rocsparseL27csrmvn_lrb_long_rows_kernelIll18rocsparse_bfloat16S1_ffEEvbT_PjPT0_S5_jNS_24const_host_device_scalarIT4_EEPKS2_PKS4_PKT1_PKT2_S8_PT3_21rocsparse_index_base_b
	.p2align	8
	.type	_ZN9rocsparseL27csrmvn_lrb_long_rows_kernelIll18rocsparse_bfloat16S1_ffEEvbT_PjPT0_S5_jNS_24const_host_device_scalarIT4_EEPKS2_PKS4_PKT1_PKT2_S8_PT3_21rocsparse_index_base_b,@function
_ZN9rocsparseL27csrmvn_lrb_long_rows_kernelIll18rocsparse_bfloat16S1_ffEEvbT_PjPT0_S5_jNS_24const_host_device_scalarIT4_EEPKS2_PKS4_PKT1_PKT2_S8_PT3_21rocsparse_index_base_b: ; @_ZN9rocsparseL27csrmvn_lrb_long_rows_kernelIll18rocsparse_bfloat16S1_ffEEvbT_PjPT0_S5_jNS_24const_host_device_scalarIT4_EEPKS2_PKS4_PKT1_PKT2_S8_PT3_21rocsparse_index_base_b
; %bb.0:
	s_clause 0x2
	s_load_b64 s[16:17], s[0:1], 0x68
	s_load_b64 s[18:19], s[0:1], 0x30
	s_load_b64 s[20:21], s[0:1], 0x58
	s_mov_b32 s8, s15
	s_waitcnt lgkmcnt(0)
	s_bitcmp1_b32 s17, 0
	s_cselect_b32 s2, -1, 0
	s_delay_alu instid0(SALU_CYCLE_1)
	s_and_b32 vcc_lo, exec_lo, s2
	s_xor_b32 s2, s2, -1
	s_cbranch_vccnz .LBB151_2
; %bb.1:
	s_load_b32 s18, s[18:19], 0x0
.LBB151_2:
	s_and_not1_b32 vcc_lo, exec_lo, s2
	s_cbranch_vccnz .LBB151_4
; %bb.3:
	s_load_b32 s20, s[20:21], 0x0
.LBB151_4:
	s_waitcnt lgkmcnt(0)
	v_cmp_neq_f32_e64 s2, s18, 0
	v_cmp_neq_f32_e64 s3, s20, 1.0
	s_delay_alu instid0(VALU_DEP_1)
	s_or_b32 s2, s2, s3
	s_mov_b32 s3, 0
	s_and_not1_b32 vcc_lo, exec_lo, s2
	s_cbranch_vccnz .LBB151_39
; %bb.5:
	s_clause 0x1
	s_load_b32 s2, s[0:1], 0x28
	s_load_b64 s[4:5], s[0:1], 0x20
	v_mov_b32_e32 v7, 0
	s_mov_b32 s21, exec_lo
	s_waitcnt lgkmcnt(0)
	s_lshl_b64 s[6:7], s[2:3], 3
	s_delay_alu instid0(SALU_CYCLE_1) | instskip(SKIP_4) | instid1(SALU_CYCLE_1)
	s_add_u32 s4, s4, s6
	s_addc_u32 s5, s5, s7
	s_lshl_b32 s2, -1, s2
	s_load_b64 s[10:11], s[4:5], 0x0
	s_not_b32 s2, s2
	s_mul_hi_u32 s2, s2, 0x2aaaaaab
	s_delay_alu instid0(SALU_CYCLE_1) | instskip(NEXT) | instid1(SALU_CYCLE_1)
	s_lshr_b32 s2, s2, 7
	s_add_i32 s9, s2, 1
	s_not_b32 s2, s2
	v_cvt_f32_u32_e32 v1, s9
	s_delay_alu instid0(VALU_DEP_1) | instskip(SKIP_2) | instid1(VALU_DEP_1)
	v_rcp_iflag_f32_e32 v1, v1
	s_waitcnt_depctr 0xfff
	v_mul_f32_e32 v1, 0x4f7ffffe, v1
	v_cvt_u32_f32_e32 v1, v1
	s_delay_alu instid0(VALU_DEP_1) | instskip(NEXT) | instid1(VALU_DEP_1)
	v_readfirstlane_b32 s6, v1
	s_mul_i32 s2, s2, s6
	s_delay_alu instid0(SALU_CYCLE_1) | instskip(NEXT) | instid1(SALU_CYCLE_1)
	s_mul_hi_u32 s2, s6, s2
	s_add_i32 s2, s6, s2
	s_load_b128 s[4:7], s[0:1], 0x10
	s_mul_hi_u32 s2, s8, s2
	s_delay_alu instid0(SALU_CYCLE_1) | instskip(SKIP_2) | instid1(SALU_CYCLE_1)
	s_mul_i32 s12, s2, s9
	s_add_i32 s13, s2, 1
	s_sub_i32 s12, s8, s12
	s_sub_i32 s14, s12, s9
	s_cmp_ge_u32 s12, s9
	s_cselect_b32 s2, s13, s2
	s_cselect_b32 s12, s14, s12
	s_add_i32 s13, s2, 1
	s_cmp_ge_u32 s12, s9
	s_cselect_b32 s2, s13, s2
	s_waitcnt lgkmcnt(0)
	s_lshl_b64 s[10:11], s[10:11], 3
	s_mul_i32 s9, s2, s9
	s_delay_alu instid0(SALU_CYCLE_1)
	s_sub_i32 s19, s8, s9
	s_add_u32 s6, s6, s10
	s_addc_u32 s7, s7, s11
	s_lshl_b64 s[2:3], s[2:3], 3
	v_or_b32_e32 v1, s19, v0
	s_add_u32 s2, s6, s2
	s_addc_u32 s3, s7, s3
	s_load_b64 s[2:3], s[2:3], 0x0
	s_load_b64 s[6:7], s[0:1], 0x38
	s_waitcnt lgkmcnt(0)
	s_lshl_b64 s[10:11], s[2:3], 3
	s_delay_alu instid0(SALU_CYCLE_1)
	s_add_u32 s10, s6, s10
	s_addc_u32 s11, s7, s11
	s_ashr_i32 s9, s8, 31
	s_sub_u32 s14, s8, s19
	s_subb_u32 s15, s9, 0
	s_lshl_b64 s[8:9], s[8:9], 2
	s_load_b64 s[6:7], s[0:1], 0x60
	s_add_u32 s12, s4, s8
	s_addc_u32 s13, s5, s9
	s_load_b128 s[8:11], s[10:11], 0x0
	s_load_b32 s17, s[12:13], 0x0
	v_cmpx_eq_u32_e32 0, v1
	s_cbranch_execz .LBB151_9
; %bb.6:
	s_lshl_b64 s[24:25], s[2:3], 2
	s_mov_b32 s23, exec_lo
	s_waitcnt lgkmcnt(0)
	s_add_u32 s24, s6, s24
	s_addc_u32 s25, s7, s25
	v_mbcnt_lo_u32_b32 v2, s23, 0
	s_load_b32 s22, s[24:25], 0x0
	v_add_f32_e64 v1, s20, -1.0
	s_mov_b32 s20, exec_lo
	s_waitcnt vmcnt(0) expcnt(0) lgkmcnt(0)
	v_cmpx_eq_u32_e32 0, v2
	s_cbranch_execz .LBB151_8
; %bb.7:
	s_lshl_b64 s[24:25], s[14:15], 2
	s_delay_alu instid0(SALU_CYCLE_1) | instskip(SKIP_2) | instid1(SALU_CYCLE_1)
	s_add_u32 s24, s4, s24
	s_addc_u32 s25, s5, s25
	s_bcnt1_i32_b32 s23, s23
	s_and_b32 s23, s23, 1
	s_delay_alu instid0(SALU_CYCLE_1)
	v_dual_mov_b32 v2, 0 :: v_dual_mov_b32 v3, s23
	global_atomic_xor_b32 v2, v3, s[24:25]
.LBB151_8:
	s_or_b32 exec_lo, exec_lo, s20
	v_mul_f32_e32 v7, s22, v1
.LBB151_9:
	s_or_b32 exec_lo, exec_lo, s21
	s_mul_i32 s21, s19, 0x300
	s_waitcnt lgkmcnt(0)
	s_sub_u32 s8, s8, s16
	s_mul_hi_u32 s20, s19, 0x300
	s_subb_u32 s9, s9, 0
	s_add_u32 s21, s8, s21
	s_addc_u32 s20, s9, s20
	s_sub_u32 s8, s10, s16
	s_subb_u32 s9, s11, 0
	s_add_u32 s10, s21, 0x300
	s_addc_u32 s11, s20, 0
	v_add_co_u32 v1, s21, s21, v0
	v_cmp_lt_i64_e64 s22, s[10:11], s[8:9]
	v_add_co_ci_u32_e64 v2, null, s20, 0, s21
	s_mov_b32 s21, 0
	s_delay_alu instid0(VALU_DEP_2)
	s_and_b32 s20, s22, exec_lo
	s_cselect_b32 s9, s11, s9
	s_cselect_b32 s8, s10, s8
	s_mov_b32 s20, exec_lo
	v_cmpx_gt_i64_e64 s[8:9], v[1:2]
	s_cbranch_execz .LBB151_13
; %bb.10:
	s_clause 0x1
	s_load_b128 s[24:27], s[0:1], 0x40
	s_load_b64 s[10:11], s[0:1], 0x50
	v_lshlrev_b64 v[3:4], 1, v[1:2]
	v_lshlrev_b64 v[5:6], 3, v[1:2]
	s_waitcnt lgkmcnt(0)
	s_delay_alu instid0(VALU_DEP_2) | instskip(NEXT) | instid1(VALU_DEP_3)
	v_add_co_u32 v3, vcc_lo, s26, v3
	v_add_co_ci_u32_e32 v4, vcc_lo, s27, v4, vcc_lo
	s_delay_alu instid0(VALU_DEP_3) | instskip(NEXT) | instid1(VALU_DEP_4)
	v_add_co_u32 v5, vcc_lo, s24, v5
	v_add_co_ci_u32_e32 v6, vcc_lo, s25, v6, vcc_lo
	s_set_inst_prefetch_distance 0x1
	.p2align	6
.LBB151_11:                             ; =>This Inner Loop Header: Depth=1
	global_load_b64 v[8:9], v[5:6], off
	global_load_u16 v10, v[3:4], off
	v_add_co_u32 v5, s0, 0x800, v5
	s_delay_alu instid0(VALU_DEP_1) | instskip(SKIP_3) | instid1(VALU_DEP_1)
	v_add_co_ci_u32_e64 v6, s0, 0, v6, s0
	s_waitcnt vmcnt(1)
	v_sub_co_u32 v8, vcc_lo, v8, s16
	v_subrev_co_ci_u32_e32 v9, vcc_lo, 0, v9, vcc_lo
	v_lshlrev_b64 v[8:9], 1, v[8:9]
	s_delay_alu instid0(VALU_DEP_1) | instskip(NEXT) | instid1(VALU_DEP_2)
	v_add_co_u32 v8, vcc_lo, s10, v8
	v_add_co_ci_u32_e32 v9, vcc_lo, s11, v9, vcc_lo
	v_add_co_u32 v1, vcc_lo, 0x100, v1
	v_add_co_ci_u32_e32 v2, vcc_lo, 0, v2, vcc_lo
	global_load_u16 v8, v[8:9], off
	s_waitcnt vmcnt(1)
	v_lshlrev_b32_e32 v9, 16, v10
	v_add_co_u32 v3, vcc_lo, 0x200, v3
	v_add_co_ci_u32_e32 v4, vcc_lo, 0, v4, vcc_lo
	s_delay_alu instid0(VALU_DEP_3) | instskip(SKIP_4) | instid1(VALU_DEP_1)
	v_mul_f32_e32 v9, s18, v9
	v_cmp_le_i64_e32 vcc_lo, s[8:9], v[1:2]
	s_or_b32 s21, vcc_lo, s21
	s_waitcnt vmcnt(0)
	v_lshlrev_b32_e32 v8, 16, v8
	v_fmac_f32_e32 v7, v9, v8
	s_and_not1_b32 exec_lo, exec_lo, s21
	s_cbranch_execnz .LBB151_11
; %bb.12:
	s_set_inst_prefetch_distance 0x2
	s_or_b32 exec_lo, exec_lo, s21
.LBB151_13:
	s_delay_alu instid0(SALU_CYCLE_1)
	s_or_b32 exec_lo, exec_lo, s20
	v_lshlrev_b32_e32 v1, 2, v0
	s_mov_b32 s0, exec_lo
	ds_store_b32 v1, v7
	s_waitcnt lgkmcnt(0)
	s_waitcnt_vscnt null, 0x0
	s_barrier
	buffer_gl0_inv
	v_cmpx_gt_u32_e32 0x80, v0
	s_cbranch_execz .LBB151_15
; %bb.14:
	ds_load_2addr_stride64_b32 v[2:3], v1 offset1:2
	s_waitcnt lgkmcnt(0)
	v_add_f32_e32 v2, v2, v3
	ds_store_b32 v1, v2
.LBB151_15:
	s_or_b32 exec_lo, exec_lo, s0
	s_delay_alu instid0(SALU_CYCLE_1)
	s_mov_b32 s0, exec_lo
	s_waitcnt lgkmcnt(0)
	s_barrier
	buffer_gl0_inv
	v_cmpx_gt_u32_e32 64, v0
	s_cbranch_execz .LBB151_17
; %bb.16:
	ds_load_2addr_stride64_b32 v[2:3], v1 offset1:1
	s_waitcnt lgkmcnt(0)
	v_add_f32_e32 v2, v2, v3
	ds_store_b32 v1, v2
.LBB151_17:
	s_or_b32 exec_lo, exec_lo, s0
	s_delay_alu instid0(SALU_CYCLE_1)
	s_mov_b32 s0, exec_lo
	s_waitcnt lgkmcnt(0)
	s_barrier
	buffer_gl0_inv
	v_cmpx_gt_u32_e32 32, v0
	s_cbranch_execz .LBB151_19
; %bb.18:
	ds_load_2addr_b32 v[2:3], v1 offset1:32
	s_waitcnt lgkmcnt(0)
	v_add_f32_e32 v2, v2, v3
	ds_store_b32 v1, v2
.LBB151_19:
	s_or_b32 exec_lo, exec_lo, s0
	s_delay_alu instid0(SALU_CYCLE_1)
	s_mov_b32 s0, exec_lo
	s_waitcnt lgkmcnt(0)
	s_barrier
	buffer_gl0_inv
	v_cmpx_gt_u32_e32 16, v0
	s_cbranch_execz .LBB151_21
; %bb.20:
	ds_load_2addr_b32 v[2:3], v1 offset1:16
	s_waitcnt lgkmcnt(0)
	v_add_f32_e32 v2, v2, v3
	ds_store_b32 v1, v2
.LBB151_21:
	;; [unrolled: 14-line block ×5, first 2 shown]
	s_or_b32 exec_lo, exec_lo, s0
	v_cmp_eq_u32_e32 vcc_lo, 0, v0
	s_waitcnt lgkmcnt(0)
	s_barrier
	buffer_gl0_inv
	s_and_saveexec_b32 s0, vcc_lo
	s_cbranch_execz .LBB151_29
; %bb.28:
	v_mov_b32_e32 v2, 0
	ds_load_b64 v[0:1], v2
	s_waitcnt lgkmcnt(0)
	v_add_f32_e32 v0, v0, v1
	ds_store_b32 v2, v0
.LBB151_29:
	s_or_b32 exec_lo, exec_lo, s0
	s_waitcnt lgkmcnt(0)
	s_barrier
	buffer_gl0_inv
	s_and_saveexec_b32 s0, vcc_lo
	s_cbranch_execz .LBB151_39
; %bb.30:
	s_cmp_eq_u32 s19, 0
	s_cbranch_scc1 .LBB151_36
; %bb.31:
	s_lshl_b64 s[0:1], s[14:15], 2
	v_mov_b32_e32 v0, 0
	s_add_u32 s0, s4, s0
	s_addc_u32 s1, s5, s1
	s_branch .LBB151_33
.LBB151_32:                             ;   in Loop: Header=BB151_33 Depth=1
	s_or_b32 exec_lo, exec_lo, s4
	s_waitcnt vmcnt(0)
	v_readfirstlane_b32 s4, v1
	s_delay_alu instid0(VALU_DEP_1)
	s_cmp_eq_u32 s4, s17
	s_cbranch_scc0 .LBB151_35
.LBB151_33:                             ; =>This Inner Loop Header: Depth=1
	v_mbcnt_lo_u32_b32 v1, exec_lo, 0
	s_delay_alu instid0(VALU_DEP_1)
	v_cmp_eq_u32_e32 vcc_lo, 0, v1
                                        ; implicit-def: $vgpr1
	s_and_saveexec_b32 s4, vcc_lo
	s_cbranch_execz .LBB151_32
; %bb.34:                               ;   in Loop: Header=BB151_33 Depth=1
	global_load_b32 v1, v0, s[0:1] glc
	s_branch .LBB151_32
.LBB151_35:
	v_mov_b32_e32 v0, 0
	global_load_b32 v1, v0, s[12:13]
	s_waitcnt vmcnt(0)
	v_xor_b32_e32 v1, 1, v1
	global_store_b32 v0, v1, s[12:13]
.LBB151_36:
	s_mov_b32 s4, exec_lo
	s_delay_alu instid0(SALU_CYCLE_1) | instskip(NEXT) | instid1(VALU_DEP_1)
	v_mbcnt_lo_u32_b32 v0, s4, 0
	v_cmp_eq_u32_e32 vcc_lo, 0, v0
	s_and_b32 s0, exec_lo, vcc_lo
	s_delay_alu instid0(SALU_CYCLE_1)
	s_mov_b32 exec_lo, s0
	s_cbranch_execz .LBB151_39
; %bb.37:
	s_lshl_b64 s[0:1], s[2:3], 2
	s_delay_alu instid0(SALU_CYCLE_1) | instskip(SKIP_2) | instid1(SALU_CYCLE_1)
	s_add_u32 s0, s6, s0
	s_addc_u32 s1, s7, s1
	s_bcnt1_i32_b32 s2, s4
	v_cvt_f32_ubyte0_e32 v3, s2
	v_mov_b32_e32 v2, 0
	s_mov_b32 s2, 0
	global_load_b32 v1, v2, s[0:1]
	ds_load_b32 v0, v2
	s_waitcnt lgkmcnt(0)
	v_mul_f32_e32 v3, v0, v3
.LBB151_38:                             ; =>This Inner Loop Header: Depth=1
	s_waitcnt vmcnt(0)
	s_delay_alu instid0(VALU_DEP_1)
	v_add_f32_e32 v0, v1, v3
	global_atomic_cmpswap_b32 v0, v2, v[0:1], s[0:1] glc
	s_waitcnt vmcnt(0)
	v_cmp_eq_u32_e32 vcc_lo, v0, v1
	v_mov_b32_e32 v1, v0
	s_or_b32 s2, vcc_lo, s2
	s_delay_alu instid0(SALU_CYCLE_1)
	s_and_not1_b32 exec_lo, exec_lo, s2
	s_cbranch_execnz .LBB151_38
.LBB151_39:
	s_nop 0
	s_sendmsg sendmsg(MSG_DEALLOC_VGPRS)
	s_endpgm
	.section	.rodata,"a",@progbits
	.p2align	6, 0x0
	.amdhsa_kernel _ZN9rocsparseL27csrmvn_lrb_long_rows_kernelIll18rocsparse_bfloat16S1_ffEEvbT_PjPT0_S5_jNS_24const_host_device_scalarIT4_EEPKS2_PKS4_PKT1_PKT2_S8_PT3_21rocsparse_index_base_b
		.amdhsa_group_segment_fixed_size 1024
		.amdhsa_private_segment_fixed_size 0
		.amdhsa_kernarg_size 112
		.amdhsa_user_sgpr_count 15
		.amdhsa_user_sgpr_dispatch_ptr 0
		.amdhsa_user_sgpr_queue_ptr 0
		.amdhsa_user_sgpr_kernarg_segment_ptr 1
		.amdhsa_user_sgpr_dispatch_id 0
		.amdhsa_user_sgpr_private_segment_size 0
		.amdhsa_wavefront_size32 1
		.amdhsa_uses_dynamic_stack 0
		.amdhsa_enable_private_segment 0
		.amdhsa_system_sgpr_workgroup_id_x 1
		.amdhsa_system_sgpr_workgroup_id_y 0
		.amdhsa_system_sgpr_workgroup_id_z 0
		.amdhsa_system_sgpr_workgroup_info 0
		.amdhsa_system_vgpr_workitem_id 0
		.amdhsa_next_free_vgpr 11
		.amdhsa_next_free_sgpr 28
		.amdhsa_reserve_vcc 1
		.amdhsa_float_round_mode_32 0
		.amdhsa_float_round_mode_16_64 0
		.amdhsa_float_denorm_mode_32 3
		.amdhsa_float_denorm_mode_16_64 3
		.amdhsa_dx10_clamp 1
		.amdhsa_ieee_mode 1
		.amdhsa_fp16_overflow 0
		.amdhsa_workgroup_processor_mode 1
		.amdhsa_memory_ordered 1
		.amdhsa_forward_progress 0
		.amdhsa_shared_vgpr_count 0
		.amdhsa_exception_fp_ieee_invalid_op 0
		.amdhsa_exception_fp_denorm_src 0
		.amdhsa_exception_fp_ieee_div_zero 0
		.amdhsa_exception_fp_ieee_overflow 0
		.amdhsa_exception_fp_ieee_underflow 0
		.amdhsa_exception_fp_ieee_inexact 0
		.amdhsa_exception_int_div_zero 0
	.end_amdhsa_kernel
	.section	.text._ZN9rocsparseL27csrmvn_lrb_long_rows_kernelIll18rocsparse_bfloat16S1_ffEEvbT_PjPT0_S5_jNS_24const_host_device_scalarIT4_EEPKS2_PKS4_PKT1_PKT2_S8_PT3_21rocsparse_index_base_b,"axG",@progbits,_ZN9rocsparseL27csrmvn_lrb_long_rows_kernelIll18rocsparse_bfloat16S1_ffEEvbT_PjPT0_S5_jNS_24const_host_device_scalarIT4_EEPKS2_PKS4_PKT1_PKT2_S8_PT3_21rocsparse_index_base_b,comdat
.Lfunc_end151:
	.size	_ZN9rocsparseL27csrmvn_lrb_long_rows_kernelIll18rocsparse_bfloat16S1_ffEEvbT_PjPT0_S5_jNS_24const_host_device_scalarIT4_EEPKS2_PKS4_PKT1_PKT2_S8_PT3_21rocsparse_index_base_b, .Lfunc_end151-_ZN9rocsparseL27csrmvn_lrb_long_rows_kernelIll18rocsparse_bfloat16S1_ffEEvbT_PjPT0_S5_jNS_24const_host_device_scalarIT4_EEPKS2_PKS4_PKT1_PKT2_S8_PT3_21rocsparse_index_base_b
                                        ; -- End function
	.section	.AMDGPU.csdata,"",@progbits
; Kernel info:
; codeLenInByte = 1732
; NumSgprs: 30
; NumVgprs: 11
; ScratchSize: 0
; MemoryBound: 0
; FloatMode: 240
; IeeeMode: 1
; LDSByteSize: 1024 bytes/workgroup (compile time only)
; SGPRBlocks: 3
; VGPRBlocks: 1
; NumSGPRsForWavesPerEU: 30
; NumVGPRsForWavesPerEU: 11
; Occupancy: 16
; WaveLimiterHint : 1
; COMPUTE_PGM_RSRC2:SCRATCH_EN: 0
; COMPUTE_PGM_RSRC2:USER_SGPR: 15
; COMPUTE_PGM_RSRC2:TRAP_HANDLER: 0
; COMPUTE_PGM_RSRC2:TGID_X_EN: 1
; COMPUTE_PGM_RSRC2:TGID_Y_EN: 0
; COMPUTE_PGM_RSRC2:TGID_Z_EN: 0
; COMPUTE_PGM_RSRC2:TIDIG_COMP_CNT: 0
	.section	.text._ZN9rocsparseL28csrmvn_lrb_short_rows_kernelIiif21rocsparse_complex_numIfES2_S2_EEvbT_PT0_S5_jNS_24const_host_device_scalarIT4_EEPKS3_PKS4_PKT1_PKT2_S8_PT3_21rocsparse_index_base_b,"axG",@progbits,_ZN9rocsparseL28csrmvn_lrb_short_rows_kernelIiif21rocsparse_complex_numIfES2_S2_EEvbT_PT0_S5_jNS_24const_host_device_scalarIT4_EEPKS3_PKS4_PKT1_PKT2_S8_PT3_21rocsparse_index_base_b,comdat
	.globl	_ZN9rocsparseL28csrmvn_lrb_short_rows_kernelIiif21rocsparse_complex_numIfES2_S2_EEvbT_PT0_S5_jNS_24const_host_device_scalarIT4_EEPKS3_PKS4_PKT1_PKT2_S8_PT3_21rocsparse_index_base_b ; -- Begin function _ZN9rocsparseL28csrmvn_lrb_short_rows_kernelIiif21rocsparse_complex_numIfES2_S2_EEvbT_PT0_S5_jNS_24const_host_device_scalarIT4_EEPKS3_PKS4_PKT1_PKT2_S8_PT3_21rocsparse_index_base_b
	.p2align	8
	.type	_ZN9rocsparseL28csrmvn_lrb_short_rows_kernelIiif21rocsparse_complex_numIfES2_S2_EEvbT_PT0_S5_jNS_24const_host_device_scalarIT4_EEPKS3_PKS4_PKT1_PKT2_S8_PT3_21rocsparse_index_base_b,@function
_ZN9rocsparseL28csrmvn_lrb_short_rows_kernelIiif21rocsparse_complex_numIfES2_S2_EEvbT_PT0_S5_jNS_24const_host_device_scalarIT4_EEPKS3_PKS4_PKT1_PKT2_S8_PT3_21rocsparse_index_base_b: ; @_ZN9rocsparseL28csrmvn_lrb_short_rows_kernelIiif21rocsparse_complex_numIfES2_S2_EEvbT_PT0_S5_jNS_24const_host_device_scalarIT4_EEPKS3_PKS4_PKT1_PKT2_S8_PT3_21rocsparse_index_base_b
; %bb.0:
	s_clause 0x2
	s_load_b64 s[12:13], s[0:1], 0x58
	s_load_b64 s[4:5], s[0:1], 0x20
	;; [unrolled: 1-line block ×3, first 2 shown]
	s_waitcnt lgkmcnt(0)
	s_bitcmp1_b32 s13, 0
	v_mov_b32_e32 v7, s4
	s_cselect_b32 s6, -1, 0
	s_delay_alu instid0(SALU_CYCLE_1)
	s_and_b32 vcc_lo, exec_lo, s6
	s_xor_b32 s6, s6, -1
	s_cbranch_vccz .LBB152_16
; %bb.1:
	v_cndmask_b32_e64 v1, 0, 1, s6
	v_mov_b32_e32 v8, s5
	s_and_not1_b32 vcc_lo, exec_lo, s6
	s_cbranch_vccz .LBB152_17
.LBB152_2:
	s_delay_alu instid0(VALU_DEP_2)
	v_cmp_ne_u32_e32 vcc_lo, 1, v1
	v_mov_b32_e32 v5, s2
	s_cbranch_vccz .LBB152_18
.LBB152_3:
	v_cmp_ne_u32_e32 vcc_lo, 1, v1
	v_mov_b32_e32 v6, s3
	s_cbranch_vccnz .LBB152_5
.LBB152_4:
	v_dual_mov_b32 v1, s2 :: v_dual_mov_b32 v2, s3
	flat_load_b32 v6, v[1:2] offset:4
.LBB152_5:
	s_waitcnt vmcnt(0) lgkmcnt(0)
	v_cmp_eq_f32_e32 vcc_lo, 0, v7
	v_cmp_eq_f32_e64 s2, 0, v8
	s_delay_alu instid0(VALU_DEP_1)
	s_and_b32 s4, vcc_lo, s2
	s_mov_b32 s2, -1
	s_and_saveexec_b32 s3, s4
; %bb.6:
	v_cmp_neq_f32_e32 vcc_lo, 1.0, v5
	v_cmp_neq_f32_e64 s2, 0, v6
	s_delay_alu instid0(VALU_DEP_1) | instskip(NEXT) | instid1(SALU_CYCLE_1)
	s_or_b32 s2, vcc_lo, s2
	s_or_not1_b32 s2, s2, exec_lo
; %bb.7:
	s_or_b32 exec_lo, exec_lo, s3
	s_and_saveexec_b32 s3, s2
	s_cbranch_execz .LBB152_25
; %bb.8:
	s_clause 0x1
	s_load_b32 s2, s[0:1], 0x18
	s_load_b128 s[16:19], s[0:1], 0x8
	s_mov_b32 s3, 0
	s_delay_alu instid0(SALU_CYCLE_1) | instskip(SKIP_2) | instid1(SALU_CYCLE_1)
	s_mov_b32 s7, s3
	s_waitcnt lgkmcnt(0)
	s_lshl_b64 s[4:5], s[2:3], 2
	s_add_u32 s4, s18, s4
	s_addc_u32 s5, s19, s5
	s_add_i32 s6, s2, 1
	s_delay_alu instid0(SALU_CYCLE_1) | instskip(NEXT) | instid1(SALU_CYCLE_1)
	s_lshl_b64 s[6:7], s[6:7], 2
	s_add_u32 s6, s18, s6
	s_addc_u32 s7, s19, s7
	s_clause 0x1
	s_load_b32 s13, s[4:5], 0x0
	s_load_b32 s4, s[6:7], 0x0
	s_lshl_b32 s14, s15, 8
	s_delay_alu instid0(SALU_CYCLE_1) | instskip(SKIP_2) | instid1(SALU_CYCLE_1)
	s_add_i32 s5, s14, 0x100
	s_waitcnt lgkmcnt(0)
	s_sub_i32 s4, s4, s13
	s_min_u32 s15, s4, s5
	s_cmp_gt_u32 s2, 23
	s_cbranch_scc1 .LBB152_19
; %bb.9:
	s_load_b256 s[4:11], s[0:1], 0x28
	v_bfe_u32 v9, v0, 0, s2
	v_dual_mul_f32 v11, 0x80000000, v8 :: v_dual_mul_f32 v12, 0, v7
	v_lshl_add_u32 v13, v0, 3, 0
	v_mov_b32_e32 v2, 0
	s_delay_alu instid0(VALU_DEP_4)
	v_subrev_nc_u32_e32 v10, s12, v9
	s_lshl_b32 s18, 0x100, s2
	s_branch .LBB152_11
.LBB152_10:                             ;   in Loop: Header=BB152_11 Depth=1
	s_or_b32 exec_lo, exec_lo, s19
	v_add_nc_u32_e32 v13, 0x800, v13
	s_addk_i32 s3, 0x100
	s_delay_alu instid0(SALU_CYCLE_1)
	s_cmp_ge_u32 s3, s18
	s_cbranch_scc1 .LBB152_19
.LBB152_11:                             ; =>This Inner Loop Header: Depth=1
	v_add_nc_u32_e32 v1, s3, v0
	s_mov_b32 s19, exec_lo
	s_delay_alu instid0(VALU_DEP_1) | instskip(NEXT) | instid1(VALU_DEP_1)
	v_lshrrev_b32_e32 v1, s2, v1
	v_add_nc_u32_e32 v1, s14, v1
	s_delay_alu instid0(VALU_DEP_1)
	v_cmpx_gt_u32_e64 s15, v1
	s_cbranch_execz .LBB152_10
; %bb.12:                               ;   in Loop: Header=BB152_11 Depth=1
	v_add_nc_u32_e32 v1, s13, v1
	s_mov_b32 s20, exec_lo
	s_delay_alu instid0(VALU_DEP_1) | instskip(NEXT) | instid1(VALU_DEP_1)
	v_lshlrev_b64 v[3:4], 2, v[1:2]
	v_add_co_u32 v3, vcc_lo, s16, v3
	s_delay_alu instid0(VALU_DEP_2) | instskip(SKIP_3) | instid1(VALU_DEP_1)
	v_add_co_ci_u32_e32 v4, vcc_lo, s17, v4, vcc_lo
	global_load_b32 v3, v[3:4], off
	s_waitcnt vmcnt(0)
	v_ashrrev_i32_e32 v4, 31, v3
	v_lshlrev_b64 v[3:4], 2, v[3:4]
	s_waitcnt lgkmcnt(0)
	s_delay_alu instid0(VALU_DEP_1) | instskip(NEXT) | instid1(VALU_DEP_2)
	v_add_co_u32 v3, vcc_lo, s4, v3
	v_add_co_ci_u32_e32 v4, vcc_lo, s5, v4, vcc_lo
	global_load_b64 v[3:4], v[3:4], off
	s_waitcnt vmcnt(0)
	v_sub_nc_u32_e32 v1, v4, v3
	s_delay_alu instid0(VALU_DEP_1)
	v_cmpx_ge_u32_e64 v9, v1
	s_xor_b32 s20, exec_lo, s20
	s_cbranch_execz .LBB152_14
; %bb.13:                               ;   in Loop: Header=BB152_11 Depth=1
	ds_store_2addr_b32 v13, v2, v2 offset1:1
                                        ; implicit-def: $vgpr3_vgpr4
.LBB152_14:                             ;   in Loop: Header=BB152_11 Depth=1
	s_and_not1_saveexec_b32 s20, s20
	s_cbranch_execz .LBB152_10
; %bb.15:                               ;   in Loop: Header=BB152_11 Depth=1
	v_add_nc_u32_e32 v1, v10, v3
	s_delay_alu instid0(VALU_DEP_1) | instskip(NEXT) | instid1(VALU_DEP_1)
	v_lshlrev_b64 v[3:4], 2, v[1:2]
	v_add_co_u32 v14, vcc_lo, s6, v3
	s_delay_alu instid0(VALU_DEP_2)
	v_add_co_ci_u32_e32 v15, vcc_lo, s7, v4, vcc_lo
	v_add_co_u32 v3, vcc_lo, s8, v3
	v_add_co_ci_u32_e32 v4, vcc_lo, s9, v4, vcc_lo
	global_load_b32 v1, v[14:15], off
	s_waitcnt vmcnt(0)
	v_subrev_nc_u32_e32 v14, s12, v1
	global_load_b32 v1, v[3:4], off
	v_ashrrev_i32_e32 v15, 31, v14
	s_delay_alu instid0(VALU_DEP_1) | instskip(NEXT) | instid1(VALU_DEP_1)
	v_lshlrev_b64 v[14:15], 3, v[14:15]
	v_add_co_u32 v3, vcc_lo, s10, v14
	s_delay_alu instid0(VALU_DEP_2)
	v_add_co_ci_u32_e32 v4, vcc_lo, s11, v15, vcc_lo
	global_load_b64 v[3:4], v[3:4], off
	s_waitcnt vmcnt(1)
	v_fma_f32 v14, v8, v1, v12
	v_fma_f32 v1, v7, v1, v11
	s_waitcnt vmcnt(0)
	s_delay_alu instid0(VALU_DEP_2) | instskip(NEXT) | instid1(VALU_DEP_2)
	v_mul_f32_e64 v15, v4, -v14
	v_mul_f32_e32 v4, v1, v4
	s_delay_alu instid0(VALU_DEP_2) | instskip(NEXT) | instid1(VALU_DEP_2)
	v_fmac_f32_e32 v15, v1, v3
	v_fmac_f32_e32 v4, v14, v3
	ds_store_2addr_b32 v13, v15, v4 offset1:1
	s_branch .LBB152_10
.LBB152_16:
	v_dual_mov_b32 v1, s4 :: v_dual_mov_b32 v2, s5
	flat_load_b32 v7, v[1:2]
	v_cndmask_b32_e64 v1, 0, 1, s6
	v_mov_b32_e32 v8, s5
	s_and_not1_b32 vcc_lo, exec_lo, s6
	s_cbranch_vccnz .LBB152_2
.LBB152_17:
	v_dual_mov_b32 v2, s4 :: v_dual_mov_b32 v3, s5
	flat_load_b32 v8, v[2:3] offset:4
	v_cmp_ne_u32_e32 vcc_lo, 1, v1
	v_mov_b32_e32 v5, s2
	s_cbranch_vccnz .LBB152_3
.LBB152_18:
	v_dual_mov_b32 v2, s2 :: v_dual_mov_b32 v3, s3
	flat_load_b32 v5, v[2:3]
	v_cmp_ne_u32_e32 vcc_lo, 1, v1
	v_mov_b32_e32 v6, s3
	s_cbranch_vccz .LBB152_4
	s_branch .LBB152_5
.LBB152_19:
	s_sub_i32 s3, s15, s14
	s_waitcnt lgkmcnt(0)
	v_cmp_gt_u32_e32 vcc_lo, s3, v0
	s_barrier
	buffer_gl0_inv
	s_and_b32 exec_lo, exec_lo, vcc_lo
	s_cbranch_execz .LBB152_25
; %bb.20:
	v_add3_u32 v1, s13, s14, v0
	v_mov_b32_e32 v2, 0
	s_load_b64 s[4:5], s[0:1], 0x50
	v_lshlrev_b32_e32 v0, s2, v0
	s_mov_b32 s0, 1
	s_delay_alu instid0(VALU_DEP_2) | instskip(SKIP_1) | instid1(VALU_DEP_3)
	v_lshlrev_b64 v[3:4], 2, v[1:2]
	v_mov_b32_e32 v1, v2
	v_lshl_add_u32 v0, v0, 3, 0
	s_delay_alu instid0(VALU_DEP_3) | instskip(NEXT) | instid1(VALU_DEP_4)
	v_add_co_u32 v3, vcc_lo, s16, v3
	v_add_co_ci_u32_e32 v4, vcc_lo, s17, v4, vcc_lo
	global_load_b32 v3, v[3:4], off
.LBB152_21:                             ; =>This Inner Loop Header: Depth=1
	ds_load_2addr_b32 v[7:8], v0 offset1:1
	v_add_nc_u32_e32 v0, 8, v0
	s_lshr_b32 s1, s0, s2
	s_add_i32 s0, s0, 1
	s_cmp_lg_u32 s1, 0
	s_waitcnt lgkmcnt(0)
	v_dual_add_f32 v1, v1, v7 :: v_dual_add_f32 v2, v2, v8
	s_cbranch_scc0 .LBB152_21
; %bb.22:
	s_waitcnt vmcnt(0)
	v_ashrrev_i32_e32 v4, 31, v3
	v_cmp_neq_f32_e32 vcc_lo, 0, v5
	v_cmp_neq_f32_e64 s0, 0, v6
	s_delay_alu instid0(VALU_DEP_3) | instskip(NEXT) | instid1(VALU_DEP_2)
	v_lshlrev_b64 v[3:4], 3, v[3:4]
	s_or_b32 s1, vcc_lo, s0
	s_delay_alu instid0(SALU_CYCLE_1)
	s_and_saveexec_b32 s0, s1
	s_cbranch_execz .LBB152_24
; %bb.23:
	s_delay_alu instid0(VALU_DEP_1) | instskip(NEXT) | instid1(VALU_DEP_2)
	v_add_co_u32 v7, vcc_lo, s4, v3
	v_add_co_ci_u32_e32 v8, vcc_lo, s5, v4, vcc_lo
	global_load_b64 v[7:8], v[7:8], off
	s_waitcnt vmcnt(0)
	v_fmac_f32_e32 v1, v5, v7
	v_fmac_f32_e32 v2, v6, v7
	s_delay_alu instid0(VALU_DEP_2) | instskip(NEXT) | instid1(VALU_DEP_2)
	v_fma_f32 v1, -v6, v8, v1
	v_fmac_f32_e32 v2, v5, v8
.LBB152_24:
	s_or_b32 exec_lo, exec_lo, s0
	s_delay_alu instid0(VALU_DEP_1)
	v_add_co_u32 v3, vcc_lo, s4, v3
	v_add_co_ci_u32_e32 v4, vcc_lo, s5, v4, vcc_lo
	global_store_b64 v[3:4], v[1:2], off
.LBB152_25:
	s_nop 0
	s_sendmsg sendmsg(MSG_DEALLOC_VGPRS)
	s_endpgm
	.section	.rodata,"a",@progbits
	.p2align	6, 0x0
	.amdhsa_kernel _ZN9rocsparseL28csrmvn_lrb_short_rows_kernelIiif21rocsparse_complex_numIfES2_S2_EEvbT_PT0_S5_jNS_24const_host_device_scalarIT4_EEPKS3_PKS4_PKT1_PKT2_S8_PT3_21rocsparse_index_base_b
		.amdhsa_group_segment_fixed_size 0
		.amdhsa_private_segment_fixed_size 0
		.amdhsa_kernarg_size 96
		.amdhsa_user_sgpr_count 15
		.amdhsa_user_sgpr_dispatch_ptr 0
		.amdhsa_user_sgpr_queue_ptr 0
		.amdhsa_user_sgpr_kernarg_segment_ptr 1
		.amdhsa_user_sgpr_dispatch_id 0
		.amdhsa_user_sgpr_private_segment_size 0
		.amdhsa_wavefront_size32 1
		.amdhsa_uses_dynamic_stack 0
		.amdhsa_enable_private_segment 0
		.amdhsa_system_sgpr_workgroup_id_x 1
		.amdhsa_system_sgpr_workgroup_id_y 0
		.amdhsa_system_sgpr_workgroup_id_z 0
		.amdhsa_system_sgpr_workgroup_info 0
		.amdhsa_system_vgpr_workitem_id 0
		.amdhsa_next_free_vgpr 16
		.amdhsa_next_free_sgpr 21
		.amdhsa_reserve_vcc 1
		.amdhsa_float_round_mode_32 0
		.amdhsa_float_round_mode_16_64 0
		.amdhsa_float_denorm_mode_32 3
		.amdhsa_float_denorm_mode_16_64 3
		.amdhsa_dx10_clamp 1
		.amdhsa_ieee_mode 1
		.amdhsa_fp16_overflow 0
		.amdhsa_workgroup_processor_mode 1
		.amdhsa_memory_ordered 1
		.amdhsa_forward_progress 0
		.amdhsa_shared_vgpr_count 0
		.amdhsa_exception_fp_ieee_invalid_op 0
		.amdhsa_exception_fp_denorm_src 0
		.amdhsa_exception_fp_ieee_div_zero 0
		.amdhsa_exception_fp_ieee_overflow 0
		.amdhsa_exception_fp_ieee_underflow 0
		.amdhsa_exception_fp_ieee_inexact 0
		.amdhsa_exception_int_div_zero 0
	.end_amdhsa_kernel
	.section	.text._ZN9rocsparseL28csrmvn_lrb_short_rows_kernelIiif21rocsparse_complex_numIfES2_S2_EEvbT_PT0_S5_jNS_24const_host_device_scalarIT4_EEPKS3_PKS4_PKT1_PKT2_S8_PT3_21rocsparse_index_base_b,"axG",@progbits,_ZN9rocsparseL28csrmvn_lrb_short_rows_kernelIiif21rocsparse_complex_numIfES2_S2_EEvbT_PT0_S5_jNS_24const_host_device_scalarIT4_EEPKS3_PKS4_PKT1_PKT2_S8_PT3_21rocsparse_index_base_b,comdat
.Lfunc_end152:
	.size	_ZN9rocsparseL28csrmvn_lrb_short_rows_kernelIiif21rocsparse_complex_numIfES2_S2_EEvbT_PT0_S5_jNS_24const_host_device_scalarIT4_EEPKS3_PKS4_PKT1_PKT2_S8_PT3_21rocsparse_index_base_b, .Lfunc_end152-_ZN9rocsparseL28csrmvn_lrb_short_rows_kernelIiif21rocsparse_complex_numIfES2_S2_EEvbT_PT0_S5_jNS_24const_host_device_scalarIT4_EEPKS3_PKS4_PKT1_PKT2_S8_PT3_21rocsparse_index_base_b
                                        ; -- End function
	.section	.AMDGPU.csdata,"",@progbits
; Kernel info:
; codeLenInByte = 1128
; NumSgprs: 23
; NumVgprs: 16
; ScratchSize: 0
; MemoryBound: 0
; FloatMode: 240
; IeeeMode: 1
; LDSByteSize: 0 bytes/workgroup (compile time only)
; SGPRBlocks: 2
; VGPRBlocks: 1
; NumSGPRsForWavesPerEU: 23
; NumVGPRsForWavesPerEU: 16
; Occupancy: 16
; WaveLimiterHint : 1
; COMPUTE_PGM_RSRC2:SCRATCH_EN: 0
; COMPUTE_PGM_RSRC2:USER_SGPR: 15
; COMPUTE_PGM_RSRC2:TRAP_HANDLER: 0
; COMPUTE_PGM_RSRC2:TGID_X_EN: 1
; COMPUTE_PGM_RSRC2:TGID_Y_EN: 0
; COMPUTE_PGM_RSRC2:TGID_Z_EN: 0
; COMPUTE_PGM_RSRC2:TIDIG_COMP_CNT: 0
	.section	.text._ZN9rocsparseL30csrmvn_lrb_short_rows_2_kernelIiif21rocsparse_complex_numIfES2_S2_EEvbT_PT0_S5_jNS_24const_host_device_scalarIT4_EEPKS3_PKS4_PKT1_PKT2_S8_PT3_21rocsparse_index_base_b,"axG",@progbits,_ZN9rocsparseL30csrmvn_lrb_short_rows_2_kernelIiif21rocsparse_complex_numIfES2_S2_EEvbT_PT0_S5_jNS_24const_host_device_scalarIT4_EEPKS3_PKS4_PKT1_PKT2_S8_PT3_21rocsparse_index_base_b,comdat
	.globl	_ZN9rocsparseL30csrmvn_lrb_short_rows_2_kernelIiif21rocsparse_complex_numIfES2_S2_EEvbT_PT0_S5_jNS_24const_host_device_scalarIT4_EEPKS3_PKS4_PKT1_PKT2_S8_PT3_21rocsparse_index_base_b ; -- Begin function _ZN9rocsparseL30csrmvn_lrb_short_rows_2_kernelIiif21rocsparse_complex_numIfES2_S2_EEvbT_PT0_S5_jNS_24const_host_device_scalarIT4_EEPKS3_PKS4_PKT1_PKT2_S8_PT3_21rocsparse_index_base_b
	.p2align	8
	.type	_ZN9rocsparseL30csrmvn_lrb_short_rows_2_kernelIiif21rocsparse_complex_numIfES2_S2_EEvbT_PT0_S5_jNS_24const_host_device_scalarIT4_EEPKS3_PKS4_PKT1_PKT2_S8_PT3_21rocsparse_index_base_b,@function
_ZN9rocsparseL30csrmvn_lrb_short_rows_2_kernelIiif21rocsparse_complex_numIfES2_S2_EEvbT_PT0_S5_jNS_24const_host_device_scalarIT4_EEPKS3_PKS4_PKT1_PKT2_S8_PT3_21rocsparse_index_base_b: ; @_ZN9rocsparseL30csrmvn_lrb_short_rows_2_kernelIiif21rocsparse_complex_numIfES2_S2_EEvbT_PT0_S5_jNS_24const_host_device_scalarIT4_EEPKS3_PKS4_PKT1_PKT2_S8_PT3_21rocsparse_index_base_b
; %bb.0:
	s_clause 0x2
	s_load_b64 s[12:13], s[0:1], 0x58
	s_load_b64 s[4:5], s[0:1], 0x20
	s_load_b64 s[2:3], s[0:1], 0x48
	s_waitcnt lgkmcnt(0)
	s_bitcmp1_b32 s13, 0
	v_mov_b32_e32 v5, s4
	s_cselect_b32 s6, -1, 0
	s_delay_alu instid0(SALU_CYCLE_1)
	s_and_b32 vcc_lo, exec_lo, s6
	s_xor_b32 s6, s6, -1
	s_cbranch_vccz .LBB153_38
; %bb.1:
	v_cndmask_b32_e64 v1, 0, 1, s6
	v_mov_b32_e32 v6, s5
	s_and_not1_b32 vcc_lo, exec_lo, s6
	s_cbranch_vccz .LBB153_39
.LBB153_2:
	s_delay_alu instid0(VALU_DEP_2)
	v_cmp_ne_u32_e32 vcc_lo, 1, v1
	v_mov_b32_e32 v7, s2
	s_cbranch_vccz .LBB153_40
.LBB153_3:
	v_cmp_ne_u32_e32 vcc_lo, 1, v1
	v_mov_b32_e32 v8, s3
	s_cbranch_vccnz .LBB153_5
.LBB153_4:
	v_dual_mov_b32 v1, s2 :: v_dual_mov_b32 v2, s3
	flat_load_b32 v8, v[1:2] offset:4
.LBB153_5:
	s_waitcnt vmcnt(0) lgkmcnt(0)
	v_cmp_eq_f32_e32 vcc_lo, 0, v5
	v_cmp_eq_f32_e64 s2, 0, v6
	s_delay_alu instid0(VALU_DEP_1)
	s_and_b32 s4, vcc_lo, s2
	s_mov_b32 s2, -1
	s_and_saveexec_b32 s3, s4
; %bb.6:
	v_cmp_neq_f32_e32 vcc_lo, 1.0, v7
	v_cmp_neq_f32_e64 s2, 0, v8
	s_delay_alu instid0(VALU_DEP_1) | instskip(NEXT) | instid1(SALU_CYCLE_1)
	s_or_b32 s2, vcc_lo, s2
	s_or_not1_b32 s2, s2, exec_lo
; %bb.7:
	s_or_b32 exec_lo, exec_lo, s3
	s_and_saveexec_b32 s3, s2
	s_cbranch_execz .LBB153_37
; %bb.8:
	s_clause 0x1
	s_load_b32 s2, s[0:1], 0x18
	s_load_b128 s[16:19], s[0:1], 0x8
	s_mov_b32 s3, 0
	v_dual_mul_f32 v9, 0x80000000, v6 :: v_dual_mul_f32 v10, 0, v5
	s_mov_b32 s7, s3
	s_waitcnt lgkmcnt(0)
	s_lshl_b64 s[4:5], s[2:3], 2
	v_lshrrev_b32_e32 v1, s2, v0
	s_add_u32 s4, s18, s4
	s_addc_u32 s5, s19, s5
	s_add_i32 s6, s2, 1
	v_bfe_u32 v12, v0, 0, s2
	s_lshl_b64 s[6:7], s[6:7], 2
	s_delay_alu instid0(SALU_CYCLE_1)
	s_add_u32 s6, s18, s6
	s_addc_u32 s7, s19, s7
	s_clause 0x1
	s_load_b32 s13, s[4:5], 0x0
	s_load_b32 s18, s[6:7], 0x0
	s_load_b256 s[4:11], s[0:1], 0x28
	s_lshr_b32 s3, 0x400, s2
	v_subrev_nc_u32_e32 v11, s12, v12
	s_mul_i32 s14, s3, s15
	s_delay_alu instid0(SALU_CYCLE_1) | instskip(SKIP_3) | instid1(SALU_CYCLE_1)
	v_add_nc_u32_e32 v1, s14, v1
	s_add_i32 s15, s14, s3
	s_waitcnt lgkmcnt(0)
	s_sub_i32 s18, s18, s13
	s_min_u32 s15, s18, s15
	s_mov_b32 s18, exec_lo
	v_cmpx_gt_u32_e64 s15, v1
	s_cbranch_execz .LBB153_13
; %bb.9:
	v_dual_mov_b32 v2, 0 :: v_dual_add_nc_u32 v1, s13, v1
	s_mov_b32 s19, exec_lo
	s_delay_alu instid0(VALU_DEP_1) | instskip(NEXT) | instid1(VALU_DEP_1)
	v_lshlrev_b64 v[3:4], 2, v[1:2]
	v_add_co_u32 v3, vcc_lo, s16, v3
	s_delay_alu instid0(VALU_DEP_2) | instskip(SKIP_3) | instid1(VALU_DEP_1)
	v_add_co_ci_u32_e32 v4, vcc_lo, s17, v4, vcc_lo
	global_load_b32 v3, v[3:4], off
	s_waitcnt vmcnt(0)
	v_ashrrev_i32_e32 v4, 31, v3
	v_lshlrev_b64 v[3:4], 2, v[3:4]
	s_delay_alu instid0(VALU_DEP_1) | instskip(NEXT) | instid1(VALU_DEP_2)
	v_add_co_u32 v3, vcc_lo, s4, v3
	v_add_co_ci_u32_e32 v4, vcc_lo, s5, v4, vcc_lo
	global_load_b64 v[3:4], v[3:4], off
	s_waitcnt vmcnt(0)
	v_sub_nc_u32_e32 v1, v4, v3
	s_delay_alu instid0(VALU_DEP_1)
	v_cmpx_ge_u32_e64 v12, v1
	s_xor_b32 s19, exec_lo, s19
	s_cbranch_execz .LBB153_11
; %bb.10:
	v_lshlrev_b32_e32 v3, 3, v0
	v_mov_b32_e32 v1, v2
	ds_store_b64 v3, v[1:2]
                                        ; implicit-def: $vgpr3_vgpr4
.LBB153_11:
	s_and_not1_saveexec_b32 s19, s19
	s_cbranch_execz .LBB153_13
; %bb.12:
	v_dual_mov_b32 v2, 0 :: v_dual_add_nc_u32 v1, v3, v11
	s_delay_alu instid0(VALU_DEP_1) | instskip(NEXT) | instid1(VALU_DEP_1)
	v_lshlrev_b64 v[1:2], 2, v[1:2]
	v_add_co_u32 v3, vcc_lo, s6, v1
	s_delay_alu instid0(VALU_DEP_2)
	v_add_co_ci_u32_e32 v4, vcc_lo, s7, v2, vcc_lo
	v_add_co_u32 v1, vcc_lo, s8, v1
	v_add_co_ci_u32_e32 v2, vcc_lo, s9, v2, vcc_lo
	global_load_b32 v3, v[3:4], off
	global_load_b32 v13, v[1:2], off
	s_waitcnt vmcnt(1)
	v_subrev_nc_u32_e32 v3, s12, v3
	s_waitcnt vmcnt(0)
	v_fma_f32 v14, v6, v13, v10
	v_fma_f32 v13, v5, v13, v9
	s_delay_alu instid0(VALU_DEP_3) | instskip(NEXT) | instid1(VALU_DEP_1)
	v_ashrrev_i32_e32 v4, 31, v3
	v_lshlrev_b64 v[3:4], 3, v[3:4]
	s_delay_alu instid0(VALU_DEP_1) | instskip(NEXT) | instid1(VALU_DEP_2)
	v_add_co_u32 v1, vcc_lo, s10, v3
	v_add_co_ci_u32_e32 v2, vcc_lo, s11, v4, vcc_lo
	global_load_b64 v[1:2], v[1:2], off
	s_waitcnt vmcnt(0)
	v_mul_f32_e64 v3, v2, -v14
	v_mul_f32_e32 v4, v13, v2
	s_delay_alu instid0(VALU_DEP_2) | instskip(NEXT) | instid1(VALU_DEP_2)
	v_fmac_f32_e32 v3, v13, v1
	v_dual_fmac_f32 v4, v14, v1 :: v_dual_lshlrev_b32 v1, 3, v0
	ds_store_b64 v1, v[3:4]
.LBB153_13:
	s_or_b32 exec_lo, exec_lo, s18
	v_or_b32_e32 v1, 0x100, v0
	s_mov_b32 s18, exec_lo
	s_delay_alu instid0(VALU_DEP_1) | instskip(NEXT) | instid1(VALU_DEP_1)
	v_lshrrev_b32_e32 v1, s2, v1
	v_add_nc_u32_e32 v1, s14, v1
	s_delay_alu instid0(VALU_DEP_1)
	v_cmpx_gt_u32_e64 s15, v1
	s_cbranch_execz .LBB153_18
; %bb.14:
	v_dual_mov_b32 v2, 0 :: v_dual_add_nc_u32 v1, s13, v1
	s_mov_b32 s19, exec_lo
	s_delay_alu instid0(VALU_DEP_1) | instskip(NEXT) | instid1(VALU_DEP_1)
	v_lshlrev_b64 v[3:4], 2, v[1:2]
	v_add_co_u32 v3, vcc_lo, s16, v3
	s_delay_alu instid0(VALU_DEP_2) | instskip(SKIP_3) | instid1(VALU_DEP_1)
	v_add_co_ci_u32_e32 v4, vcc_lo, s17, v4, vcc_lo
	global_load_b32 v3, v[3:4], off
	s_waitcnt vmcnt(0)
	v_ashrrev_i32_e32 v4, 31, v3
	v_lshlrev_b64 v[3:4], 2, v[3:4]
	s_delay_alu instid0(VALU_DEP_1) | instskip(NEXT) | instid1(VALU_DEP_2)
	v_add_co_u32 v3, vcc_lo, s4, v3
	v_add_co_ci_u32_e32 v4, vcc_lo, s5, v4, vcc_lo
	global_load_b64 v[3:4], v[3:4], off
	s_waitcnt vmcnt(0)
	v_sub_nc_u32_e32 v1, v4, v3
	s_delay_alu instid0(VALU_DEP_1)
	v_cmpx_ge_u32_e64 v12, v1
	s_xor_b32 s19, exec_lo, s19
	s_cbranch_execz .LBB153_16
; %bb.15:
	v_lshlrev_b32_e32 v3, 3, v0
	v_mov_b32_e32 v1, v2
	ds_store_b64 v3, v[1:2] offset:2048
                                        ; implicit-def: $vgpr3_vgpr4
.LBB153_16:
	s_and_not1_saveexec_b32 s19, s19
	s_cbranch_execz .LBB153_18
; %bb.17:
	v_dual_mov_b32 v2, 0 :: v_dual_add_nc_u32 v1, v3, v11
	s_delay_alu instid0(VALU_DEP_1) | instskip(NEXT) | instid1(VALU_DEP_1)
	v_lshlrev_b64 v[1:2], 2, v[1:2]
	v_add_co_u32 v3, vcc_lo, s6, v1
	s_delay_alu instid0(VALU_DEP_2)
	v_add_co_ci_u32_e32 v4, vcc_lo, s7, v2, vcc_lo
	v_add_co_u32 v1, vcc_lo, s8, v1
	v_add_co_ci_u32_e32 v2, vcc_lo, s9, v2, vcc_lo
	global_load_b32 v3, v[3:4], off
	global_load_b32 v13, v[1:2], off
	s_waitcnt vmcnt(1)
	v_subrev_nc_u32_e32 v3, s12, v3
	s_waitcnt vmcnt(0)
	v_fma_f32 v14, v6, v13, v10
	v_fma_f32 v13, v5, v13, v9
	s_delay_alu instid0(VALU_DEP_3) | instskip(NEXT) | instid1(VALU_DEP_1)
	v_ashrrev_i32_e32 v4, 31, v3
	v_lshlrev_b64 v[3:4], 3, v[3:4]
	s_delay_alu instid0(VALU_DEP_1) | instskip(NEXT) | instid1(VALU_DEP_2)
	v_add_co_u32 v1, vcc_lo, s10, v3
	v_add_co_ci_u32_e32 v2, vcc_lo, s11, v4, vcc_lo
	global_load_b64 v[1:2], v[1:2], off
	s_waitcnt vmcnt(0)
	v_mul_f32_e64 v3, v2, -v14
	v_mul_f32_e32 v4, v13, v2
	s_delay_alu instid0(VALU_DEP_2) | instskip(NEXT) | instid1(VALU_DEP_2)
	v_fmac_f32_e32 v3, v13, v1
	v_dual_fmac_f32 v4, v14, v1 :: v_dual_lshlrev_b32 v1, 3, v0
	ds_store_b64 v1, v[3:4] offset:2048
.LBB153_18:
	s_or_b32 exec_lo, exec_lo, s18
	v_or_b32_e32 v1, 0x200, v0
	s_mov_b32 s18, exec_lo
	s_delay_alu instid0(VALU_DEP_1) | instskip(NEXT) | instid1(VALU_DEP_1)
	v_lshrrev_b32_e32 v1, s2, v1
	v_add_nc_u32_e32 v1, s14, v1
	s_delay_alu instid0(VALU_DEP_1)
	v_cmpx_gt_u32_e64 s15, v1
	s_cbranch_execz .LBB153_23
; %bb.19:
	v_dual_mov_b32 v2, 0 :: v_dual_add_nc_u32 v1, s13, v1
	s_mov_b32 s19, exec_lo
	s_delay_alu instid0(VALU_DEP_1) | instskip(NEXT) | instid1(VALU_DEP_1)
	v_lshlrev_b64 v[3:4], 2, v[1:2]
	v_add_co_u32 v3, vcc_lo, s16, v3
	s_delay_alu instid0(VALU_DEP_2) | instskip(SKIP_3) | instid1(VALU_DEP_1)
	v_add_co_ci_u32_e32 v4, vcc_lo, s17, v4, vcc_lo
	global_load_b32 v3, v[3:4], off
	s_waitcnt vmcnt(0)
	v_ashrrev_i32_e32 v4, 31, v3
	v_lshlrev_b64 v[3:4], 2, v[3:4]
	s_delay_alu instid0(VALU_DEP_1) | instskip(NEXT) | instid1(VALU_DEP_2)
	v_add_co_u32 v3, vcc_lo, s4, v3
	v_add_co_ci_u32_e32 v4, vcc_lo, s5, v4, vcc_lo
	global_load_b64 v[3:4], v[3:4], off
	s_waitcnt vmcnt(0)
	v_sub_nc_u32_e32 v1, v4, v3
	s_delay_alu instid0(VALU_DEP_1)
	v_cmpx_ge_u32_e64 v12, v1
	s_xor_b32 s19, exec_lo, s19
	s_cbranch_execz .LBB153_21
; %bb.20:
	v_lshlrev_b32_e32 v3, 3, v0
	v_mov_b32_e32 v1, v2
	ds_store_b64 v3, v[1:2] offset:4096
                                        ; implicit-def: $vgpr3_vgpr4
.LBB153_21:
	s_and_not1_saveexec_b32 s19, s19
	s_cbranch_execz .LBB153_23
; %bb.22:
	v_dual_mov_b32 v2, 0 :: v_dual_add_nc_u32 v1, v3, v11
	s_delay_alu instid0(VALU_DEP_1) | instskip(NEXT) | instid1(VALU_DEP_1)
	v_lshlrev_b64 v[1:2], 2, v[1:2]
	v_add_co_u32 v3, vcc_lo, s6, v1
	s_delay_alu instid0(VALU_DEP_2)
	v_add_co_ci_u32_e32 v4, vcc_lo, s7, v2, vcc_lo
	v_add_co_u32 v1, vcc_lo, s8, v1
	v_add_co_ci_u32_e32 v2, vcc_lo, s9, v2, vcc_lo
	global_load_b32 v3, v[3:4], off
	global_load_b32 v13, v[1:2], off
	s_waitcnt vmcnt(1)
	v_subrev_nc_u32_e32 v3, s12, v3
	s_waitcnt vmcnt(0)
	v_fma_f32 v14, v6, v13, v10
	v_fma_f32 v13, v5, v13, v9
	s_delay_alu instid0(VALU_DEP_3) | instskip(NEXT) | instid1(VALU_DEP_1)
	v_ashrrev_i32_e32 v4, 31, v3
	v_lshlrev_b64 v[3:4], 3, v[3:4]
	s_delay_alu instid0(VALU_DEP_1) | instskip(NEXT) | instid1(VALU_DEP_2)
	v_add_co_u32 v1, vcc_lo, s10, v3
	v_add_co_ci_u32_e32 v2, vcc_lo, s11, v4, vcc_lo
	global_load_b64 v[1:2], v[1:2], off
	s_waitcnt vmcnt(0)
	v_mul_f32_e64 v3, v2, -v14
	v_mul_f32_e32 v4, v13, v2
	s_delay_alu instid0(VALU_DEP_2) | instskip(NEXT) | instid1(VALU_DEP_2)
	v_fmac_f32_e32 v3, v13, v1
	v_dual_fmac_f32 v4, v14, v1 :: v_dual_lshlrev_b32 v1, 3, v0
	ds_store_b64 v1, v[3:4] offset:4096
.LBB153_23:
	s_or_b32 exec_lo, exec_lo, s18
	v_or_b32_e32 v1, 0x300, v0
	s_mov_b32 s18, exec_lo
	s_delay_alu instid0(VALU_DEP_1) | instskip(NEXT) | instid1(VALU_DEP_1)
	v_lshrrev_b32_e32 v1, s2, v1
	v_add_nc_u32_e32 v1, s14, v1
	s_delay_alu instid0(VALU_DEP_1)
	v_cmpx_gt_u32_e64 s15, v1
	s_cbranch_execz .LBB153_28
; %bb.24:
	v_dual_mov_b32 v2, 0 :: v_dual_add_nc_u32 v1, s13, v1
	s_delay_alu instid0(VALU_DEP_1) | instskip(NEXT) | instid1(VALU_DEP_1)
	v_lshlrev_b64 v[3:4], 2, v[1:2]
	v_add_co_u32 v3, vcc_lo, s16, v3
	s_delay_alu instid0(VALU_DEP_2) | instskip(SKIP_3) | instid1(VALU_DEP_1)
	v_add_co_ci_u32_e32 v4, vcc_lo, s17, v4, vcc_lo
	global_load_b32 v3, v[3:4], off
	s_waitcnt vmcnt(0)
	v_ashrrev_i32_e32 v4, 31, v3
	v_lshlrev_b64 v[3:4], 2, v[3:4]
	s_delay_alu instid0(VALU_DEP_1) | instskip(NEXT) | instid1(VALU_DEP_2)
	v_add_co_u32 v3, vcc_lo, s4, v3
	v_add_co_ci_u32_e32 v4, vcc_lo, s5, v4, vcc_lo
	s_mov_b32 s4, exec_lo
	global_load_b64 v[3:4], v[3:4], off
	s_waitcnt vmcnt(0)
	v_sub_nc_u32_e32 v1, v4, v3
	v_lshlrev_b32_e32 v4, 3, v0
	s_delay_alu instid0(VALU_DEP_2)
	v_cmpx_ge_u32_e64 v12, v1
	s_xor_b32 s4, exec_lo, s4
	s_cbranch_execz .LBB153_26
; %bb.25:
	v_mov_b32_e32 v1, v2
                                        ; implicit-def: $vgpr11
                                        ; implicit-def: $vgpr5
                                        ; implicit-def: $vgpr9
                                        ; implicit-def: $vgpr6
                                        ; implicit-def: $vgpr10
	ds_store_b64 v4, v[1:2] offset:6144
                                        ; implicit-def: $vgpr3_vgpr4
                                        ; implicit-def: $vgpr4
.LBB153_26:
	s_and_not1_saveexec_b32 s4, s4
	s_cbranch_execz .LBB153_28
; %bb.27:
	v_dual_mov_b32 v2, 0 :: v_dual_add_nc_u32 v1, v3, v11
	s_delay_alu instid0(VALU_DEP_1) | instskip(NEXT) | instid1(VALU_DEP_1)
	v_lshlrev_b64 v[1:2], 2, v[1:2]
	v_add_co_u32 v11, vcc_lo, s6, v1
	s_delay_alu instid0(VALU_DEP_2)
	v_add_co_ci_u32_e32 v12, vcc_lo, s7, v2, vcc_lo
	v_add_co_u32 v1, vcc_lo, s8, v1
	v_add_co_ci_u32_e32 v2, vcc_lo, s9, v2, vcc_lo
	global_load_b32 v3, v[11:12], off
	s_waitcnt vmcnt(0)
	v_subrev_nc_u32_e32 v11, s12, v3
	global_load_b32 v3, v[1:2], off
	v_ashrrev_i32_e32 v12, 31, v11
	s_delay_alu instid0(VALU_DEP_1) | instskip(NEXT) | instid1(VALU_DEP_1)
	v_lshlrev_b64 v[11:12], 3, v[11:12]
	v_add_co_u32 v1, vcc_lo, s10, v11
	s_delay_alu instid0(VALU_DEP_2)
	v_add_co_ci_u32_e32 v2, vcc_lo, s11, v12, vcc_lo
	global_load_b64 v[1:2], v[1:2], off
	s_waitcnt vmcnt(1)
	v_fmac_f32_e32 v9, v5, v3
	v_fmac_f32_e32 v10, v6, v3
	s_waitcnt vmcnt(0)
	s_delay_alu instid0(VALU_DEP_1) | instskip(NEXT) | instid1(VALU_DEP_3)
	v_mul_f32_e64 v5, v2, -v10
	v_mul_f32_e32 v6, v9, v2
	s_delay_alu instid0(VALU_DEP_2) | instskip(NEXT) | instid1(VALU_DEP_2)
	v_fmac_f32_e32 v5, v9, v1
	v_fmac_f32_e32 v6, v10, v1
	ds_store_b64 v4, v[5:6] offset:6144
.LBB153_28:
	s_or_b32 exec_lo, exec_lo, s18
	s_cmp_lt_u32 s2, 11
	s_waitcnt lgkmcnt(0)
	s_barrier
	buffer_gl0_inv
	s_cbranch_scc0 .LBB153_37
; %bb.29:
	s_load_b64 s[4:5], s[0:1], 0x50
	v_cmp_neq_f32_e32 vcc_lo, 0, v7
	v_cmp_neq_f32_e64 s0, 0, v8
	v_mov_b32_e32 v2, 0
	s_sub_i32 s1, s15, s14
	s_add_i32 s13, s13, s14
	s_mov_b32 s6, 0
	s_or_b32 s0, vcc_lo, s0
	s_branch .LBB153_32
.LBB153_30:                             ;   in Loop: Header=BB153_32 Depth=1
	s_or_b32 exec_lo, exec_lo, s8
	s_delay_alu instid0(VALU_DEP_1) | instskip(NEXT) | instid1(VALU_DEP_2)
	v_add_co_u32 v5, vcc_lo, s4, v5
	v_add_co_ci_u32_e32 v6, vcc_lo, s5, v6, vcc_lo
	global_store_b64 v[5:6], v[3:4], off
.LBB153_31:                             ;   in Loop: Header=BB153_32 Depth=1
	s_or_b32 exec_lo, exec_lo, s7
	s_addk_i32 s6, 0x100
	s_delay_alu instid0(SALU_CYCLE_1)
	s_cmp_lt_u32 s6, s3
	s_cbranch_scc0 .LBB153_37
.LBB153_32:                             ; =>This Loop Header: Depth=1
                                        ;     Child Loop BB153_34 Depth 2
	v_add_nc_u32_e32 v3, s6, v0
	s_mov_b32 s7, exec_lo
	s_delay_alu instid0(VALU_DEP_1)
	v_cmpx_gt_u32_e64 s1, v3
	s_cbranch_execz .LBB153_31
; %bb.33:                               ;   in Loop: Header=BB153_32 Depth=1
	v_add_nc_u32_e32 v1, s13, v3
	s_mov_b32 s8, 1
	s_delay_alu instid0(VALU_DEP_1) | instskip(SKIP_1) | instid1(VALU_DEP_1)
	v_lshlrev_b64 v[4:5], 2, v[1:2]
	v_lshlrev_b32_e32 v1, s2, v3
	v_lshlrev_b32_e32 v1, 3, v1
	s_delay_alu instid0(VALU_DEP_3) | instskip(NEXT) | instid1(VALU_DEP_4)
	v_add_co_u32 v4, vcc_lo, s16, v4
	v_add_co_ci_u32_e32 v5, vcc_lo, s17, v5, vcc_lo
	global_load_b32 v5, v[4:5], off
	v_mov_b32_e32 v4, 0
	s_delay_alu instid0(VALU_DEP_1)
	v_mov_b32_e32 v3, v4
.LBB153_34:                             ;   Parent Loop BB153_32 Depth=1
                                        ; =>  This Inner Loop Header: Depth=2
	ds_load_b64 v[9:10], v1
	v_add_nc_u32_e32 v1, 8, v1
	s_lshr_b32 s9, s8, s2
	s_add_i32 s8, s8, 1
	s_cmp_lg_u32 s9, 0
	s_waitcnt lgkmcnt(0)
	v_dual_add_f32 v4, v4, v10 :: v_dual_add_f32 v3, v3, v9
	s_cbranch_scc0 .LBB153_34
; %bb.35:                               ;   in Loop: Header=BB153_32 Depth=1
	s_waitcnt vmcnt(0)
	v_ashrrev_i32_e32 v6, 31, v5
	s_delay_alu instid0(VALU_DEP_1)
	v_lshlrev_b64 v[5:6], 3, v[5:6]
	s_and_saveexec_b32 s8, s0
	s_cbranch_execz .LBB153_30
; %bb.36:                               ;   in Loop: Header=BB153_32 Depth=1
	s_delay_alu instid0(VALU_DEP_1) | instskip(NEXT) | instid1(VALU_DEP_2)
	v_add_co_u32 v9, vcc_lo, s4, v5
	v_add_co_ci_u32_e32 v10, vcc_lo, s5, v6, vcc_lo
	global_load_b64 v[9:10], v[9:10], off
	s_waitcnt vmcnt(0)
	v_fmac_f32_e32 v3, v7, v9
	v_fmac_f32_e32 v4, v8, v9
	s_delay_alu instid0(VALU_DEP_2) | instskip(NEXT) | instid1(VALU_DEP_2)
	v_fma_f32 v3, -v8, v10, v3
	v_fmac_f32_e32 v4, v7, v10
	s_branch .LBB153_30
.LBB153_37:
	s_nop 0
	s_sendmsg sendmsg(MSG_DEALLOC_VGPRS)
	s_endpgm
.LBB153_38:
	v_dual_mov_b32 v1, s4 :: v_dual_mov_b32 v2, s5
	flat_load_b32 v5, v[1:2]
	v_cndmask_b32_e64 v1, 0, 1, s6
	v_mov_b32_e32 v6, s5
	s_and_not1_b32 vcc_lo, exec_lo, s6
	s_cbranch_vccnz .LBB153_2
.LBB153_39:
	v_dual_mov_b32 v2, s4 :: v_dual_mov_b32 v3, s5
	flat_load_b32 v6, v[2:3] offset:4
	v_cmp_ne_u32_e32 vcc_lo, 1, v1
	v_mov_b32_e32 v7, s2
	s_cbranch_vccnz .LBB153_3
.LBB153_40:
	v_dual_mov_b32 v2, s2 :: v_dual_mov_b32 v3, s3
	flat_load_b32 v7, v[2:3]
	v_cmp_ne_u32_e32 vcc_lo, 1, v1
	v_mov_b32_e32 v8, s3
	s_cbranch_vccz .LBB153_4
	s_branch .LBB153_5
	.section	.rodata,"a",@progbits
	.p2align	6, 0x0
	.amdhsa_kernel _ZN9rocsparseL30csrmvn_lrb_short_rows_2_kernelIiif21rocsparse_complex_numIfES2_S2_EEvbT_PT0_S5_jNS_24const_host_device_scalarIT4_EEPKS3_PKS4_PKT1_PKT2_S8_PT3_21rocsparse_index_base_b
		.amdhsa_group_segment_fixed_size 8192
		.amdhsa_private_segment_fixed_size 0
		.amdhsa_kernarg_size 96
		.amdhsa_user_sgpr_count 15
		.amdhsa_user_sgpr_dispatch_ptr 0
		.amdhsa_user_sgpr_queue_ptr 0
		.amdhsa_user_sgpr_kernarg_segment_ptr 1
		.amdhsa_user_sgpr_dispatch_id 0
		.amdhsa_user_sgpr_private_segment_size 0
		.amdhsa_wavefront_size32 1
		.amdhsa_uses_dynamic_stack 0
		.amdhsa_enable_private_segment 0
		.amdhsa_system_sgpr_workgroup_id_x 1
		.amdhsa_system_sgpr_workgroup_id_y 0
		.amdhsa_system_sgpr_workgroup_id_z 0
		.amdhsa_system_sgpr_workgroup_info 0
		.amdhsa_system_vgpr_workitem_id 0
		.amdhsa_next_free_vgpr 15
		.amdhsa_next_free_sgpr 20
		.amdhsa_reserve_vcc 1
		.amdhsa_float_round_mode_32 0
		.amdhsa_float_round_mode_16_64 0
		.amdhsa_float_denorm_mode_32 3
		.amdhsa_float_denorm_mode_16_64 3
		.amdhsa_dx10_clamp 1
		.amdhsa_ieee_mode 1
		.amdhsa_fp16_overflow 0
		.amdhsa_workgroup_processor_mode 1
		.amdhsa_memory_ordered 1
		.amdhsa_forward_progress 0
		.amdhsa_shared_vgpr_count 0
		.amdhsa_exception_fp_ieee_invalid_op 0
		.amdhsa_exception_fp_denorm_src 0
		.amdhsa_exception_fp_ieee_div_zero 0
		.amdhsa_exception_fp_ieee_overflow 0
		.amdhsa_exception_fp_ieee_underflow 0
		.amdhsa_exception_fp_ieee_inexact 0
		.amdhsa_exception_int_div_zero 0
	.end_amdhsa_kernel
	.section	.text._ZN9rocsparseL30csrmvn_lrb_short_rows_2_kernelIiif21rocsparse_complex_numIfES2_S2_EEvbT_PT0_S5_jNS_24const_host_device_scalarIT4_EEPKS3_PKS4_PKT1_PKT2_S8_PT3_21rocsparse_index_base_b,"axG",@progbits,_ZN9rocsparseL30csrmvn_lrb_short_rows_2_kernelIiif21rocsparse_complex_numIfES2_S2_EEvbT_PT0_S5_jNS_24const_host_device_scalarIT4_EEPKS3_PKS4_PKT1_PKT2_S8_PT3_21rocsparse_index_base_b,comdat
.Lfunc_end153:
	.size	_ZN9rocsparseL30csrmvn_lrb_short_rows_2_kernelIiif21rocsparse_complex_numIfES2_S2_EEvbT_PT0_S5_jNS_24const_host_device_scalarIT4_EEPKS3_PKS4_PKT1_PKT2_S8_PT3_21rocsparse_index_base_b, .Lfunc_end153-_ZN9rocsparseL30csrmvn_lrb_short_rows_2_kernelIiif21rocsparse_complex_numIfES2_S2_EEvbT_PT0_S5_jNS_24const_host_device_scalarIT4_EEPKS3_PKS4_PKT1_PKT2_S8_PT3_21rocsparse_index_base_b
                                        ; -- End function
	.section	.AMDGPU.csdata,"",@progbits
; Kernel info:
; codeLenInByte = 2176
; NumSgprs: 22
; NumVgprs: 15
; ScratchSize: 0
; MemoryBound: 0
; FloatMode: 240
; IeeeMode: 1
; LDSByteSize: 8192 bytes/workgroup (compile time only)
; SGPRBlocks: 2
; VGPRBlocks: 1
; NumSGPRsForWavesPerEU: 22
; NumVGPRsForWavesPerEU: 15
; Occupancy: 16
; WaveLimiterHint : 1
; COMPUTE_PGM_RSRC2:SCRATCH_EN: 0
; COMPUTE_PGM_RSRC2:USER_SGPR: 15
; COMPUTE_PGM_RSRC2:TRAP_HANDLER: 0
; COMPUTE_PGM_RSRC2:TGID_X_EN: 1
; COMPUTE_PGM_RSRC2:TGID_Y_EN: 0
; COMPUTE_PGM_RSRC2:TGID_Z_EN: 0
; COMPUTE_PGM_RSRC2:TIDIG_COMP_CNT: 0
	.section	.text._ZN9rocsparseL41csrmvn_lrb_medium_rows_warp_reduce_kernelILj256ELj32Eiif21rocsparse_complex_numIfES2_S2_EEvbT1_lPT2_S5_jNS_24const_host_device_scalarIT6_EEPKS3_PKS4_PKT3_PKT4_S8_PT5_21rocsparse_index_base_b,"axG",@progbits,_ZN9rocsparseL41csrmvn_lrb_medium_rows_warp_reduce_kernelILj256ELj32Eiif21rocsparse_complex_numIfES2_S2_EEvbT1_lPT2_S5_jNS_24const_host_device_scalarIT6_EEPKS3_PKS4_PKT3_PKT4_S8_PT5_21rocsparse_index_base_b,comdat
	.globl	_ZN9rocsparseL41csrmvn_lrb_medium_rows_warp_reduce_kernelILj256ELj32Eiif21rocsparse_complex_numIfES2_S2_EEvbT1_lPT2_S5_jNS_24const_host_device_scalarIT6_EEPKS3_PKS4_PKT3_PKT4_S8_PT5_21rocsparse_index_base_b ; -- Begin function _ZN9rocsparseL41csrmvn_lrb_medium_rows_warp_reduce_kernelILj256ELj32Eiif21rocsparse_complex_numIfES2_S2_EEvbT1_lPT2_S5_jNS_24const_host_device_scalarIT6_EEPKS3_PKS4_PKT3_PKT4_S8_PT5_21rocsparse_index_base_b
	.p2align	8
	.type	_ZN9rocsparseL41csrmvn_lrb_medium_rows_warp_reduce_kernelILj256ELj32Eiif21rocsparse_complex_numIfES2_S2_EEvbT1_lPT2_S5_jNS_24const_host_device_scalarIT6_EEPKS3_PKS4_PKT3_PKT4_S8_PT5_21rocsparse_index_base_b,@function
_ZN9rocsparseL41csrmvn_lrb_medium_rows_warp_reduce_kernelILj256ELj32Eiif21rocsparse_complex_numIfES2_S2_EEvbT1_lPT2_S5_jNS_24const_host_device_scalarIT6_EEPKS3_PKS4_PKT3_PKT4_S8_PT5_21rocsparse_index_base_b: ; @_ZN9rocsparseL41csrmvn_lrb_medium_rows_warp_reduce_kernelILj256ELj32Eiif21rocsparse_complex_numIfES2_S2_EEvbT1_lPT2_S5_jNS_24const_host_device_scalarIT6_EEPKS3_PKS4_PKT3_PKT4_S8_PT5_21rocsparse_index_base_b
; %bb.0:
	s_clause 0x2
	s_load_b64 s[8:9], s[0:1], 0x60
	s_load_b64 s[4:5], s[0:1], 0x28
	;; [unrolled: 1-line block ×3, first 2 shown]
	s_waitcnt lgkmcnt(0)
	s_bitcmp1_b32 s9, 0
	v_mov_b32_e32 v7, s4
	s_cselect_b32 s6, -1, 0
	s_delay_alu instid0(SALU_CYCLE_1)
	s_and_b32 vcc_lo, exec_lo, s6
	s_xor_b32 s6, s6, -1
	s_cbranch_vccz .LBB154_18
; %bb.1:
	v_cndmask_b32_e64 v1, 0, 1, s6
	v_mov_b32_e32 v8, s5
	s_and_not1_b32 vcc_lo, exec_lo, s6
	s_cbranch_vccz .LBB154_19
.LBB154_2:
	s_delay_alu instid0(VALU_DEP_2)
	v_cmp_ne_u32_e32 vcc_lo, 1, v1
	v_mov_b32_e32 v5, s2
	s_cbranch_vccz .LBB154_20
.LBB154_3:
	v_cmp_ne_u32_e32 vcc_lo, 1, v1
	v_mov_b32_e32 v6, s3
	s_cbranch_vccnz .LBB154_5
.LBB154_4:
	v_dual_mov_b32 v1, s2 :: v_dual_mov_b32 v2, s3
	flat_load_b32 v6, v[1:2] offset:4
.LBB154_5:
	s_waitcnt vmcnt(0) lgkmcnt(0)
	v_cmp_eq_f32_e32 vcc_lo, 0, v7
	v_cmp_eq_f32_e64 s2, 0, v8
	s_delay_alu instid0(VALU_DEP_1)
	s_and_b32 s4, vcc_lo, s2
	s_mov_b32 s2, -1
	s_and_saveexec_b32 s3, s4
; %bb.6:
	v_cmp_neq_f32_e32 vcc_lo, 1.0, v5
	v_cmp_neq_f32_e64 s2, 0, v6
	s_delay_alu instid0(VALU_DEP_1) | instskip(NEXT) | instid1(SALU_CYCLE_1)
	s_or_b32 s2, vcc_lo, s2
	s_or_not1_b32 s2, s2, exec_lo
; %bb.7:
	s_or_b32 exec_lo, exec_lo, s3
	s_and_saveexec_b32 s3, s2
	s_cbranch_execz .LBB154_17
; %bb.8:
	s_load_b64 s[2:3], s[0:1], 0x8
	v_lshrrev_b32_e32 v1, 5, v0
	s_delay_alu instid0(VALU_DEP_1) | instskip(NEXT) | instid1(VALU_DEP_1)
	v_lshl_or_b32 v1, s15, 3, v1
	v_ashrrev_i32_e32 v2, 31, v1
	s_waitcnt lgkmcnt(0)
	s_delay_alu instid0(VALU_DEP_1)
	v_cmp_gt_i64_e32 vcc_lo, s[2:3], v[1:2]
	s_and_b32 exec_lo, exec_lo, vcc_lo
	s_cbranch_execz .LBB154_17
; %bb.9:
	s_clause 0x1
	s_load_b32 s10, s[0:1], 0x20
	s_load_b128 s[4:7], s[0:1], 0x10
	s_mov_b32 s11, 0
	v_and_b32_e32 v0, 31, v0
	s_mov_b32 s9, exec_lo
	v_mov_b32_e32 v10, 0
	s_delay_alu instid0(VALU_DEP_2) | instskip(SKIP_2) | instid1(SALU_CYCLE_1)
	v_subrev_nc_u32_e32 v9, s8, v0
	s_waitcnt lgkmcnt(0)
	s_lshl_b64 s[2:3], s[10:11], 2
	s_add_u32 s2, s6, s2
	s_addc_u32 s3, s7, s3
	s_load_b32 s2, s[2:3], 0x0
	s_waitcnt lgkmcnt(0)
	v_add_nc_u32_e32 v1, s2, v1
	s_load_b64 s[2:3], s[0:1], 0x30
	s_delay_alu instid0(VALU_DEP_1) | instskip(NEXT) | instid1(VALU_DEP_1)
	v_ashrrev_i32_e32 v2, 31, v1
	v_lshlrev_b64 v[1:2], 2, v[1:2]
	s_delay_alu instid0(VALU_DEP_1) | instskip(NEXT) | instid1(VALU_DEP_2)
	v_add_co_u32 v1, vcc_lo, s4, v1
	v_add_co_ci_u32_e32 v2, vcc_lo, s5, v2, vcc_lo
	global_load_b32 v1, v[1:2], off
	s_waitcnt vmcnt(0)
	v_ashrrev_i32_e32 v2, 31, v1
	s_delay_alu instid0(VALU_DEP_1) | instskip(SKIP_1) | instid1(VALU_DEP_1)
	v_lshlrev_b64 v[3:4], 2, v[1:2]
	s_waitcnt lgkmcnt(0)
	v_add_co_u32 v3, vcc_lo, s2, v3
	s_delay_alu instid0(VALU_DEP_2)
	v_add_co_ci_u32_e32 v4, vcc_lo, s3, v4, vcc_lo
	s_load_b64 s[2:3], s[0:1], 0x58
	global_load_b64 v[3:4], v[3:4], off
	s_waitcnt vmcnt(0)
	v_subrev_nc_u32_e32 v11, s8, v4
	v_add_nc_u32_e32 v3, v3, v9
	v_mov_b32_e32 v9, 0
	s_delay_alu instid0(VALU_DEP_2)
	v_cmpx_lt_i32_e64 v3, v11
	s_cbranch_execz .LBB154_13
; %bb.10:
	s_clause 0x1
	s_load_b128 s[4:7], s[0:1], 0x38
	s_load_b64 s[0:1], s[0:1], 0x48
	v_dual_mul_f32 v12, 0x80000000, v8 :: v_dual_mul_f32 v13, 0, v7
	v_dual_mov_b32 v9, 0 :: v_dual_mov_b32 v10, 0
	s_set_inst_prefetch_distance 0x1
	.p2align	6
.LBB154_11:                             ; =>This Inner Loop Header: Depth=1
	v_ashrrev_i32_e32 v4, 31, v3
	s_delay_alu instid0(VALU_DEP_1) | instskip(SKIP_1) | instid1(VALU_DEP_1)
	v_lshlrev_b64 v[14:15], 2, v[3:4]
	s_waitcnt lgkmcnt(0)
	v_add_co_u32 v16, vcc_lo, s4, v14
	s_delay_alu instid0(VALU_DEP_2)
	v_add_co_ci_u32_e32 v17, vcc_lo, s5, v15, vcc_lo
	v_add_co_u32 v14, vcc_lo, s6, v14
	v_add_co_ci_u32_e32 v15, vcc_lo, s7, v15, vcc_lo
	global_load_b32 v4, v[16:17], off
	s_waitcnt vmcnt(0)
	v_subrev_nc_u32_e32 v16, s8, v4
	global_load_b32 v4, v[14:15], off
	v_ashrrev_i32_e32 v17, 31, v16
	s_delay_alu instid0(VALU_DEP_1) | instskip(NEXT) | instid1(VALU_DEP_1)
	v_lshlrev_b64 v[16:17], 3, v[16:17]
	v_add_co_u32 v14, vcc_lo, s0, v16
	s_delay_alu instid0(VALU_DEP_2)
	v_add_co_ci_u32_e32 v15, vcc_lo, s1, v17, vcc_lo
	global_load_b64 v[14:15], v[14:15], off
	s_waitcnt vmcnt(1)
	v_fma_f32 v16, v7, v4, v12
	v_fma_f32 v4, v8, v4, v13
	s_waitcnt vmcnt(0)
	s_delay_alu instid0(VALU_DEP_2) | instskip(NEXT) | instid1(VALU_DEP_2)
	v_dual_fmac_f32 v10, v16, v14 :: v_dual_add_nc_u32 v3, 32, v3
	v_fmac_f32_e32 v9, v4, v14
	s_delay_alu instid0(VALU_DEP_2) | instskip(NEXT) | instid1(VALU_DEP_3)
	v_cmp_ge_i32_e32 vcc_lo, v3, v11
	v_fma_f32 v10, -v4, v15, v10
	s_delay_alu instid0(VALU_DEP_3) | instskip(SKIP_1) | instid1(SALU_CYCLE_1)
	v_fmac_f32_e32 v9, v16, v15
	s_or_b32 s11, vcc_lo, s11
	s_and_not1_b32 exec_lo, exec_lo, s11
	s_cbranch_execnz .LBB154_11
; %bb.12:
	s_set_inst_prefetch_distance 0x2
	s_or_b32 exec_lo, exec_lo, s11
.LBB154_13:
	s_delay_alu instid0(SALU_CYCLE_1) | instskip(SKIP_1) | instid1(VALU_DEP_1)
	s_or_b32 exec_lo, exec_lo, s9
	v_mbcnt_lo_u32_b32 v3, -1, 0
	v_xor_b32_e32 v4, 16, v3
	v_xor_b32_e32 v8, 8, v3
	s_delay_alu instid0(VALU_DEP_2) | instskip(SKIP_1) | instid1(VALU_DEP_3)
	v_cmp_gt_i32_e32 vcc_lo, 32, v4
	v_cndmask_b32_e32 v4, v3, v4, vcc_lo
	v_cmp_gt_i32_e32 vcc_lo, 32, v8
	s_delay_alu instid0(VALU_DEP_2)
	v_lshlrev_b32_e32 v4, 2, v4
	v_cndmask_b32_e32 v8, v3, v8, vcc_lo
	ds_bpermute_b32 v7, v4, v10
	ds_bpermute_b32 v4, v4, v9
	s_waitcnt lgkmcnt(0)
	v_dual_add_f32 v7, v10, v7 :: v_dual_lshlrev_b32 v8, 2, v8
	v_add_f32_e32 v4, v9, v4
	v_xor_b32_e32 v10, 4, v3
	ds_bpermute_b32 v9, v8, v7
	ds_bpermute_b32 v8, v8, v4
	v_cmp_gt_i32_e32 vcc_lo, 32, v10
	v_cndmask_b32_e32 v10, v3, v10, vcc_lo
	s_waitcnt lgkmcnt(1)
	s_delay_alu instid0(VALU_DEP_1)
	v_dual_add_f32 v7, v7, v9 :: v_dual_lshlrev_b32 v10, 2, v10
	s_waitcnt lgkmcnt(0)
	v_add_f32_e32 v4, v4, v8
	ds_bpermute_b32 v8, v10, v7
	s_waitcnt lgkmcnt(0)
	v_add_f32_e32 v7, v7, v8
	ds_bpermute_b32 v9, v10, v4
	v_xor_b32_e32 v10, 2, v3
	s_delay_alu instid0(VALU_DEP_1) | instskip(SKIP_1) | instid1(VALU_DEP_1)
	v_cmp_gt_i32_e32 vcc_lo, 32, v10
	v_cndmask_b32_e32 v10, v3, v10, vcc_lo
	v_lshlrev_b32_e32 v10, 2, v10
	s_waitcnt lgkmcnt(0)
	v_add_f32_e32 v4, v4, v9
	ds_bpermute_b32 v8, v10, v7
	ds_bpermute_b32 v9, v10, v4
	v_xor_b32_e32 v10, 1, v3
	s_delay_alu instid0(VALU_DEP_1) | instskip(SKIP_3) | instid1(VALU_DEP_2)
	v_cmp_gt_i32_e32 vcc_lo, 32, v10
	v_cndmask_b32_e32 v3, v3, v10, vcc_lo
	v_cmp_eq_u32_e32 vcc_lo, 31, v0
	s_waitcnt lgkmcnt(1)
	v_dual_add_f32 v3, v7, v8 :: v_dual_lshlrev_b32 v10, 2, v3
	s_waitcnt lgkmcnt(0)
	v_add_f32_e32 v4, v4, v9
	ds_bpermute_b32 v8, v10, v3
	ds_bpermute_b32 v7, v10, v4
	s_and_b32 exec_lo, exec_lo, vcc_lo
	s_cbranch_execz .LBB154_17
; %bb.14:
	v_cmp_neq_f32_e32 vcc_lo, 0, v5
	v_cmp_neq_f32_e64 s0, 0, v6
	s_waitcnt lgkmcnt(1)
	v_add_f32_e32 v0, v3, v8
	v_lshlrev_b64 v[2:3], 3, v[1:2]
	s_waitcnt lgkmcnt(0)
	v_add_f32_e32 v1, v4, v7
	s_or_b32 s1, vcc_lo, s0
	s_delay_alu instid0(SALU_CYCLE_1)
	s_and_saveexec_b32 s0, s1
	s_cbranch_execz .LBB154_16
; %bb.15:
	v_add_co_u32 v7, vcc_lo, s2, v2
	v_add_co_ci_u32_e32 v8, vcc_lo, s3, v3, vcc_lo
	global_load_b64 v[7:8], v[7:8], off
	s_waitcnt vmcnt(0)
	v_fmac_f32_e32 v0, v5, v7
	v_fmac_f32_e32 v1, v6, v7
	s_delay_alu instid0(VALU_DEP_2) | instskip(NEXT) | instid1(VALU_DEP_2)
	v_fma_f32 v0, -v6, v8, v0
	v_fmac_f32_e32 v1, v5, v8
.LBB154_16:
	s_or_b32 exec_lo, exec_lo, s0
	v_add_co_u32 v2, vcc_lo, s2, v2
	v_add_co_ci_u32_e32 v3, vcc_lo, s3, v3, vcc_lo
	global_store_b64 v[2:3], v[0:1], off
.LBB154_17:
	s_nop 0
	s_sendmsg sendmsg(MSG_DEALLOC_VGPRS)
	s_endpgm
.LBB154_18:
	v_dual_mov_b32 v1, s4 :: v_dual_mov_b32 v2, s5
	flat_load_b32 v7, v[1:2]
	v_cndmask_b32_e64 v1, 0, 1, s6
	v_mov_b32_e32 v8, s5
	s_and_not1_b32 vcc_lo, exec_lo, s6
	s_cbranch_vccnz .LBB154_2
.LBB154_19:
	v_dual_mov_b32 v2, s4 :: v_dual_mov_b32 v3, s5
	flat_load_b32 v8, v[2:3] offset:4
	v_cmp_ne_u32_e32 vcc_lo, 1, v1
	v_mov_b32_e32 v5, s2
	s_cbranch_vccnz .LBB154_3
.LBB154_20:
	v_dual_mov_b32 v2, s2 :: v_dual_mov_b32 v3, s3
	flat_load_b32 v5, v[2:3]
	v_cmp_ne_u32_e32 vcc_lo, 1, v1
	v_mov_b32_e32 v6, s3
	s_cbranch_vccz .LBB154_4
	s_branch .LBB154_5
	.section	.rodata,"a",@progbits
	.p2align	6, 0x0
	.amdhsa_kernel _ZN9rocsparseL41csrmvn_lrb_medium_rows_warp_reduce_kernelILj256ELj32Eiif21rocsparse_complex_numIfES2_S2_EEvbT1_lPT2_S5_jNS_24const_host_device_scalarIT6_EEPKS3_PKS4_PKT3_PKT4_S8_PT5_21rocsparse_index_base_b
		.amdhsa_group_segment_fixed_size 0
		.amdhsa_private_segment_fixed_size 0
		.amdhsa_kernarg_size 104
		.amdhsa_user_sgpr_count 15
		.amdhsa_user_sgpr_dispatch_ptr 0
		.amdhsa_user_sgpr_queue_ptr 0
		.amdhsa_user_sgpr_kernarg_segment_ptr 1
		.amdhsa_user_sgpr_dispatch_id 0
		.amdhsa_user_sgpr_private_segment_size 0
		.amdhsa_wavefront_size32 1
		.amdhsa_uses_dynamic_stack 0
		.amdhsa_enable_private_segment 0
		.amdhsa_system_sgpr_workgroup_id_x 1
		.amdhsa_system_sgpr_workgroup_id_y 0
		.amdhsa_system_sgpr_workgroup_id_z 0
		.amdhsa_system_sgpr_workgroup_info 0
		.amdhsa_system_vgpr_workitem_id 0
		.amdhsa_next_free_vgpr 18
		.amdhsa_next_free_sgpr 16
		.amdhsa_reserve_vcc 1
		.amdhsa_float_round_mode_32 0
		.amdhsa_float_round_mode_16_64 0
		.amdhsa_float_denorm_mode_32 3
		.amdhsa_float_denorm_mode_16_64 3
		.amdhsa_dx10_clamp 1
		.amdhsa_ieee_mode 1
		.amdhsa_fp16_overflow 0
		.amdhsa_workgroup_processor_mode 1
		.amdhsa_memory_ordered 1
		.amdhsa_forward_progress 0
		.amdhsa_shared_vgpr_count 0
		.amdhsa_exception_fp_ieee_invalid_op 0
		.amdhsa_exception_fp_denorm_src 0
		.amdhsa_exception_fp_ieee_div_zero 0
		.amdhsa_exception_fp_ieee_overflow 0
		.amdhsa_exception_fp_ieee_underflow 0
		.amdhsa_exception_fp_ieee_inexact 0
		.amdhsa_exception_int_div_zero 0
	.end_amdhsa_kernel
	.section	.text._ZN9rocsparseL41csrmvn_lrb_medium_rows_warp_reduce_kernelILj256ELj32Eiif21rocsparse_complex_numIfES2_S2_EEvbT1_lPT2_S5_jNS_24const_host_device_scalarIT6_EEPKS3_PKS4_PKT3_PKT4_S8_PT5_21rocsparse_index_base_b,"axG",@progbits,_ZN9rocsparseL41csrmvn_lrb_medium_rows_warp_reduce_kernelILj256ELj32Eiif21rocsparse_complex_numIfES2_S2_EEvbT1_lPT2_S5_jNS_24const_host_device_scalarIT6_EEPKS3_PKS4_PKT3_PKT4_S8_PT5_21rocsparse_index_base_b,comdat
.Lfunc_end154:
	.size	_ZN9rocsparseL41csrmvn_lrb_medium_rows_warp_reduce_kernelILj256ELj32Eiif21rocsparse_complex_numIfES2_S2_EEvbT1_lPT2_S5_jNS_24const_host_device_scalarIT6_EEPKS3_PKS4_PKT3_PKT4_S8_PT5_21rocsparse_index_base_b, .Lfunc_end154-_ZN9rocsparseL41csrmvn_lrb_medium_rows_warp_reduce_kernelILj256ELj32Eiif21rocsparse_complex_numIfES2_S2_EEvbT1_lPT2_S5_jNS_24const_host_device_scalarIT6_EEPKS3_PKS4_PKT3_PKT4_S8_PT5_21rocsparse_index_base_b
                                        ; -- End function
	.section	.AMDGPU.csdata,"",@progbits
; Kernel info:
; codeLenInByte = 1192
; NumSgprs: 18
; NumVgprs: 18
; ScratchSize: 0
; MemoryBound: 0
; FloatMode: 240
; IeeeMode: 1
; LDSByteSize: 0 bytes/workgroup (compile time only)
; SGPRBlocks: 2
; VGPRBlocks: 2
; NumSGPRsForWavesPerEU: 18
; NumVGPRsForWavesPerEU: 18
; Occupancy: 16
; WaveLimiterHint : 1
; COMPUTE_PGM_RSRC2:SCRATCH_EN: 0
; COMPUTE_PGM_RSRC2:USER_SGPR: 15
; COMPUTE_PGM_RSRC2:TRAP_HANDLER: 0
; COMPUTE_PGM_RSRC2:TGID_X_EN: 1
; COMPUTE_PGM_RSRC2:TGID_Y_EN: 0
; COMPUTE_PGM_RSRC2:TGID_Z_EN: 0
; COMPUTE_PGM_RSRC2:TIDIG_COMP_CNT: 0
	.section	.text._ZN9rocsparseL41csrmvn_lrb_medium_rows_warp_reduce_kernelILj256ELj64Eiif21rocsparse_complex_numIfES2_S2_EEvbT1_lPT2_S5_jNS_24const_host_device_scalarIT6_EEPKS3_PKS4_PKT3_PKT4_S8_PT5_21rocsparse_index_base_b,"axG",@progbits,_ZN9rocsparseL41csrmvn_lrb_medium_rows_warp_reduce_kernelILj256ELj64Eiif21rocsparse_complex_numIfES2_S2_EEvbT1_lPT2_S5_jNS_24const_host_device_scalarIT6_EEPKS3_PKS4_PKT3_PKT4_S8_PT5_21rocsparse_index_base_b,comdat
	.globl	_ZN9rocsparseL41csrmvn_lrb_medium_rows_warp_reduce_kernelILj256ELj64Eiif21rocsparse_complex_numIfES2_S2_EEvbT1_lPT2_S5_jNS_24const_host_device_scalarIT6_EEPKS3_PKS4_PKT3_PKT4_S8_PT5_21rocsparse_index_base_b ; -- Begin function _ZN9rocsparseL41csrmvn_lrb_medium_rows_warp_reduce_kernelILj256ELj64Eiif21rocsparse_complex_numIfES2_S2_EEvbT1_lPT2_S5_jNS_24const_host_device_scalarIT6_EEPKS3_PKS4_PKT3_PKT4_S8_PT5_21rocsparse_index_base_b
	.p2align	8
	.type	_ZN9rocsparseL41csrmvn_lrb_medium_rows_warp_reduce_kernelILj256ELj64Eiif21rocsparse_complex_numIfES2_S2_EEvbT1_lPT2_S5_jNS_24const_host_device_scalarIT6_EEPKS3_PKS4_PKT3_PKT4_S8_PT5_21rocsparse_index_base_b,@function
_ZN9rocsparseL41csrmvn_lrb_medium_rows_warp_reduce_kernelILj256ELj64Eiif21rocsparse_complex_numIfES2_S2_EEvbT1_lPT2_S5_jNS_24const_host_device_scalarIT6_EEPKS3_PKS4_PKT3_PKT4_S8_PT5_21rocsparse_index_base_b: ; @_ZN9rocsparseL41csrmvn_lrb_medium_rows_warp_reduce_kernelILj256ELj64Eiif21rocsparse_complex_numIfES2_S2_EEvbT1_lPT2_S5_jNS_24const_host_device_scalarIT6_EEPKS3_PKS4_PKT3_PKT4_S8_PT5_21rocsparse_index_base_b
; %bb.0:
	s_clause 0x2
	s_load_b64 s[8:9], s[0:1], 0x60
	s_load_b64 s[4:5], s[0:1], 0x28
	;; [unrolled: 1-line block ×3, first 2 shown]
	s_waitcnt lgkmcnt(0)
	s_bitcmp1_b32 s9, 0
	v_mov_b32_e32 v7, s4
	s_cselect_b32 s6, -1, 0
	s_delay_alu instid0(SALU_CYCLE_1)
	s_and_b32 vcc_lo, exec_lo, s6
	s_xor_b32 s6, s6, -1
	s_cbranch_vccz .LBB155_18
; %bb.1:
	v_cndmask_b32_e64 v1, 0, 1, s6
	v_mov_b32_e32 v8, s5
	s_and_not1_b32 vcc_lo, exec_lo, s6
	s_cbranch_vccz .LBB155_19
.LBB155_2:
	s_delay_alu instid0(VALU_DEP_2)
	v_cmp_ne_u32_e32 vcc_lo, 1, v1
	v_mov_b32_e32 v5, s2
	s_cbranch_vccz .LBB155_20
.LBB155_3:
	v_cmp_ne_u32_e32 vcc_lo, 1, v1
	v_mov_b32_e32 v6, s3
	s_cbranch_vccnz .LBB155_5
.LBB155_4:
	v_dual_mov_b32 v1, s2 :: v_dual_mov_b32 v2, s3
	flat_load_b32 v6, v[1:2] offset:4
.LBB155_5:
	s_waitcnt vmcnt(0) lgkmcnt(0)
	v_cmp_eq_f32_e32 vcc_lo, 0, v7
	v_cmp_eq_f32_e64 s2, 0, v8
	s_delay_alu instid0(VALU_DEP_1)
	s_and_b32 s4, vcc_lo, s2
	s_mov_b32 s2, -1
	s_and_saveexec_b32 s3, s4
; %bb.6:
	v_cmp_neq_f32_e32 vcc_lo, 1.0, v5
	v_cmp_neq_f32_e64 s2, 0, v6
	s_delay_alu instid0(VALU_DEP_1) | instskip(NEXT) | instid1(SALU_CYCLE_1)
	s_or_b32 s2, vcc_lo, s2
	s_or_not1_b32 s2, s2, exec_lo
; %bb.7:
	s_or_b32 exec_lo, exec_lo, s3
	s_and_saveexec_b32 s3, s2
	s_cbranch_execz .LBB155_17
; %bb.8:
	s_load_b64 s[2:3], s[0:1], 0x8
	v_lshrrev_b32_e32 v1, 6, v0
	s_delay_alu instid0(VALU_DEP_1) | instskip(NEXT) | instid1(VALU_DEP_1)
	v_lshl_or_b32 v1, s15, 2, v1
	v_ashrrev_i32_e32 v2, 31, v1
	s_waitcnt lgkmcnt(0)
	s_delay_alu instid0(VALU_DEP_1)
	v_cmp_gt_i64_e32 vcc_lo, s[2:3], v[1:2]
	s_and_b32 exec_lo, exec_lo, vcc_lo
	s_cbranch_execz .LBB155_17
; %bb.9:
	s_clause 0x1
	s_load_b32 s10, s[0:1], 0x20
	s_load_b128 s[4:7], s[0:1], 0x10
	s_mov_b32 s11, 0
	v_and_b32_e32 v0, 63, v0
	s_mov_b32 s9, exec_lo
	v_mov_b32_e32 v10, 0
	s_delay_alu instid0(VALU_DEP_2) | instskip(SKIP_2) | instid1(SALU_CYCLE_1)
	v_subrev_nc_u32_e32 v9, s8, v0
	s_waitcnt lgkmcnt(0)
	s_lshl_b64 s[2:3], s[10:11], 2
	s_add_u32 s2, s6, s2
	s_addc_u32 s3, s7, s3
	s_load_b32 s2, s[2:3], 0x0
	s_waitcnt lgkmcnt(0)
	v_add_nc_u32_e32 v1, s2, v1
	s_load_b64 s[2:3], s[0:1], 0x30
	s_delay_alu instid0(VALU_DEP_1) | instskip(NEXT) | instid1(VALU_DEP_1)
	v_ashrrev_i32_e32 v2, 31, v1
	v_lshlrev_b64 v[1:2], 2, v[1:2]
	s_delay_alu instid0(VALU_DEP_1) | instskip(NEXT) | instid1(VALU_DEP_2)
	v_add_co_u32 v1, vcc_lo, s4, v1
	v_add_co_ci_u32_e32 v2, vcc_lo, s5, v2, vcc_lo
	global_load_b32 v1, v[1:2], off
	s_waitcnt vmcnt(0)
	v_ashrrev_i32_e32 v2, 31, v1
	s_delay_alu instid0(VALU_DEP_1) | instskip(SKIP_1) | instid1(VALU_DEP_1)
	v_lshlrev_b64 v[3:4], 2, v[1:2]
	s_waitcnt lgkmcnt(0)
	v_add_co_u32 v3, vcc_lo, s2, v3
	s_delay_alu instid0(VALU_DEP_2)
	v_add_co_ci_u32_e32 v4, vcc_lo, s3, v4, vcc_lo
	s_load_b64 s[2:3], s[0:1], 0x58
	global_load_b64 v[3:4], v[3:4], off
	s_waitcnt vmcnt(0)
	v_subrev_nc_u32_e32 v11, s8, v4
	v_add_nc_u32_e32 v3, v3, v9
	v_mov_b32_e32 v9, 0
	s_delay_alu instid0(VALU_DEP_2)
	v_cmpx_lt_i32_e64 v3, v11
	s_cbranch_execz .LBB155_13
; %bb.10:
	s_clause 0x1
	s_load_b128 s[4:7], s[0:1], 0x38
	s_load_b64 s[0:1], s[0:1], 0x48
	v_dual_mul_f32 v12, 0x80000000, v8 :: v_dual_mul_f32 v13, 0, v7
	v_dual_mov_b32 v9, 0 :: v_dual_mov_b32 v10, 0
	s_set_inst_prefetch_distance 0x1
	.p2align	6
.LBB155_11:                             ; =>This Inner Loop Header: Depth=1
	v_ashrrev_i32_e32 v4, 31, v3
	s_delay_alu instid0(VALU_DEP_1) | instskip(SKIP_1) | instid1(VALU_DEP_1)
	v_lshlrev_b64 v[14:15], 2, v[3:4]
	s_waitcnt lgkmcnt(0)
	v_add_co_u32 v16, vcc_lo, s4, v14
	s_delay_alu instid0(VALU_DEP_2)
	v_add_co_ci_u32_e32 v17, vcc_lo, s5, v15, vcc_lo
	v_add_co_u32 v14, vcc_lo, s6, v14
	v_add_co_ci_u32_e32 v15, vcc_lo, s7, v15, vcc_lo
	global_load_b32 v4, v[16:17], off
	s_waitcnt vmcnt(0)
	v_subrev_nc_u32_e32 v16, s8, v4
	global_load_b32 v4, v[14:15], off
	v_ashrrev_i32_e32 v17, 31, v16
	s_delay_alu instid0(VALU_DEP_1) | instskip(NEXT) | instid1(VALU_DEP_1)
	v_lshlrev_b64 v[16:17], 3, v[16:17]
	v_add_co_u32 v14, vcc_lo, s0, v16
	s_delay_alu instid0(VALU_DEP_2)
	v_add_co_ci_u32_e32 v15, vcc_lo, s1, v17, vcc_lo
	global_load_b64 v[14:15], v[14:15], off
	s_waitcnt vmcnt(1)
	v_fma_f32 v16, v7, v4, v12
	v_fma_f32 v4, v8, v4, v13
	s_waitcnt vmcnt(0)
	s_delay_alu instid0(VALU_DEP_2) | instskip(NEXT) | instid1(VALU_DEP_2)
	v_dual_fmac_f32 v10, v16, v14 :: v_dual_add_nc_u32 v3, 64, v3
	v_fmac_f32_e32 v9, v4, v14
	s_delay_alu instid0(VALU_DEP_2) | instskip(NEXT) | instid1(VALU_DEP_3)
	v_cmp_ge_i32_e32 vcc_lo, v3, v11
	v_fma_f32 v10, -v4, v15, v10
	s_delay_alu instid0(VALU_DEP_3) | instskip(SKIP_1) | instid1(SALU_CYCLE_1)
	v_fmac_f32_e32 v9, v16, v15
	s_or_b32 s11, vcc_lo, s11
	s_and_not1_b32 exec_lo, exec_lo, s11
	s_cbranch_execnz .LBB155_11
; %bb.12:
	s_set_inst_prefetch_distance 0x2
	s_or_b32 exec_lo, exec_lo, s11
.LBB155_13:
	s_delay_alu instid0(SALU_CYCLE_1) | instskip(SKIP_1) | instid1(VALU_DEP_1)
	s_or_b32 exec_lo, exec_lo, s9
	v_mbcnt_lo_u32_b32 v3, -1, 0
	v_or_b32_e32 v4, 32, v3
	v_xor_b32_e32 v8, 16, v3
	s_delay_alu instid0(VALU_DEP_2) | instskip(SKIP_1) | instid1(VALU_DEP_3)
	v_cmp_gt_i32_e32 vcc_lo, 32, v4
	v_cndmask_b32_e32 v4, v3, v4, vcc_lo
	v_cmp_gt_i32_e32 vcc_lo, 32, v8
	s_delay_alu instid0(VALU_DEP_2)
	v_lshlrev_b32_e32 v4, 2, v4
	v_cndmask_b32_e32 v8, v3, v8, vcc_lo
	ds_bpermute_b32 v7, v4, v10
	ds_bpermute_b32 v4, v4, v9
	s_waitcnt lgkmcnt(0)
	v_dual_add_f32 v7, v10, v7 :: v_dual_lshlrev_b32 v8, 2, v8
	v_add_f32_e32 v4, v9, v4
	v_xor_b32_e32 v10, 8, v3
	ds_bpermute_b32 v9, v8, v7
	ds_bpermute_b32 v8, v8, v4
	v_cmp_gt_i32_e32 vcc_lo, 32, v10
	v_cndmask_b32_e32 v10, v3, v10, vcc_lo
	s_waitcnt lgkmcnt(1)
	s_delay_alu instid0(VALU_DEP_1)
	v_dual_add_f32 v7, v7, v9 :: v_dual_lshlrev_b32 v10, 2, v10
	s_waitcnt lgkmcnt(0)
	v_add_f32_e32 v4, v4, v8
	ds_bpermute_b32 v8, v10, v7
	s_waitcnt lgkmcnt(0)
	v_add_f32_e32 v7, v7, v8
	ds_bpermute_b32 v9, v10, v4
	v_xor_b32_e32 v10, 4, v3
	s_delay_alu instid0(VALU_DEP_1) | instskip(SKIP_1) | instid1(VALU_DEP_1)
	v_cmp_gt_i32_e32 vcc_lo, 32, v10
	v_cndmask_b32_e32 v10, v3, v10, vcc_lo
	v_lshlrev_b32_e32 v10, 2, v10
	ds_bpermute_b32 v8, v10, v7
	s_waitcnt lgkmcnt(0)
	v_dual_add_f32 v7, v7, v8 :: v_dual_add_f32 v4, v4, v9
	ds_bpermute_b32 v9, v10, v4
	v_xor_b32_e32 v10, 2, v3
	s_delay_alu instid0(VALU_DEP_1) | instskip(SKIP_1) | instid1(VALU_DEP_1)
	v_cmp_gt_i32_e32 vcc_lo, 32, v10
	v_cndmask_b32_e32 v10, v3, v10, vcc_lo
	v_lshlrev_b32_e32 v10, 2, v10
	s_waitcnt lgkmcnt(0)
	v_add_f32_e32 v4, v4, v9
	ds_bpermute_b32 v8, v10, v7
	ds_bpermute_b32 v9, v10, v4
	v_xor_b32_e32 v10, 1, v3
	s_delay_alu instid0(VALU_DEP_1) | instskip(SKIP_3) | instid1(VALU_DEP_2)
	v_cmp_gt_i32_e32 vcc_lo, 32, v10
	v_cndmask_b32_e32 v3, v3, v10, vcc_lo
	v_cmp_eq_u32_e32 vcc_lo, 63, v0
	s_waitcnt lgkmcnt(1)
	v_dual_add_f32 v3, v7, v8 :: v_dual_lshlrev_b32 v10, 2, v3
	s_waitcnt lgkmcnt(0)
	v_add_f32_e32 v4, v4, v9
	ds_bpermute_b32 v8, v10, v3
	ds_bpermute_b32 v7, v10, v4
	s_and_b32 exec_lo, exec_lo, vcc_lo
	s_cbranch_execz .LBB155_17
; %bb.14:
	v_cmp_neq_f32_e32 vcc_lo, 0, v5
	v_cmp_neq_f32_e64 s0, 0, v6
	s_waitcnt lgkmcnt(1)
	v_add_f32_e32 v0, v3, v8
	v_lshlrev_b64 v[2:3], 3, v[1:2]
	s_waitcnt lgkmcnt(0)
	v_add_f32_e32 v1, v4, v7
	s_or_b32 s1, vcc_lo, s0
	s_delay_alu instid0(SALU_CYCLE_1)
	s_and_saveexec_b32 s0, s1
	s_cbranch_execz .LBB155_16
; %bb.15:
	v_add_co_u32 v7, vcc_lo, s2, v2
	v_add_co_ci_u32_e32 v8, vcc_lo, s3, v3, vcc_lo
	global_load_b64 v[7:8], v[7:8], off
	s_waitcnt vmcnt(0)
	v_fmac_f32_e32 v0, v5, v7
	v_fmac_f32_e32 v1, v6, v7
	s_delay_alu instid0(VALU_DEP_2) | instskip(NEXT) | instid1(VALU_DEP_2)
	v_fma_f32 v0, -v6, v8, v0
	v_fmac_f32_e32 v1, v5, v8
.LBB155_16:
	s_or_b32 exec_lo, exec_lo, s0
	v_add_co_u32 v2, vcc_lo, s2, v2
	v_add_co_ci_u32_e32 v3, vcc_lo, s3, v3, vcc_lo
	global_store_b64 v[2:3], v[0:1], off
.LBB155_17:
	s_nop 0
	s_sendmsg sendmsg(MSG_DEALLOC_VGPRS)
	s_endpgm
.LBB155_18:
	v_dual_mov_b32 v1, s4 :: v_dual_mov_b32 v2, s5
	flat_load_b32 v7, v[1:2]
	v_cndmask_b32_e64 v1, 0, 1, s6
	v_mov_b32_e32 v8, s5
	s_and_not1_b32 vcc_lo, exec_lo, s6
	s_cbranch_vccnz .LBB155_2
.LBB155_19:
	v_dual_mov_b32 v2, s4 :: v_dual_mov_b32 v3, s5
	flat_load_b32 v8, v[2:3] offset:4
	v_cmp_ne_u32_e32 vcc_lo, 1, v1
	v_mov_b32_e32 v5, s2
	s_cbranch_vccnz .LBB155_3
.LBB155_20:
	v_dual_mov_b32 v2, s2 :: v_dual_mov_b32 v3, s3
	flat_load_b32 v5, v[2:3]
	v_cmp_ne_u32_e32 vcc_lo, 1, v1
	v_mov_b32_e32 v6, s3
	s_cbranch_vccz .LBB155_4
	s_branch .LBB155_5
	.section	.rodata,"a",@progbits
	.p2align	6, 0x0
	.amdhsa_kernel _ZN9rocsparseL41csrmvn_lrb_medium_rows_warp_reduce_kernelILj256ELj64Eiif21rocsparse_complex_numIfES2_S2_EEvbT1_lPT2_S5_jNS_24const_host_device_scalarIT6_EEPKS3_PKS4_PKT3_PKT4_S8_PT5_21rocsparse_index_base_b
		.amdhsa_group_segment_fixed_size 0
		.amdhsa_private_segment_fixed_size 0
		.amdhsa_kernarg_size 104
		.amdhsa_user_sgpr_count 15
		.amdhsa_user_sgpr_dispatch_ptr 0
		.amdhsa_user_sgpr_queue_ptr 0
		.amdhsa_user_sgpr_kernarg_segment_ptr 1
		.amdhsa_user_sgpr_dispatch_id 0
		.amdhsa_user_sgpr_private_segment_size 0
		.amdhsa_wavefront_size32 1
		.amdhsa_uses_dynamic_stack 0
		.amdhsa_enable_private_segment 0
		.amdhsa_system_sgpr_workgroup_id_x 1
		.amdhsa_system_sgpr_workgroup_id_y 0
		.amdhsa_system_sgpr_workgroup_id_z 0
		.amdhsa_system_sgpr_workgroup_info 0
		.amdhsa_system_vgpr_workitem_id 0
		.amdhsa_next_free_vgpr 18
		.amdhsa_next_free_sgpr 16
		.amdhsa_reserve_vcc 1
		.amdhsa_float_round_mode_32 0
		.amdhsa_float_round_mode_16_64 0
		.amdhsa_float_denorm_mode_32 3
		.amdhsa_float_denorm_mode_16_64 3
		.amdhsa_dx10_clamp 1
		.amdhsa_ieee_mode 1
		.amdhsa_fp16_overflow 0
		.amdhsa_workgroup_processor_mode 1
		.amdhsa_memory_ordered 1
		.amdhsa_forward_progress 0
		.amdhsa_shared_vgpr_count 0
		.amdhsa_exception_fp_ieee_invalid_op 0
		.amdhsa_exception_fp_denorm_src 0
		.amdhsa_exception_fp_ieee_div_zero 0
		.amdhsa_exception_fp_ieee_overflow 0
		.amdhsa_exception_fp_ieee_underflow 0
		.amdhsa_exception_fp_ieee_inexact 0
		.amdhsa_exception_int_div_zero 0
	.end_amdhsa_kernel
	.section	.text._ZN9rocsparseL41csrmvn_lrb_medium_rows_warp_reduce_kernelILj256ELj64Eiif21rocsparse_complex_numIfES2_S2_EEvbT1_lPT2_S5_jNS_24const_host_device_scalarIT6_EEPKS3_PKS4_PKT3_PKT4_S8_PT5_21rocsparse_index_base_b,"axG",@progbits,_ZN9rocsparseL41csrmvn_lrb_medium_rows_warp_reduce_kernelILj256ELj64Eiif21rocsparse_complex_numIfES2_S2_EEvbT1_lPT2_S5_jNS_24const_host_device_scalarIT6_EEPKS3_PKS4_PKT3_PKT4_S8_PT5_21rocsparse_index_base_b,comdat
.Lfunc_end155:
	.size	_ZN9rocsparseL41csrmvn_lrb_medium_rows_warp_reduce_kernelILj256ELj64Eiif21rocsparse_complex_numIfES2_S2_EEvbT1_lPT2_S5_jNS_24const_host_device_scalarIT6_EEPKS3_PKS4_PKT3_PKT4_S8_PT5_21rocsparse_index_base_b, .Lfunc_end155-_ZN9rocsparseL41csrmvn_lrb_medium_rows_warp_reduce_kernelILj256ELj64Eiif21rocsparse_complex_numIfES2_S2_EEvbT1_lPT2_S5_jNS_24const_host_device_scalarIT6_EEPKS3_PKS4_PKT3_PKT4_S8_PT5_21rocsparse_index_base_b
                                        ; -- End function
	.section	.AMDGPU.csdata,"",@progbits
; Kernel info:
; codeLenInByte = 1240
; NumSgprs: 18
; NumVgprs: 18
; ScratchSize: 0
; MemoryBound: 0
; FloatMode: 240
; IeeeMode: 1
; LDSByteSize: 0 bytes/workgroup (compile time only)
; SGPRBlocks: 2
; VGPRBlocks: 2
; NumSGPRsForWavesPerEU: 18
; NumVGPRsForWavesPerEU: 18
; Occupancy: 16
; WaveLimiterHint : 1
; COMPUTE_PGM_RSRC2:SCRATCH_EN: 0
; COMPUTE_PGM_RSRC2:USER_SGPR: 15
; COMPUTE_PGM_RSRC2:TRAP_HANDLER: 0
; COMPUTE_PGM_RSRC2:TGID_X_EN: 1
; COMPUTE_PGM_RSRC2:TGID_Y_EN: 0
; COMPUTE_PGM_RSRC2:TGID_Z_EN: 0
; COMPUTE_PGM_RSRC2:TIDIG_COMP_CNT: 0
	.section	.text._ZN9rocsparseL29csrmvn_lrb_medium_rows_kernelILj256Eiif21rocsparse_complex_numIfES2_S2_EEvbT0_PT1_S5_jNS_24const_host_device_scalarIT5_EEPKS3_PKS4_PKT2_PKT3_S8_PT4_21rocsparse_index_base_b,"axG",@progbits,_ZN9rocsparseL29csrmvn_lrb_medium_rows_kernelILj256Eiif21rocsparse_complex_numIfES2_S2_EEvbT0_PT1_S5_jNS_24const_host_device_scalarIT5_EEPKS3_PKS4_PKT2_PKT3_S8_PT4_21rocsparse_index_base_b,comdat
	.globl	_ZN9rocsparseL29csrmvn_lrb_medium_rows_kernelILj256Eiif21rocsparse_complex_numIfES2_S2_EEvbT0_PT1_S5_jNS_24const_host_device_scalarIT5_EEPKS3_PKS4_PKT2_PKT3_S8_PT4_21rocsparse_index_base_b ; -- Begin function _ZN9rocsparseL29csrmvn_lrb_medium_rows_kernelILj256Eiif21rocsparse_complex_numIfES2_S2_EEvbT0_PT1_S5_jNS_24const_host_device_scalarIT5_EEPKS3_PKS4_PKT2_PKT3_S8_PT4_21rocsparse_index_base_b
	.p2align	8
	.type	_ZN9rocsparseL29csrmvn_lrb_medium_rows_kernelILj256Eiif21rocsparse_complex_numIfES2_S2_EEvbT0_PT1_S5_jNS_24const_host_device_scalarIT5_EEPKS3_PKS4_PKT2_PKT3_S8_PT4_21rocsparse_index_base_b,@function
_ZN9rocsparseL29csrmvn_lrb_medium_rows_kernelILj256Eiif21rocsparse_complex_numIfES2_S2_EEvbT0_PT1_S5_jNS_24const_host_device_scalarIT5_EEPKS3_PKS4_PKT2_PKT3_S8_PT4_21rocsparse_index_base_b: ; @_ZN9rocsparseL29csrmvn_lrb_medium_rows_kernelILj256Eiif21rocsparse_complex_numIfES2_S2_EEvbT0_PT1_S5_jNS_24const_host_device_scalarIT5_EEPKS3_PKS4_PKT2_PKT3_S8_PT4_21rocsparse_index_base_b
; %bb.0:
	s_clause 0x2
	s_load_b64 s[10:11], s[0:1], 0x58
	s_load_b64 s[4:5], s[0:1], 0x20
	;; [unrolled: 1-line block ×3, first 2 shown]
	s_waitcnt lgkmcnt(0)
	s_bitcmp1_b32 s11, 0
	v_mov_b32_e32 v7, s4
	s_cselect_b32 s6, -1, 0
	s_delay_alu instid0(SALU_CYCLE_1)
	s_and_b32 vcc_lo, exec_lo, s6
	s_xor_b32 s6, s6, -1
	s_cbranch_vccz .LBB156_33
; %bb.1:
	v_cndmask_b32_e64 v1, 0, 1, s6
	v_mov_b32_e32 v8, s5
	s_and_not1_b32 vcc_lo, exec_lo, s6
	s_cbranch_vccz .LBB156_34
.LBB156_2:
	s_delay_alu instid0(VALU_DEP_2)
	v_cmp_ne_u32_e32 vcc_lo, 1, v1
	v_mov_b32_e32 v5, s2
	s_cbranch_vccz .LBB156_35
.LBB156_3:
	v_cmp_ne_u32_e32 vcc_lo, 1, v1
	v_mov_b32_e32 v6, s3
	s_cbranch_vccnz .LBB156_5
.LBB156_4:
	v_dual_mov_b32 v1, s2 :: v_dual_mov_b32 v2, s3
	flat_load_b32 v6, v[1:2] offset:4
.LBB156_5:
	s_waitcnt vmcnt(0) lgkmcnt(0)
	v_cmp_eq_f32_e32 vcc_lo, 0, v7
	v_cmp_eq_f32_e64 s2, 0, v8
	s_delay_alu instid0(VALU_DEP_1)
	s_and_b32 s4, vcc_lo, s2
	s_mov_b32 s2, -1
	s_and_saveexec_b32 s3, s4
; %bb.6:
	v_cmp_neq_f32_e32 vcc_lo, 1.0, v5
	v_cmp_neq_f32_e64 s2, 0, v6
	s_delay_alu instid0(VALU_DEP_1) | instskip(NEXT) | instid1(SALU_CYCLE_1)
	s_or_b32 s2, vcc_lo, s2
	s_or_not1_b32 s2, s2, exec_lo
; %bb.7:
	s_or_b32 exec_lo, exec_lo, s3
	s_and_saveexec_b32 s3, s2
	s_cbranch_execz .LBB156_32
; %bb.8:
	s_clause 0x1
	s_load_b32 s12, s[0:1], 0x18
	s_load_b128 s[4:7], s[0:1], 0x8
	s_mov_b32 s13, 0
	v_subrev_nc_u32_e32 v1, s10, v0
	s_mov_b32 s11, exec_lo
	v_mov_b32_e32 v2, 0
	s_waitcnt lgkmcnt(0)
	s_lshl_b64 s[2:3], s[12:13], 2
	s_delay_alu instid0(SALU_CYCLE_1) | instskip(SKIP_4) | instid1(SALU_CYCLE_1)
	s_add_u32 s2, s6, s2
	s_addc_u32 s3, s7, s3
	s_load_b32 s2, s[2:3], 0x0
	s_waitcnt lgkmcnt(0)
	s_add_i32 s2, s2, s15
	s_ashr_i32 s3, s2, 31
	s_delay_alu instid0(SALU_CYCLE_1) | instskip(NEXT) | instid1(SALU_CYCLE_1)
	s_lshl_b64 s[2:3], s[2:3], 2
	s_add_u32 s2, s4, s2
	s_addc_u32 s3, s5, s3
	s_load_b32 s2, s[2:3], 0x0
	s_load_b64 s[4:5], s[0:1], 0x28
	s_waitcnt lgkmcnt(0)
	s_ashr_i32 s3, s2, 31
	s_delay_alu instid0(SALU_CYCLE_1) | instskip(NEXT) | instid1(SALU_CYCLE_1)
	s_lshl_b64 s[6:7], s[2:3], 2
	s_add_u32 s4, s4, s6
	s_addc_u32 s5, s5, s7
	s_load_b64 s[4:5], s[4:5], 0x0
	s_load_b64 s[8:9], s[0:1], 0x50
	s_waitcnt lgkmcnt(0)
	v_add_nc_u32_e32 v3, s4, v1
	v_mov_b32_e32 v1, 0
	s_sub_i32 s12, s5, s10
	s_delay_alu instid0(VALU_DEP_2) | instid1(SALU_CYCLE_1)
	v_cmpx_gt_i32_e64 s12, v3
	s_cbranch_execz .LBB156_12
; %bb.9:
	s_clause 0x1
	s_load_b128 s[4:7], s[0:1], 0x30
	s_load_b64 s[0:1], s[0:1], 0x40
	v_dual_mov_b32 v2, 0 :: v_dual_mul_f32 v9, 0x80000000, v8
	s_delay_alu instid0(VALU_DEP_1)
	v_dual_mul_f32 v10, 0, v7 :: v_dual_mov_b32 v1, v2
	s_set_inst_prefetch_distance 0x1
	.p2align	6
.LBB156_10:                             ; =>This Inner Loop Header: Depth=1
	v_ashrrev_i32_e32 v4, 31, v3
	s_delay_alu instid0(VALU_DEP_1) | instskip(SKIP_1) | instid1(VALU_DEP_1)
	v_lshlrev_b64 v[11:12], 2, v[3:4]
	s_waitcnt lgkmcnt(0)
	v_add_co_u32 v13, vcc_lo, s4, v11
	s_delay_alu instid0(VALU_DEP_2)
	v_add_co_ci_u32_e32 v14, vcc_lo, s5, v12, vcc_lo
	v_add_co_u32 v11, vcc_lo, s6, v11
	v_add_co_ci_u32_e32 v12, vcc_lo, s7, v12, vcc_lo
	global_load_b32 v4, v[13:14], off
	s_waitcnt vmcnt(0)
	v_subrev_nc_u32_e32 v13, s10, v4
	global_load_b32 v4, v[11:12], off
	v_ashrrev_i32_e32 v14, 31, v13
	s_delay_alu instid0(VALU_DEP_1) | instskip(NEXT) | instid1(VALU_DEP_1)
	v_lshlrev_b64 v[13:14], 3, v[13:14]
	v_add_co_u32 v11, vcc_lo, s0, v13
	s_delay_alu instid0(VALU_DEP_2)
	v_add_co_ci_u32_e32 v12, vcc_lo, s1, v14, vcc_lo
	global_load_b64 v[11:12], v[11:12], off
	s_waitcnt vmcnt(1)
	v_fma_f32 v13, v7, v4, v9
	v_fma_f32 v4, v8, v4, v10
	s_waitcnt vmcnt(0)
	s_delay_alu instid0(VALU_DEP_1) | instskip(SKIP_2) | instid1(VALU_DEP_3)
	v_fmac_f32_e32 v2, v4, v11
	v_add_nc_u32_e32 v3, 0x100, v3
	v_fmac_f32_e32 v1, v13, v11
	v_fmac_f32_e32 v2, v13, v12
	s_delay_alu instid0(VALU_DEP_3) | instskip(NEXT) | instid1(VALU_DEP_3)
	v_cmp_le_i32_e32 vcc_lo, s12, v3
	v_fma_f32 v1, -v4, v12, v1
	s_or_b32 s13, vcc_lo, s13
	s_delay_alu instid0(SALU_CYCLE_1)
	s_and_not1_b32 exec_lo, exec_lo, s13
	s_cbranch_execnz .LBB156_10
; %bb.11:
	s_set_inst_prefetch_distance 0x2
	s_or_b32 exec_lo, exec_lo, s13
.LBB156_12:
	s_delay_alu instid0(SALU_CYCLE_1)
	s_or_b32 exec_lo, exec_lo, s11
	v_lshlrev_b32_e32 v3, 3, v0
	s_mov_b32 s0, exec_lo
	ds_store_b64 v3, v[1:2]
	s_waitcnt lgkmcnt(0)
	s_barrier
	buffer_gl0_inv
	v_cmpx_gt_u32_e32 0x80, v0
	s_cbranch_execz .LBB156_14
; %bb.13:
	ds_load_2addr_stride64_b64 v[7:10], v3 offset1:2
	s_waitcnt lgkmcnt(0)
	v_dual_add_f32 v1, v9, v7 :: v_dual_add_f32 v2, v10, v8
	ds_store_b64 v3, v[1:2]
.LBB156_14:
	s_or_b32 exec_lo, exec_lo, s0
	s_delay_alu instid0(SALU_CYCLE_1)
	s_mov_b32 s0, exec_lo
	s_waitcnt lgkmcnt(0)
	s_barrier
	buffer_gl0_inv
	v_cmpx_gt_u32_e32 64, v0
	s_cbranch_execz .LBB156_16
; %bb.15:
	ds_load_2addr_stride64_b64 v[7:10], v3 offset1:1
	s_waitcnt lgkmcnt(0)
	v_dual_add_f32 v1, v9, v7 :: v_dual_add_f32 v2, v10, v8
	ds_store_b64 v3, v[1:2]
.LBB156_16:
	s_or_b32 exec_lo, exec_lo, s0
	s_delay_alu instid0(SALU_CYCLE_1)
	s_mov_b32 s0, exec_lo
	s_waitcnt lgkmcnt(0)
	s_barrier
	buffer_gl0_inv
	v_cmpx_gt_u32_e32 32, v0
	s_cbranch_execz .LBB156_18
; %bb.17:
	ds_load_2addr_b64 v[7:10], v3 offset1:32
	s_waitcnt lgkmcnt(0)
	v_dual_add_f32 v1, v9, v7 :: v_dual_add_f32 v2, v10, v8
	ds_store_b64 v3, v[1:2]
.LBB156_18:
	s_or_b32 exec_lo, exec_lo, s0
	s_delay_alu instid0(SALU_CYCLE_1)
	s_mov_b32 s0, exec_lo
	s_waitcnt lgkmcnt(0)
	s_barrier
	buffer_gl0_inv
	v_cmpx_gt_u32_e32 16, v0
	s_cbranch_execz .LBB156_20
; %bb.19:
	ds_load_2addr_b64 v[7:10], v3 offset1:16
	s_waitcnt lgkmcnt(0)
	v_dual_add_f32 v1, v9, v7 :: v_dual_add_f32 v2, v10, v8
	ds_store_b64 v3, v[1:2]
.LBB156_20:
	;; [unrolled: 14-line block ×5, first 2 shown]
	s_or_b32 exec_lo, exec_lo, s0
	v_cmp_eq_u32_e32 vcc_lo, 0, v0
	s_waitcnt lgkmcnt(0)
	s_barrier
	buffer_gl0_inv
	s_and_saveexec_b32 s0, vcc_lo
	s_cbranch_execz .LBB156_28
; %bb.27:
	v_mov_b32_e32 v4, 0
	ds_load_2addr_b64 v[0:3], v4 offset1:1
	s_waitcnt lgkmcnt(0)
	v_dual_add_f32 v1, v3, v1 :: v_dual_add_f32 v0, v2, v0
	ds_store_b64 v4, v[0:1]
.LBB156_28:
	s_or_b32 exec_lo, exec_lo, s0
	s_waitcnt lgkmcnt(0)
	s_barrier
	buffer_gl0_inv
	s_and_b32 exec_lo, exec_lo, vcc_lo
	s_cbranch_execz .LBB156_32
; %bb.29:
	v_mov_b32_e32 v2, 0
	v_cmp_neq_f32_e32 vcc_lo, 0, v5
	v_cmp_neq_f32_e64 s0, 0, v6
	ds_load_b64 v[0:1], v2
	s_or_b32 s1, vcc_lo, s0
	s_delay_alu instid0(SALU_CYCLE_1)
	s_and_saveexec_b32 s0, s1
	s_cbranch_execz .LBB156_31
; %bb.30:
	s_lshl_b64 s[4:5], s[2:3], 3
	s_delay_alu instid0(SALU_CYCLE_1)
	s_add_u32 s4, s8, s4
	s_addc_u32 s5, s9, s5
	s_load_b64 s[4:5], s[4:5], 0x0
	s_waitcnt lgkmcnt(0)
	v_fma_f32 v0, s4, v5, v0
	v_fmac_f32_e32 v1, s4, v6
	s_delay_alu instid0(VALU_DEP_2) | instskip(NEXT) | instid1(VALU_DEP_2)
	v_fma_f32 v0, -v6, s5, v0
	v_fmac_f32_e32 v1, s5, v5
.LBB156_31:
	s_or_b32 exec_lo, exec_lo, s0
	s_lshl_b64 s[0:1], s[2:3], 3
	s_delay_alu instid0(SALU_CYCLE_1)
	s_add_u32 s0, s8, s0
	s_addc_u32 s1, s9, s1
	s_waitcnt lgkmcnt(0)
	global_store_b64 v2, v[0:1], s[0:1]
.LBB156_32:
	s_nop 0
	s_sendmsg sendmsg(MSG_DEALLOC_VGPRS)
	s_endpgm
.LBB156_33:
	v_dual_mov_b32 v1, s4 :: v_dual_mov_b32 v2, s5
	flat_load_b32 v7, v[1:2]
	v_cndmask_b32_e64 v1, 0, 1, s6
	v_mov_b32_e32 v8, s5
	s_and_not1_b32 vcc_lo, exec_lo, s6
	s_cbranch_vccnz .LBB156_2
.LBB156_34:
	v_dual_mov_b32 v2, s4 :: v_dual_mov_b32 v3, s5
	flat_load_b32 v8, v[2:3] offset:4
	v_cmp_ne_u32_e32 vcc_lo, 1, v1
	v_mov_b32_e32 v5, s2
	s_cbranch_vccnz .LBB156_3
.LBB156_35:
	v_dual_mov_b32 v2, s2 :: v_dual_mov_b32 v3, s3
	flat_load_b32 v5, v[2:3]
	v_cmp_ne_u32_e32 vcc_lo, 1, v1
	v_mov_b32_e32 v6, s3
	s_cbranch_vccz .LBB156_4
	s_branch .LBB156_5
	.section	.rodata,"a",@progbits
	.p2align	6, 0x0
	.amdhsa_kernel _ZN9rocsparseL29csrmvn_lrb_medium_rows_kernelILj256Eiif21rocsparse_complex_numIfES2_S2_EEvbT0_PT1_S5_jNS_24const_host_device_scalarIT5_EEPKS3_PKS4_PKT2_PKT3_S8_PT4_21rocsparse_index_base_b
		.amdhsa_group_segment_fixed_size 2048
		.amdhsa_private_segment_fixed_size 0
		.amdhsa_kernarg_size 96
		.amdhsa_user_sgpr_count 15
		.amdhsa_user_sgpr_dispatch_ptr 0
		.amdhsa_user_sgpr_queue_ptr 0
		.amdhsa_user_sgpr_kernarg_segment_ptr 1
		.amdhsa_user_sgpr_dispatch_id 0
		.amdhsa_user_sgpr_private_segment_size 0
		.amdhsa_wavefront_size32 1
		.amdhsa_uses_dynamic_stack 0
		.amdhsa_enable_private_segment 0
		.amdhsa_system_sgpr_workgroup_id_x 1
		.amdhsa_system_sgpr_workgroup_id_y 0
		.amdhsa_system_sgpr_workgroup_id_z 0
		.amdhsa_system_sgpr_workgroup_info 0
		.amdhsa_system_vgpr_workitem_id 0
		.amdhsa_next_free_vgpr 15
		.amdhsa_next_free_sgpr 16
		.amdhsa_reserve_vcc 1
		.amdhsa_float_round_mode_32 0
		.amdhsa_float_round_mode_16_64 0
		.amdhsa_float_denorm_mode_32 3
		.amdhsa_float_denorm_mode_16_64 3
		.amdhsa_dx10_clamp 1
		.amdhsa_ieee_mode 1
		.amdhsa_fp16_overflow 0
		.amdhsa_workgroup_processor_mode 1
		.amdhsa_memory_ordered 1
		.amdhsa_forward_progress 0
		.amdhsa_shared_vgpr_count 0
		.amdhsa_exception_fp_ieee_invalid_op 0
		.amdhsa_exception_fp_denorm_src 0
		.amdhsa_exception_fp_ieee_div_zero 0
		.amdhsa_exception_fp_ieee_overflow 0
		.amdhsa_exception_fp_ieee_underflow 0
		.amdhsa_exception_fp_ieee_inexact 0
		.amdhsa_exception_int_div_zero 0
	.end_amdhsa_kernel
	.section	.text._ZN9rocsparseL29csrmvn_lrb_medium_rows_kernelILj256Eiif21rocsparse_complex_numIfES2_S2_EEvbT0_PT1_S5_jNS_24const_host_device_scalarIT5_EEPKS3_PKS4_PKT2_PKT3_S8_PT4_21rocsparse_index_base_b,"axG",@progbits,_ZN9rocsparseL29csrmvn_lrb_medium_rows_kernelILj256Eiif21rocsparse_complex_numIfES2_S2_EEvbT0_PT1_S5_jNS_24const_host_device_scalarIT5_EEPKS3_PKS4_PKT2_PKT3_S8_PT4_21rocsparse_index_base_b,comdat
.Lfunc_end156:
	.size	_ZN9rocsparseL29csrmvn_lrb_medium_rows_kernelILj256Eiif21rocsparse_complex_numIfES2_S2_EEvbT0_PT1_S5_jNS_24const_host_device_scalarIT5_EEPKS3_PKS4_PKT2_PKT3_S8_PT4_21rocsparse_index_base_b, .Lfunc_end156-_ZN9rocsparseL29csrmvn_lrb_medium_rows_kernelILj256Eiif21rocsparse_complex_numIfES2_S2_EEvbT0_PT1_S5_jNS_24const_host_device_scalarIT5_EEPKS3_PKS4_PKT2_PKT3_S8_PT4_21rocsparse_index_base_b
                                        ; -- End function
	.section	.AMDGPU.csdata,"",@progbits
; Kernel info:
; codeLenInByte = 1412
; NumSgprs: 18
; NumVgprs: 15
; ScratchSize: 0
; MemoryBound: 0
; FloatMode: 240
; IeeeMode: 1
; LDSByteSize: 2048 bytes/workgroup (compile time only)
; SGPRBlocks: 2
; VGPRBlocks: 1
; NumSGPRsForWavesPerEU: 18
; NumVGPRsForWavesPerEU: 15
; Occupancy: 16
; WaveLimiterHint : 1
; COMPUTE_PGM_RSRC2:SCRATCH_EN: 0
; COMPUTE_PGM_RSRC2:USER_SGPR: 15
; COMPUTE_PGM_RSRC2:TRAP_HANDLER: 0
; COMPUTE_PGM_RSRC2:TGID_X_EN: 1
; COMPUTE_PGM_RSRC2:TGID_Y_EN: 0
; COMPUTE_PGM_RSRC2:TGID_Z_EN: 0
; COMPUTE_PGM_RSRC2:TIDIG_COMP_CNT: 0
	.section	.text._ZN9rocsparseL27csrmvn_lrb_long_rows_kernelIiif21rocsparse_complex_numIfES2_S2_EEvbT_PjPT0_S6_jNS_24const_host_device_scalarIT4_EEPKS3_PKS5_PKT1_PKT2_S9_PT3_21rocsparse_index_base_b,"axG",@progbits,_ZN9rocsparseL27csrmvn_lrb_long_rows_kernelIiif21rocsparse_complex_numIfES2_S2_EEvbT_PjPT0_S6_jNS_24const_host_device_scalarIT4_EEPKS3_PKS5_PKT1_PKT2_S9_PT3_21rocsparse_index_base_b,comdat
	.globl	_ZN9rocsparseL27csrmvn_lrb_long_rows_kernelIiif21rocsparse_complex_numIfES2_S2_EEvbT_PjPT0_S6_jNS_24const_host_device_scalarIT4_EEPKS3_PKS5_PKT1_PKT2_S9_PT3_21rocsparse_index_base_b ; -- Begin function _ZN9rocsparseL27csrmvn_lrb_long_rows_kernelIiif21rocsparse_complex_numIfES2_S2_EEvbT_PjPT0_S6_jNS_24const_host_device_scalarIT4_EEPKS3_PKS5_PKT1_PKT2_S9_PT3_21rocsparse_index_base_b
	.p2align	8
	.type	_ZN9rocsparseL27csrmvn_lrb_long_rows_kernelIiif21rocsparse_complex_numIfES2_S2_EEvbT_PjPT0_S6_jNS_24const_host_device_scalarIT4_EEPKS3_PKS5_PKT1_PKT2_S9_PT3_21rocsparse_index_base_b,@function
_ZN9rocsparseL27csrmvn_lrb_long_rows_kernelIiif21rocsparse_complex_numIfES2_S2_EEvbT_PjPT0_S6_jNS_24const_host_device_scalarIT4_EEPKS3_PKS5_PKT1_PKT2_S9_PT3_21rocsparse_index_base_b: ; @_ZN9rocsparseL27csrmvn_lrb_long_rows_kernelIiif21rocsparse_complex_numIfES2_S2_EEvbT_PjPT0_S6_jNS_24const_host_device_scalarIT4_EEPKS3_PKS5_PKT1_PKT2_S9_PT3_21rocsparse_index_base_b
; %bb.0:
	s_mov_b32 s8, s15
	s_clause 0x2
	s_load_b64 s[14:15], s[0:1], 0x60
	s_load_b64 s[4:5], s[0:1], 0x28
	;; [unrolled: 1-line block ×3, first 2 shown]
	s_waitcnt lgkmcnt(0)
	s_bitcmp1_b32 s15, 0
	v_mov_b32_e32 v5, s4
	s_cselect_b32 s6, -1, 0
	s_delay_alu instid0(SALU_CYCLE_1)
	s_and_b32 vcc_lo, exec_lo, s6
	s_xor_b32 s6, s6, -1
	s_cbranch_vccz .LBB157_38
; %bb.1:
	v_cndmask_b32_e64 v1, 0, 1, s6
	v_mov_b32_e32 v6, s5
	s_and_not1_b32 vcc_lo, exec_lo, s6
	s_cbranch_vccz .LBB157_39
.LBB157_2:
	s_delay_alu instid0(VALU_DEP_2)
	v_cmp_ne_u32_e32 vcc_lo, 1, v1
	v_mov_b32_e32 v4, s2
	s_cbranch_vccz .LBB157_40
.LBB157_3:
	v_cmp_ne_u32_e32 vcc_lo, 1, v1
	v_mov_b32_e32 v3, s3
	s_cbranch_vccnz .LBB157_5
.LBB157_4:
	v_dual_mov_b32 v1, s2 :: v_dual_mov_b32 v2, s3
	flat_load_b32 v3, v[1:2] offset:4
.LBB157_5:
	s_waitcnt vmcnt(0) lgkmcnt(0)
	v_cmp_eq_f32_e32 vcc_lo, 0, v5
	v_cmp_eq_f32_e64 s2, 0, v6
	s_delay_alu instid0(VALU_DEP_1)
	s_and_b32 s4, vcc_lo, s2
	s_mov_b32 s2, -1
	s_and_saveexec_b32 s3, s4
; %bb.6:
	v_cmp_neq_f32_e32 vcc_lo, 1.0, v4
	v_cmp_neq_f32_e64 s2, 0, v3
	s_delay_alu instid0(VALU_DEP_1) | instskip(NEXT) | instid1(SALU_CYCLE_1)
	s_or_b32 s2, vcc_lo, s2
	s_or_not1_b32 s2, s2, exec_lo
; %bb.7:
	s_or_b32 exec_lo, exec_lo, s3
	s_and_saveexec_b32 s3, s2
	s_cbranch_execz .LBB157_48
; %bb.8:
	s_clause 0x1
	s_load_b32 s2, s[0:1], 0x20
	s_load_b64 s[4:5], s[0:1], 0x18
	s_mov_b32 s3, 0
	v_mov_b32_e32 v2, 0
	s_waitcnt lgkmcnt(0)
	s_lshl_b64 s[6:7], s[2:3], 2
	s_delay_alu instid0(SALU_CYCLE_1)
	s_add_u32 s4, s4, s6
	s_addc_u32 s5, s5, s7
	s_lshl_b32 s2, -1, s2
	s_load_b32 s10, s[4:5], 0x0
	s_not_b32 s2, s2
	s_load_b128 s[4:7], s[0:1], 0x8
	s_mul_hi_u32 s2, s2, 0x2aaaaaab
	s_delay_alu instid0(SALU_CYCLE_1) | instskip(NEXT) | instid1(SALU_CYCLE_1)
	s_lshr_b32 s2, s2, 7
	s_add_i32 s9, s2, 1
	s_not_b32 s2, s2
	v_cvt_f32_u32_e32 v1, s9
	s_delay_alu instid0(VALU_DEP_1) | instskip(SKIP_2) | instid1(VALU_DEP_1)
	v_rcp_iflag_f32_e32 v1, v1
	s_waitcnt_depctr 0xfff
	v_mul_f32_e32 v1, 0x4f7ffffe, v1
	v_cvt_u32_f32_e32 v1, v1
	s_delay_alu instid0(VALU_DEP_1) | instskip(NEXT) | instid1(VALU_DEP_1)
	v_readfirstlane_b32 s3, v1
	s_mul_i32 s2, s2, s3
	s_delay_alu instid0(SALU_CYCLE_1) | instskip(NEXT) | instid1(SALU_CYCLE_1)
	s_mul_hi_u32 s2, s3, s2
	s_add_i32 s3, s3, s2
	s_delay_alu instid0(SALU_CYCLE_1) | instskip(NEXT) | instid1(SALU_CYCLE_1)
	s_mul_hi_u32 s2, s8, s3
	s_mul_i32 s3, s2, s9
	s_add_i32 s11, s2, 1
	s_sub_i32 s3, s8, s3
	s_delay_alu instid0(SALU_CYCLE_1)
	s_sub_i32 s12, s3, s9
	s_cmp_ge_u32 s3, s9
	s_cselect_b32 s2, s11, s2
	s_cselect_b32 s3, s12, s3
	s_add_i32 s11, s2, 1
	s_cmp_ge_u32 s3, s9
	s_cselect_b32 s11, s11, s2
	s_waitcnt lgkmcnt(0)
	s_add_i32 s2, s11, s10
	s_mul_i32 s12, s11, s9
	s_ashr_i32 s3, s2, 31
	s_sub_i32 s18, s8, s12
	s_lshl_b64 s[2:3], s[2:3], 2
	v_or_b32_e32 v1, s18, v0
	s_add_u32 s2, s6, s2
	s_addc_u32 s3, s7, s3
	s_load_b32 s6, s[2:3], 0x0
	s_load_b64 s[2:3], s[0:1], 0x30
	v_cmp_eq_u32_e32 vcc_lo, 0, v1
	v_mov_b32_e32 v1, 0
	s_waitcnt lgkmcnt(0)
	s_ashr_i32 s7, s6, 31
	s_delay_alu instid0(SALU_CYCLE_1) | instskip(NEXT) | instid1(SALU_CYCLE_1)
	s_lshl_b64 s[10:11], s[6:7], 2
	s_add_u32 s2, s2, s10
	s_addc_u32 s3, s3, s11
	s_ashr_i32 s9, s8, 31
	s_delay_alu instid0(SALU_CYCLE_1)
	s_lshl_b64 s[10:11], s[8:9], 2
	s_load_b64 s[8:9], s[0:1], 0x58
	s_add_u32 s10, s4, s10
	s_addc_u32 s11, s5, s11
	s_load_b64 s[2:3], s[2:3], 0x0
	s_load_b32 s15, s[10:11], 0x0
	s_and_saveexec_b32 s19, vcc_lo
	s_cbranch_execz .LBB157_12
; %bb.9:
	s_lshl_b64 s[16:17], s[6:7], 3
	v_add_f32_e32 v4, -1.0, v4
	s_waitcnt lgkmcnt(0)
	s_add_u32 s16, s8, s16
	s_addc_u32 s17, s9, s17
	s_mov_b32 s20, exec_lo
	s_load_b64 s[16:17], s[16:17], 0x0
	v_mbcnt_lo_u32_b32 v7, s20, 0
	s_waitcnt vmcnt(0) expcnt(0) lgkmcnt(0)
	v_mul_f32_e64 v1, s17, -v3
	v_mul_f32_e32 v2, s17, v4
	s_mov_b32 s17, exec_lo
	v_cmpx_eq_u32_e32 0, v7
	s_cbranch_execz .LBB157_11
; %bb.10:
	s_ashr_i32 s13, s12, 31
	s_delay_alu instid0(SALU_CYCLE_1) | instskip(NEXT) | instid1(SALU_CYCLE_1)
	s_lshl_b64 s[22:23], s[12:13], 2
	s_add_u32 s22, s4, s22
	s_addc_u32 s23, s5, s23
	s_bcnt1_i32_b32 s13, s20
	s_delay_alu instid0(SALU_CYCLE_1) | instskip(NEXT) | instid1(SALU_CYCLE_1)
	s_and_b32 s13, s13, 1
	v_dual_mov_b32 v7, 0 :: v_dual_mov_b32 v8, s13
	global_atomic_xor_b32 v7, v8, s[22:23]
.LBB157_11:
	s_or_b32 exec_lo, exec_lo, s17
	v_dual_fmac_f32 v1, s16, v4 :: v_dual_fmac_f32 v2, s16, v3
.LBB157_12:
	s_or_b32 exec_lo, exec_lo, s19
	s_mul_i32 s13, s18, 0x300
	s_waitcnt lgkmcnt(0)
	s_sub_i32 s3, s3, s14
	s_sub_i32 s13, s13, s14
	s_delay_alu instid0(SALU_CYCLE_1) | instskip(SKIP_3) | instid1(SALU_CYCLE_1)
	s_add_i32 s2, s13, s2
	s_mov_b32 s13, exec_lo
	v_add_nc_u32_e32 v3, s2, v0
	s_addk_i32 s2, 0x300
	s_min_i32 s19, s2, s3
	s_delay_alu instid0(VALU_DEP_1) | instid1(SALU_CYCLE_1)
	v_cmpx_gt_i32_e64 s19, v3
	s_cbranch_execz .LBB157_16
; %bb.13:
	s_clause 0x1
	s_load_b64 s[16:17], s[0:1], 0x48
	s_load_b128 s[0:3], s[0:1], 0x38
	v_dual_mul_f32 v7, 0x80000000, v6 :: v_dual_mul_f32 v8, 0, v5
	s_mov_b32 s20, 0
	s_set_inst_prefetch_distance 0x1
	.p2align	6
.LBB157_14:                             ; =>This Inner Loop Header: Depth=1
	v_ashrrev_i32_e32 v4, 31, v3
	s_delay_alu instid0(VALU_DEP_1) | instskip(SKIP_1) | instid1(VALU_DEP_1)
	v_lshlrev_b64 v[9:10], 2, v[3:4]
	s_waitcnt lgkmcnt(0)
	v_add_co_u32 v11, vcc_lo, s0, v9
	s_delay_alu instid0(VALU_DEP_2)
	v_add_co_ci_u32_e32 v12, vcc_lo, s1, v10, vcc_lo
	v_add_co_u32 v9, vcc_lo, s2, v9
	v_add_co_ci_u32_e32 v10, vcc_lo, s3, v10, vcc_lo
	global_load_b32 v4, v[11:12], off
	s_waitcnt vmcnt(0)
	v_subrev_nc_u32_e32 v11, s14, v4
	global_load_b32 v4, v[9:10], off
	v_ashrrev_i32_e32 v12, 31, v11
	s_delay_alu instid0(VALU_DEP_1) | instskip(NEXT) | instid1(VALU_DEP_1)
	v_lshlrev_b64 v[11:12], 3, v[11:12]
	v_add_co_u32 v9, vcc_lo, s16, v11
	s_delay_alu instid0(VALU_DEP_2)
	v_add_co_ci_u32_e32 v10, vcc_lo, s17, v12, vcc_lo
	global_load_b64 v[9:10], v[9:10], off
	s_waitcnt vmcnt(1)
	v_fma_f32 v11, v5, v4, v7
	v_fma_f32 v4, v6, v4, v8
	s_waitcnt vmcnt(0)
	s_delay_alu instid0(VALU_DEP_1) | instskip(NEXT) | instid1(VALU_DEP_3)
	v_dual_fmac_f32 v2, v4, v9 :: v_dual_add_nc_u32 v3, 0x100, v3
	v_fmac_f32_e32 v1, v11, v9
	s_delay_alu instid0(VALU_DEP_2) | instskip(NEXT) | instid1(VALU_DEP_3)
	v_cmp_le_i32_e32 vcc_lo, s19, v3
	v_fmac_f32_e32 v2, v11, v10
	s_delay_alu instid0(VALU_DEP_3) | instskip(SKIP_1) | instid1(SALU_CYCLE_1)
	v_fma_f32 v1, -v4, v10, v1
	s_or_b32 s20, vcc_lo, s20
	s_and_not1_b32 exec_lo, exec_lo, s20
	s_cbranch_execnz .LBB157_14
; %bb.15:
	s_set_inst_prefetch_distance 0x2
	s_or_b32 exec_lo, exec_lo, s20
.LBB157_16:
	s_delay_alu instid0(SALU_CYCLE_1)
	s_or_b32 exec_lo, exec_lo, s13
	v_lshlrev_b32_e32 v3, 3, v0
	s_mov_b32 s0, exec_lo
	ds_store_b64 v3, v[1:2]
	s_waitcnt lgkmcnt(0)
	s_waitcnt_vscnt null, 0x0
	s_barrier
	buffer_gl0_inv
	v_cmpx_gt_u32_e32 0x80, v0
	s_cbranch_execz .LBB157_18
; %bb.17:
	ds_load_2addr_stride64_b64 v[4:7], v3 offset1:2
	s_waitcnt lgkmcnt(0)
	v_dual_add_f32 v1, v6, v4 :: v_dual_add_f32 v2, v7, v5
	ds_store_b64 v3, v[1:2]
.LBB157_18:
	s_or_b32 exec_lo, exec_lo, s0
	s_delay_alu instid0(SALU_CYCLE_1)
	s_mov_b32 s0, exec_lo
	s_waitcnt lgkmcnt(0)
	s_barrier
	buffer_gl0_inv
	v_cmpx_gt_u32_e32 64, v0
	s_cbranch_execz .LBB157_20
; %bb.19:
	ds_load_2addr_stride64_b64 v[4:7], v3 offset1:1
	s_waitcnt lgkmcnt(0)
	v_dual_add_f32 v1, v6, v4 :: v_dual_add_f32 v2, v7, v5
	ds_store_b64 v3, v[1:2]
.LBB157_20:
	s_or_b32 exec_lo, exec_lo, s0
	s_delay_alu instid0(SALU_CYCLE_1)
	s_mov_b32 s0, exec_lo
	s_waitcnt lgkmcnt(0)
	s_barrier
	buffer_gl0_inv
	v_cmpx_gt_u32_e32 32, v0
	s_cbranch_execz .LBB157_22
; %bb.21:
	ds_load_2addr_b64 v[4:7], v3 offset1:32
	s_waitcnt lgkmcnt(0)
	v_dual_add_f32 v1, v6, v4 :: v_dual_add_f32 v2, v7, v5
	ds_store_b64 v3, v[1:2]
.LBB157_22:
	s_or_b32 exec_lo, exec_lo, s0
	s_delay_alu instid0(SALU_CYCLE_1)
	s_mov_b32 s0, exec_lo
	s_waitcnt lgkmcnt(0)
	s_barrier
	buffer_gl0_inv
	v_cmpx_gt_u32_e32 16, v0
	s_cbranch_execz .LBB157_24
; %bb.23:
	ds_load_2addr_b64 v[4:7], v3 offset1:16
	s_waitcnt lgkmcnt(0)
	v_dual_add_f32 v1, v6, v4 :: v_dual_add_f32 v2, v7, v5
	ds_store_b64 v3, v[1:2]
.LBB157_24:
	;; [unrolled: 14-line block ×5, first 2 shown]
	s_or_b32 exec_lo, exec_lo, s0
	v_cmp_eq_u32_e32 vcc_lo, 0, v0
	s_waitcnt lgkmcnt(0)
	s_barrier
	buffer_gl0_inv
	s_and_saveexec_b32 s0, vcc_lo
	s_cbranch_execz .LBB157_32
; %bb.31:
	v_mov_b32_e32 v4, 0
	ds_load_2addr_b64 v[0:3], v4 offset1:1
	s_waitcnt lgkmcnt(0)
	v_dual_add_f32 v1, v3, v1 :: v_dual_add_f32 v0, v2, v0
	ds_store_b64 v4, v[0:1]
.LBB157_32:
	s_or_b32 exec_lo, exec_lo, s0
	s_waitcnt lgkmcnt(0)
	s_barrier
	buffer_gl0_inv
	s_and_b32 exec_lo, exec_lo, vcc_lo
	s_cbranch_execz .LBB157_48
; %bb.33:
	s_cmp_eq_u32 s18, 0
	s_cbranch_scc1 .LBB157_42
; %bb.34:
	s_ashr_i32 s13, s12, 31
	v_mov_b32_e32 v0, 0
	s_lshl_b64 s[0:1], s[12:13], 2
	s_delay_alu instid0(SALU_CYCLE_1)
	s_add_u32 s0, s4, s0
	s_addc_u32 s1, s5, s1
	s_branch .LBB157_36
.LBB157_35:                             ;   in Loop: Header=BB157_36 Depth=1
	s_or_b32 exec_lo, exec_lo, s2
	s_waitcnt vmcnt(0)
	v_readfirstlane_b32 s2, v1
	s_delay_alu instid0(VALU_DEP_1)
	s_cmp_eq_u32 s2, s15
	s_cbranch_scc0 .LBB157_41
.LBB157_36:                             ; =>This Inner Loop Header: Depth=1
	v_mbcnt_lo_u32_b32 v1, exec_lo, 0
	s_delay_alu instid0(VALU_DEP_1)
	v_cmp_eq_u32_e32 vcc_lo, 0, v1
                                        ; implicit-def: $vgpr1
	s_and_saveexec_b32 s2, vcc_lo
	s_cbranch_execz .LBB157_35
; %bb.37:                               ;   in Loop: Header=BB157_36 Depth=1
	global_load_b32 v1, v0, s[0:1] glc
	s_branch .LBB157_35
.LBB157_38:
	v_dual_mov_b32 v1, s4 :: v_dual_mov_b32 v2, s5
	flat_load_b32 v5, v[1:2]
	v_cndmask_b32_e64 v1, 0, 1, s6
	v_mov_b32_e32 v6, s5
	s_and_not1_b32 vcc_lo, exec_lo, s6
	s_cbranch_vccnz .LBB157_2
.LBB157_39:
	v_dual_mov_b32 v2, s4 :: v_dual_mov_b32 v3, s5
	flat_load_b32 v6, v[2:3] offset:4
	v_cmp_ne_u32_e32 vcc_lo, 1, v1
	v_mov_b32_e32 v4, s2
	s_cbranch_vccnz .LBB157_3
.LBB157_40:
	v_dual_mov_b32 v2, s2 :: v_dual_mov_b32 v3, s3
	flat_load_b32 v4, v[2:3]
	v_cmp_ne_u32_e32 vcc_lo, 1, v1
	v_mov_b32_e32 v3, s3
	s_cbranch_vccz .LBB157_4
	s_branch .LBB157_5
.LBB157_41:
	v_mov_b32_e32 v0, 0
	global_load_b32 v1, v0, s[10:11]
	s_waitcnt vmcnt(0)
	v_xor_b32_e32 v1, 1, v1
	global_store_b32 v0, v1, s[10:11]
.LBB157_42:
	v_mov_b32_e32 v4, 0
	s_mov_b32 s3, exec_lo
	s_lshl_b64 s[0:1], s[6:7], 3
	v_mbcnt_lo_u32_b32 v2, s3, 0
	s_add_u32 s0, s8, s0
	ds_load_b64 v[0:1], v4
	s_addc_u32 s1, s9, s1
	s_mov_b32 s2, exec_lo
	v_cmpx_eq_u32_e32 0, v2
	s_cbranch_execz .LBB157_45
; %bb.43:
	global_load_b32 v3, v4, s[0:1]
	s_bcnt1_i32_b32 s3, s3
	s_delay_alu instid0(SALU_CYCLE_1) | instskip(SKIP_2) | instid1(VALU_DEP_1)
	v_cvt_f32_ubyte0_e32 v2, s3
	s_mov_b32 s3, 0
	s_waitcnt lgkmcnt(0)
	v_mul_f32_e32 v0, v0, v2
.LBB157_44:                             ; =>This Inner Loop Header: Depth=1
	s_waitcnt vmcnt(0)
	s_delay_alu instid0(VALU_DEP_1)
	v_add_f32_e32 v2, v3, v0
	global_atomic_cmpswap_b32 v2, v4, v[2:3], s[0:1] glc
	s_waitcnt vmcnt(0)
	v_cmp_eq_u32_e32 vcc_lo, v2, v3
	v_mov_b32_e32 v3, v2
	s_or_b32 s3, vcc_lo, s3
	s_delay_alu instid0(SALU_CYCLE_1)
	s_and_not1_b32 exec_lo, exec_lo, s3
	s_cbranch_execnz .LBB157_44
.LBB157_45:
	s_or_b32 exec_lo, exec_lo, s2
	s_delay_alu instid0(SALU_CYCLE_1) | instskip(SKIP_3) | instid1(VALU_DEP_1)
	s_mov_b32 s3, exec_lo
	s_mov_b32 s2, 0
	s_waitcnt lgkmcnt(0)
	v_mbcnt_lo_u32_b32 v0, s3, 0
	v_cmp_eq_u32_e32 vcc_lo, 0, v0
	s_and_b32 s4, exec_lo, vcc_lo
	s_delay_alu instid0(SALU_CYCLE_1)
	s_mov_b32 exec_lo, s4
	s_cbranch_execz .LBB157_48
; %bb.46:
	s_bcnt1_i32_b32 s3, s3
	s_delay_alu instid0(SALU_CYCLE_1) | instskip(NEXT) | instid1(VALU_DEP_1)
	v_cvt_f32_ubyte0_e32 v3, s3
	v_dual_mov_b32 v0, 0 :: v_dual_mul_f32 v3, v1, v3
	global_load_b32 v2, v0, s[0:1] offset:4
.LBB157_47:                             ; =>This Inner Loop Header: Depth=1
	s_waitcnt vmcnt(0)
	v_add_f32_e32 v1, v2, v3
	global_atomic_cmpswap_b32 v1, v0, v[1:2], s[0:1] offset:4 glc
	s_waitcnt vmcnt(0)
	v_cmp_eq_u32_e32 vcc_lo, v1, v2
	v_mov_b32_e32 v2, v1
	s_or_b32 s2, vcc_lo, s2
	s_delay_alu instid0(SALU_CYCLE_1)
	s_and_not1_b32 exec_lo, exec_lo, s2
	s_cbranch_execnz .LBB157_47
.LBB157_48:
	s_nop 0
	s_sendmsg sendmsg(MSG_DEALLOC_VGPRS)
	s_endpgm
	.section	.rodata,"a",@progbits
	.p2align	6, 0x0
	.amdhsa_kernel _ZN9rocsparseL27csrmvn_lrb_long_rows_kernelIiif21rocsparse_complex_numIfES2_S2_EEvbT_PjPT0_S6_jNS_24const_host_device_scalarIT4_EEPKS3_PKS5_PKT1_PKT2_S9_PT3_21rocsparse_index_base_b
		.amdhsa_group_segment_fixed_size 2048
		.amdhsa_private_segment_fixed_size 0
		.amdhsa_kernarg_size 104
		.amdhsa_user_sgpr_count 15
		.amdhsa_user_sgpr_dispatch_ptr 0
		.amdhsa_user_sgpr_queue_ptr 0
		.amdhsa_user_sgpr_kernarg_segment_ptr 1
		.amdhsa_user_sgpr_dispatch_id 0
		.amdhsa_user_sgpr_private_segment_size 0
		.amdhsa_wavefront_size32 1
		.amdhsa_uses_dynamic_stack 0
		.amdhsa_enable_private_segment 0
		.amdhsa_system_sgpr_workgroup_id_x 1
		.amdhsa_system_sgpr_workgroup_id_y 0
		.amdhsa_system_sgpr_workgroup_id_z 0
		.amdhsa_system_sgpr_workgroup_info 0
		.amdhsa_system_vgpr_workitem_id 0
		.amdhsa_next_free_vgpr 13
		.amdhsa_next_free_sgpr 24
		.amdhsa_reserve_vcc 1
		.amdhsa_float_round_mode_32 0
		.amdhsa_float_round_mode_16_64 0
		.amdhsa_float_denorm_mode_32 3
		.amdhsa_float_denorm_mode_16_64 3
		.amdhsa_dx10_clamp 1
		.amdhsa_ieee_mode 1
		.amdhsa_fp16_overflow 0
		.amdhsa_workgroup_processor_mode 1
		.amdhsa_memory_ordered 1
		.amdhsa_forward_progress 0
		.amdhsa_shared_vgpr_count 0
		.amdhsa_exception_fp_ieee_invalid_op 0
		.amdhsa_exception_fp_denorm_src 0
		.amdhsa_exception_fp_ieee_div_zero 0
		.amdhsa_exception_fp_ieee_overflow 0
		.amdhsa_exception_fp_ieee_underflow 0
		.amdhsa_exception_fp_ieee_inexact 0
		.amdhsa_exception_int_div_zero 0
	.end_amdhsa_kernel
	.section	.text._ZN9rocsparseL27csrmvn_lrb_long_rows_kernelIiif21rocsparse_complex_numIfES2_S2_EEvbT_PjPT0_S6_jNS_24const_host_device_scalarIT4_EEPKS3_PKS5_PKT1_PKT2_S9_PT3_21rocsparse_index_base_b,"axG",@progbits,_ZN9rocsparseL27csrmvn_lrb_long_rows_kernelIiif21rocsparse_complex_numIfES2_S2_EEvbT_PjPT0_S6_jNS_24const_host_device_scalarIT4_EEPKS3_PKS5_PKT1_PKT2_S9_PT3_21rocsparse_index_base_b,comdat
.Lfunc_end157:
	.size	_ZN9rocsparseL27csrmvn_lrb_long_rows_kernelIiif21rocsparse_complex_numIfES2_S2_EEvbT_PjPT0_S6_jNS_24const_host_device_scalarIT4_EEPKS3_PKS5_PKT1_PKT2_S9_PT3_21rocsparse_index_base_b, .Lfunc_end157-_ZN9rocsparseL27csrmvn_lrb_long_rows_kernelIiif21rocsparse_complex_numIfES2_S2_EEvbT_PjPT0_S6_jNS_24const_host_device_scalarIT4_EEPKS3_PKS5_PKT1_PKT2_S9_PT3_21rocsparse_index_base_b
                                        ; -- End function
	.section	.AMDGPU.csdata,"",@progbits
; Kernel info:
; codeLenInByte = 2004
; NumSgprs: 26
; NumVgprs: 13
; ScratchSize: 0
; MemoryBound: 0
; FloatMode: 240
; IeeeMode: 1
; LDSByteSize: 2048 bytes/workgroup (compile time only)
; SGPRBlocks: 3
; VGPRBlocks: 1
; NumSGPRsForWavesPerEU: 26
; NumVGPRsForWavesPerEU: 13
; Occupancy: 16
; WaveLimiterHint : 1
; COMPUTE_PGM_RSRC2:SCRATCH_EN: 0
; COMPUTE_PGM_RSRC2:USER_SGPR: 15
; COMPUTE_PGM_RSRC2:TRAP_HANDLER: 0
; COMPUTE_PGM_RSRC2:TGID_X_EN: 1
; COMPUTE_PGM_RSRC2:TGID_Y_EN: 0
; COMPUTE_PGM_RSRC2:TGID_Z_EN: 0
; COMPUTE_PGM_RSRC2:TIDIG_COMP_CNT: 0
	.section	.text._ZN9rocsparseL28csrmvn_lrb_short_rows_kernelIlif21rocsparse_complex_numIfES2_S2_EEvbT_PT0_S5_jNS_24const_host_device_scalarIT4_EEPKS3_PKS4_PKT1_PKT2_S8_PT3_21rocsparse_index_base_b,"axG",@progbits,_ZN9rocsparseL28csrmvn_lrb_short_rows_kernelIlif21rocsparse_complex_numIfES2_S2_EEvbT_PT0_S5_jNS_24const_host_device_scalarIT4_EEPKS3_PKS4_PKT1_PKT2_S8_PT3_21rocsparse_index_base_b,comdat
	.globl	_ZN9rocsparseL28csrmvn_lrb_short_rows_kernelIlif21rocsparse_complex_numIfES2_S2_EEvbT_PT0_S5_jNS_24const_host_device_scalarIT4_EEPKS3_PKS4_PKT1_PKT2_S8_PT3_21rocsparse_index_base_b ; -- Begin function _ZN9rocsparseL28csrmvn_lrb_short_rows_kernelIlif21rocsparse_complex_numIfES2_S2_EEvbT_PT0_S5_jNS_24const_host_device_scalarIT4_EEPKS3_PKS4_PKT1_PKT2_S8_PT3_21rocsparse_index_base_b
	.p2align	8
	.type	_ZN9rocsparseL28csrmvn_lrb_short_rows_kernelIlif21rocsparse_complex_numIfES2_S2_EEvbT_PT0_S5_jNS_24const_host_device_scalarIT4_EEPKS3_PKS4_PKT1_PKT2_S8_PT3_21rocsparse_index_base_b,@function
_ZN9rocsparseL28csrmvn_lrb_short_rows_kernelIlif21rocsparse_complex_numIfES2_S2_EEvbT_PT0_S5_jNS_24const_host_device_scalarIT4_EEPKS3_PKS4_PKT1_PKT2_S8_PT3_21rocsparse_index_base_b: ; @_ZN9rocsparseL28csrmvn_lrb_short_rows_kernelIlif21rocsparse_complex_numIfES2_S2_EEvbT_PT0_S5_jNS_24const_host_device_scalarIT4_EEPKS3_PKS4_PKT1_PKT2_S8_PT3_21rocsparse_index_base_b
; %bb.0:
	s_clause 0x2
	s_load_b64 s[12:13], s[0:1], 0x60
	s_load_b64 s[4:5], s[0:1], 0x28
	;; [unrolled: 1-line block ×3, first 2 shown]
	s_waitcnt lgkmcnt(0)
	s_bitcmp1_b32 s13, 0
	v_mov_b32_e32 v10, s4
	s_cselect_b32 s6, -1, 0
	s_delay_alu instid0(SALU_CYCLE_1)
	s_and_b32 vcc_lo, exec_lo, s6
	s_xor_b32 s6, s6, -1
	s_cbranch_vccz .LBB158_16
; %bb.1:
	v_cndmask_b32_e64 v1, 0, 1, s6
	v_mov_b32_e32 v11, s5
	s_and_not1_b32 vcc_lo, exec_lo, s6
	s_cbranch_vccz .LBB158_17
.LBB158_2:
	s_delay_alu instid0(VALU_DEP_2)
	v_cmp_ne_u32_e32 vcc_lo, 1, v1
	v_mov_b32_e32 v8, s2
	s_cbranch_vccz .LBB158_18
.LBB158_3:
	v_cmp_ne_u32_e32 vcc_lo, 1, v1
	v_mov_b32_e32 v9, s3
	s_cbranch_vccnz .LBB158_5
.LBB158_4:
	v_dual_mov_b32 v1, s2 :: v_dual_mov_b32 v2, s3
	flat_load_b32 v9, v[1:2] offset:4
.LBB158_5:
	s_waitcnt vmcnt(0) lgkmcnt(0)
	v_cmp_eq_f32_e32 vcc_lo, 0, v10
	v_cmp_eq_f32_e64 s2, 0, v11
	s_delay_alu instid0(VALU_DEP_1)
	s_and_b32 s4, vcc_lo, s2
	s_mov_b32 s2, -1
	s_and_saveexec_b32 s3, s4
; %bb.6:
	v_cmp_neq_f32_e32 vcc_lo, 1.0, v8
	v_cmp_neq_f32_e64 s2, 0, v9
	s_delay_alu instid0(VALU_DEP_1) | instskip(NEXT) | instid1(SALU_CYCLE_1)
	s_or_b32 s2, vcc_lo, s2
	s_or_not1_b32 s2, s2, exec_lo
; %bb.7:
	s_or_b32 exec_lo, exec_lo, s3
	s_and_saveexec_b32 s3, s2
	s_cbranch_execz .LBB158_25
; %bb.8:
	s_clause 0x1
	s_load_b32 s2, s[0:1], 0x20
	s_load_b128 s[16:19], s[0:1], 0x10
	s_mov_b32 s3, 0
	s_delay_alu instid0(SALU_CYCLE_1) | instskip(SKIP_2) | instid1(SALU_CYCLE_1)
	s_mov_b32 s7, s3
	s_waitcnt lgkmcnt(0)
	s_lshl_b64 s[4:5], s[2:3], 2
	s_add_u32 s4, s18, s4
	s_addc_u32 s5, s19, s5
	s_add_i32 s6, s2, 1
	s_delay_alu instid0(SALU_CYCLE_1) | instskip(NEXT) | instid1(SALU_CYCLE_1)
	s_lshl_b64 s[6:7], s[6:7], 2
	s_add_u32 s6, s18, s6
	s_addc_u32 s7, s19, s7
	s_clause 0x1
	s_load_b32 s13, s[4:5], 0x0
	s_load_b32 s4, s[6:7], 0x0
	s_lshl_b32 s14, s15, 8
	s_delay_alu instid0(SALU_CYCLE_1) | instskip(SKIP_2) | instid1(SALU_CYCLE_1)
	s_add_i32 s5, s14, 0x100
	s_waitcnt lgkmcnt(0)
	s_sub_i32 s4, s4, s13
	s_min_u32 s15, s4, s5
	s_cmp_gt_u32 s2, 23
	s_cbranch_scc1 .LBB158_19
; %bb.9:
	s_load_b256 s[4:11], s[0:1], 0x30
	v_dual_mov_b32 v5, 0 :: v_dual_mul_f32 v12, 0x80000000, v11
	v_bfe_u32 v6, v0, 0, s2
	v_mul_f32_e32 v13, 0, v10
	v_lshl_add_u32 v14, v0, 3, 0
	s_delay_alu instid0(VALU_DEP_4)
	v_mov_b32_e32 v7, v5
	s_lshl_b32 s18, 0x100, s2
	s_branch .LBB158_11
.LBB158_10:                             ;   in Loop: Header=BB158_11 Depth=1
	s_or_b32 exec_lo, exec_lo, s19
	v_add_nc_u32_e32 v14, 0x800, v14
	s_addk_i32 s3, 0x100
	s_delay_alu instid0(SALU_CYCLE_1)
	s_cmp_ge_u32 s3, s18
	s_cbranch_scc1 .LBB158_19
.LBB158_11:                             ; =>This Inner Loop Header: Depth=1
	v_add_nc_u32_e32 v1, s3, v0
	s_mov_b32 s19, exec_lo
	s_delay_alu instid0(VALU_DEP_1) | instskip(NEXT) | instid1(VALU_DEP_1)
	v_lshrrev_b32_e32 v1, s2, v1
	v_add_nc_u32_e32 v1, s14, v1
	s_delay_alu instid0(VALU_DEP_1)
	v_cmpx_gt_u32_e64 s15, v1
	s_cbranch_execz .LBB158_10
; %bb.12:                               ;   in Loop: Header=BB158_11 Depth=1
	v_add_nc_u32_e32 v4, s13, v1
	s_mov_b32 s20, exec_lo
	s_delay_alu instid0(VALU_DEP_1) | instskip(NEXT) | instid1(VALU_DEP_1)
	v_lshlrev_b64 v[1:2], 2, v[4:5]
	v_add_co_u32 v1, vcc_lo, s16, v1
	s_delay_alu instid0(VALU_DEP_2) | instskip(SKIP_3) | instid1(VALU_DEP_1)
	v_add_co_ci_u32_e32 v2, vcc_lo, s17, v2, vcc_lo
	global_load_b32 v1, v[1:2], off
	s_waitcnt vmcnt(0)
	v_ashrrev_i32_e32 v2, 31, v1
	v_lshlrev_b64 v[1:2], 3, v[1:2]
	s_waitcnt lgkmcnt(0)
	s_delay_alu instid0(VALU_DEP_1) | instskip(NEXT) | instid1(VALU_DEP_2)
	v_add_co_u32 v1, vcc_lo, s4, v1
	v_add_co_ci_u32_e32 v2, vcc_lo, s5, v2, vcc_lo
	global_load_b128 v[1:4], v[1:2], off
	s_waitcnt vmcnt(0)
	v_sub_co_u32 v3, vcc_lo, v3, v1
	v_sub_co_ci_u32_e32 v4, vcc_lo, v4, v2, vcc_lo
	s_delay_alu instid0(VALU_DEP_1)
	v_cmpx_le_i64_e64 v[3:4], v[6:7]
	s_xor_b32 s20, exec_lo, s20
	s_cbranch_execz .LBB158_14
; %bb.13:                               ;   in Loop: Header=BB158_11 Depth=1
	ds_store_2addr_b32 v14, v5, v5 offset1:1
                                        ; implicit-def: $vgpr1_vgpr2
.LBB158_14:                             ;   in Loop: Header=BB158_11 Depth=1
	s_and_not1_saveexec_b32 s20, s20
	s_cbranch_execz .LBB158_10
; %bb.15:                               ;   in Loop: Header=BB158_11 Depth=1
	v_sub_co_u32 v1, vcc_lo, v1, s12
	v_subrev_co_ci_u32_e32 v2, vcc_lo, 0, v2, vcc_lo
	s_delay_alu instid0(VALU_DEP_2) | instskip(NEXT) | instid1(VALU_DEP_2)
	v_add_co_u32 v1, vcc_lo, v1, v6
	v_add_co_ci_u32_e32 v2, vcc_lo, 0, v2, vcc_lo
	s_delay_alu instid0(VALU_DEP_1) | instskip(NEXT) | instid1(VALU_DEP_1)
	v_lshlrev_b64 v[1:2], 2, v[1:2]
	v_add_co_u32 v3, vcc_lo, s6, v1
	s_delay_alu instid0(VALU_DEP_2)
	v_add_co_ci_u32_e32 v4, vcc_lo, s7, v2, vcc_lo
	v_add_co_u32 v1, vcc_lo, s8, v1
	v_add_co_ci_u32_e32 v2, vcc_lo, s9, v2, vcc_lo
	global_load_b32 v3, v[3:4], off
	global_load_b32 v15, v[1:2], off
	s_waitcnt vmcnt(1)
	v_subrev_nc_u32_e32 v3, s12, v3
	s_delay_alu instid0(VALU_DEP_1) | instskip(NEXT) | instid1(VALU_DEP_1)
	v_ashrrev_i32_e32 v4, 31, v3
	v_lshlrev_b64 v[3:4], 3, v[3:4]
	s_delay_alu instid0(VALU_DEP_1) | instskip(NEXT) | instid1(VALU_DEP_2)
	v_add_co_u32 v1, vcc_lo, s10, v3
	v_add_co_ci_u32_e32 v2, vcc_lo, s11, v4, vcc_lo
	s_waitcnt vmcnt(0)
	v_fma_f32 v3, v11, v15, v13
	v_fma_f32 v4, v10, v15, v12
	global_load_b64 v[1:2], v[1:2], off
	s_waitcnt vmcnt(0)
	v_mul_f32_e64 v15, v2, -v3
	v_mul_f32_e32 v2, v4, v2
	s_delay_alu instid0(VALU_DEP_2) | instskip(NEXT) | instid1(VALU_DEP_2)
	v_fmac_f32_e32 v15, v4, v1
	v_fmac_f32_e32 v2, v3, v1
	ds_store_2addr_b32 v14, v15, v2 offset1:1
	s_branch .LBB158_10
.LBB158_16:
	v_dual_mov_b32 v1, s4 :: v_dual_mov_b32 v2, s5
	flat_load_b32 v10, v[1:2]
	v_cndmask_b32_e64 v1, 0, 1, s6
	v_mov_b32_e32 v11, s5
	s_and_not1_b32 vcc_lo, exec_lo, s6
	s_cbranch_vccnz .LBB158_2
.LBB158_17:
	v_dual_mov_b32 v2, s4 :: v_dual_mov_b32 v3, s5
	flat_load_b32 v11, v[2:3] offset:4
	v_cmp_ne_u32_e32 vcc_lo, 1, v1
	v_mov_b32_e32 v8, s2
	s_cbranch_vccnz .LBB158_3
.LBB158_18:
	v_dual_mov_b32 v2, s2 :: v_dual_mov_b32 v3, s3
	flat_load_b32 v8, v[2:3]
	v_cmp_ne_u32_e32 vcc_lo, 1, v1
	v_mov_b32_e32 v9, s3
	s_cbranch_vccz .LBB158_4
	s_branch .LBB158_5
.LBB158_19:
	s_sub_i32 s3, s15, s14
	s_waitcnt lgkmcnt(0)
	v_cmp_gt_u32_e32 vcc_lo, s3, v0
	s_barrier
	buffer_gl0_inv
	s_and_b32 exec_lo, exec_lo, vcc_lo
	s_cbranch_execz .LBB158_25
; %bb.20:
	v_add3_u32 v1, s13, s14, v0
	v_mov_b32_e32 v2, 0
	s_load_b64 s[4:5], s[0:1], 0x58
	v_lshlrev_b32_e32 v0, s2, v0
	s_mov_b32 s0, 1
	s_delay_alu instid0(VALU_DEP_2) | instskip(SKIP_1) | instid1(VALU_DEP_3)
	v_lshlrev_b64 v[3:4], 2, v[1:2]
	v_mov_b32_e32 v1, v2
	v_lshl_add_u32 v0, v0, 3, 0
	s_delay_alu instid0(VALU_DEP_3) | instskip(NEXT) | instid1(VALU_DEP_4)
	v_add_co_u32 v3, vcc_lo, s16, v3
	v_add_co_ci_u32_e32 v4, vcc_lo, s17, v4, vcc_lo
	global_load_b32 v3, v[3:4], off
.LBB158_21:                             ; =>This Inner Loop Header: Depth=1
	ds_load_2addr_b32 v[4:5], v0 offset1:1
	v_add_nc_u32_e32 v0, 8, v0
	s_lshr_b32 s1, s0, s2
	s_add_i32 s0, s0, 1
	s_cmp_lg_u32 s1, 0
	s_waitcnt lgkmcnt(0)
	v_dual_add_f32 v1, v1, v4 :: v_dual_add_f32 v2, v2, v5
	s_cbranch_scc0 .LBB158_21
; %bb.22:
	s_waitcnt vmcnt(0)
	v_ashrrev_i32_e32 v4, 31, v3
	v_cmp_neq_f32_e32 vcc_lo, 0, v8
	v_cmp_neq_f32_e64 s0, 0, v9
	s_delay_alu instid0(VALU_DEP_3) | instskip(NEXT) | instid1(VALU_DEP_2)
	v_lshlrev_b64 v[3:4], 3, v[3:4]
	s_or_b32 s1, vcc_lo, s0
	s_delay_alu instid0(SALU_CYCLE_1)
	s_and_saveexec_b32 s0, s1
	s_cbranch_execz .LBB158_24
; %bb.23:
	s_delay_alu instid0(VALU_DEP_1) | instskip(NEXT) | instid1(VALU_DEP_2)
	v_add_co_u32 v5, vcc_lo, s4, v3
	v_add_co_ci_u32_e32 v6, vcc_lo, s5, v4, vcc_lo
	global_load_b64 v[5:6], v[5:6], off
	s_waitcnt vmcnt(0)
	v_fmac_f32_e32 v1, v8, v5
	v_fmac_f32_e32 v2, v9, v5
	s_delay_alu instid0(VALU_DEP_2) | instskip(NEXT) | instid1(VALU_DEP_2)
	v_fma_f32 v1, -v9, v6, v1
	v_fmac_f32_e32 v2, v8, v6
.LBB158_24:
	s_or_b32 exec_lo, exec_lo, s0
	s_delay_alu instid0(VALU_DEP_1)
	v_add_co_u32 v3, vcc_lo, s4, v3
	v_add_co_ci_u32_e32 v4, vcc_lo, s5, v4, vcc_lo
	global_store_b64 v[3:4], v[1:2], off
.LBB158_25:
	s_nop 0
	s_sendmsg sendmsg(MSG_DEALLOC_VGPRS)
	s_endpgm
	.section	.rodata,"a",@progbits
	.p2align	6, 0x0
	.amdhsa_kernel _ZN9rocsparseL28csrmvn_lrb_short_rows_kernelIlif21rocsparse_complex_numIfES2_S2_EEvbT_PT0_S5_jNS_24const_host_device_scalarIT4_EEPKS3_PKS4_PKT1_PKT2_S8_PT3_21rocsparse_index_base_b
		.amdhsa_group_segment_fixed_size 0
		.amdhsa_private_segment_fixed_size 0
		.amdhsa_kernarg_size 104
		.amdhsa_user_sgpr_count 15
		.amdhsa_user_sgpr_dispatch_ptr 0
		.amdhsa_user_sgpr_queue_ptr 0
		.amdhsa_user_sgpr_kernarg_segment_ptr 1
		.amdhsa_user_sgpr_dispatch_id 0
		.amdhsa_user_sgpr_private_segment_size 0
		.amdhsa_wavefront_size32 1
		.amdhsa_uses_dynamic_stack 0
		.amdhsa_enable_private_segment 0
		.amdhsa_system_sgpr_workgroup_id_x 1
		.amdhsa_system_sgpr_workgroup_id_y 0
		.amdhsa_system_sgpr_workgroup_id_z 0
		.amdhsa_system_sgpr_workgroup_info 0
		.amdhsa_system_vgpr_workitem_id 0
		.amdhsa_next_free_vgpr 16
		.amdhsa_next_free_sgpr 21
		.amdhsa_reserve_vcc 1
		.amdhsa_float_round_mode_32 0
		.amdhsa_float_round_mode_16_64 0
		.amdhsa_float_denorm_mode_32 3
		.amdhsa_float_denorm_mode_16_64 3
		.amdhsa_dx10_clamp 1
		.amdhsa_ieee_mode 1
		.amdhsa_fp16_overflow 0
		.amdhsa_workgroup_processor_mode 1
		.amdhsa_memory_ordered 1
		.amdhsa_forward_progress 0
		.amdhsa_shared_vgpr_count 0
		.amdhsa_exception_fp_ieee_invalid_op 0
		.amdhsa_exception_fp_denorm_src 0
		.amdhsa_exception_fp_ieee_div_zero 0
		.amdhsa_exception_fp_ieee_overflow 0
		.amdhsa_exception_fp_ieee_underflow 0
		.amdhsa_exception_fp_ieee_inexact 0
		.amdhsa_exception_int_div_zero 0
	.end_amdhsa_kernel
	.section	.text._ZN9rocsparseL28csrmvn_lrb_short_rows_kernelIlif21rocsparse_complex_numIfES2_S2_EEvbT_PT0_S5_jNS_24const_host_device_scalarIT4_EEPKS3_PKS4_PKT1_PKT2_S8_PT3_21rocsparse_index_base_b,"axG",@progbits,_ZN9rocsparseL28csrmvn_lrb_short_rows_kernelIlif21rocsparse_complex_numIfES2_S2_EEvbT_PT0_S5_jNS_24const_host_device_scalarIT4_EEPKS3_PKS4_PKT1_PKT2_S8_PT3_21rocsparse_index_base_b,comdat
.Lfunc_end158:
	.size	_ZN9rocsparseL28csrmvn_lrb_short_rows_kernelIlif21rocsparse_complex_numIfES2_S2_EEvbT_PT0_S5_jNS_24const_host_device_scalarIT4_EEPKS3_PKS4_PKT1_PKT2_S8_PT3_21rocsparse_index_base_b, .Lfunc_end158-_ZN9rocsparseL28csrmvn_lrb_short_rows_kernelIlif21rocsparse_complex_numIfES2_S2_EEvbT_PT0_S5_jNS_24const_host_device_scalarIT4_EEPKS3_PKS4_PKT1_PKT2_S8_PT3_21rocsparse_index_base_b
                                        ; -- End function
	.section	.AMDGPU.csdata,"",@progbits
; Kernel info:
; codeLenInByte = 1156
; NumSgprs: 23
; NumVgprs: 16
; ScratchSize: 0
; MemoryBound: 0
; FloatMode: 240
; IeeeMode: 1
; LDSByteSize: 0 bytes/workgroup (compile time only)
; SGPRBlocks: 2
; VGPRBlocks: 1
; NumSGPRsForWavesPerEU: 23
; NumVGPRsForWavesPerEU: 16
; Occupancy: 16
; WaveLimiterHint : 1
; COMPUTE_PGM_RSRC2:SCRATCH_EN: 0
; COMPUTE_PGM_RSRC2:USER_SGPR: 15
; COMPUTE_PGM_RSRC2:TRAP_HANDLER: 0
; COMPUTE_PGM_RSRC2:TGID_X_EN: 1
; COMPUTE_PGM_RSRC2:TGID_Y_EN: 0
; COMPUTE_PGM_RSRC2:TGID_Z_EN: 0
; COMPUTE_PGM_RSRC2:TIDIG_COMP_CNT: 0
	.section	.text._ZN9rocsparseL30csrmvn_lrb_short_rows_2_kernelIlif21rocsparse_complex_numIfES2_S2_EEvbT_PT0_S5_jNS_24const_host_device_scalarIT4_EEPKS3_PKS4_PKT1_PKT2_S8_PT3_21rocsparse_index_base_b,"axG",@progbits,_ZN9rocsparseL30csrmvn_lrb_short_rows_2_kernelIlif21rocsparse_complex_numIfES2_S2_EEvbT_PT0_S5_jNS_24const_host_device_scalarIT4_EEPKS3_PKS4_PKT1_PKT2_S8_PT3_21rocsparse_index_base_b,comdat
	.globl	_ZN9rocsparseL30csrmvn_lrb_short_rows_2_kernelIlif21rocsparse_complex_numIfES2_S2_EEvbT_PT0_S5_jNS_24const_host_device_scalarIT4_EEPKS3_PKS4_PKT1_PKT2_S8_PT3_21rocsparse_index_base_b ; -- Begin function _ZN9rocsparseL30csrmvn_lrb_short_rows_2_kernelIlif21rocsparse_complex_numIfES2_S2_EEvbT_PT0_S5_jNS_24const_host_device_scalarIT4_EEPKS3_PKS4_PKT1_PKT2_S8_PT3_21rocsparse_index_base_b
	.p2align	8
	.type	_ZN9rocsparseL30csrmvn_lrb_short_rows_2_kernelIlif21rocsparse_complex_numIfES2_S2_EEvbT_PT0_S5_jNS_24const_host_device_scalarIT4_EEPKS3_PKS4_PKT1_PKT2_S8_PT3_21rocsparse_index_base_b,@function
_ZN9rocsparseL30csrmvn_lrb_short_rows_2_kernelIlif21rocsparse_complex_numIfES2_S2_EEvbT_PT0_S5_jNS_24const_host_device_scalarIT4_EEPKS3_PKS4_PKT1_PKT2_S8_PT3_21rocsparse_index_base_b: ; @_ZN9rocsparseL30csrmvn_lrb_short_rows_2_kernelIlif21rocsparse_complex_numIfES2_S2_EEvbT_PT0_S5_jNS_24const_host_device_scalarIT4_EEPKS3_PKS4_PKT1_PKT2_S8_PT3_21rocsparse_index_base_b
; %bb.0:
	s_clause 0x2
	s_load_b64 s[12:13], s[0:1], 0x60
	s_load_b64 s[4:5], s[0:1], 0x28
	;; [unrolled: 1-line block ×3, first 2 shown]
	s_waitcnt lgkmcnt(0)
	s_bitcmp1_b32 s13, 0
	v_mov_b32_e32 v11, s4
	s_cselect_b32 s6, -1, 0
	s_delay_alu instid0(SALU_CYCLE_1)
	s_and_b32 vcc_lo, exec_lo, s6
	s_xor_b32 s6, s6, -1
	s_cbranch_vccz .LBB159_38
; %bb.1:
	v_cndmask_b32_e64 v1, 0, 1, s6
	v_mov_b32_e32 v12, s5
	s_and_not1_b32 vcc_lo, exec_lo, s6
	s_cbranch_vccz .LBB159_39
.LBB159_2:
	s_delay_alu instid0(VALU_DEP_2)
	v_cmp_ne_u32_e32 vcc_lo, 1, v1
	v_mov_b32_e32 v9, s2
	s_cbranch_vccz .LBB159_40
.LBB159_3:
	v_cmp_ne_u32_e32 vcc_lo, 1, v1
	v_mov_b32_e32 v10, s3
	s_cbranch_vccnz .LBB159_5
.LBB159_4:
	v_dual_mov_b32 v1, s2 :: v_dual_mov_b32 v2, s3
	flat_load_b32 v10, v[1:2] offset:4
.LBB159_5:
	s_waitcnt vmcnt(0) lgkmcnt(0)
	v_cmp_eq_f32_e32 vcc_lo, 0, v11
	v_cmp_eq_f32_e64 s2, 0, v12
	s_delay_alu instid0(VALU_DEP_1)
	s_and_b32 s4, vcc_lo, s2
	s_mov_b32 s2, -1
	s_and_saveexec_b32 s3, s4
; %bb.6:
	v_cmp_neq_f32_e32 vcc_lo, 1.0, v9
	v_cmp_neq_f32_e64 s2, 0, v10
	s_delay_alu instid0(VALU_DEP_1) | instskip(NEXT) | instid1(SALU_CYCLE_1)
	s_or_b32 s2, vcc_lo, s2
	s_or_not1_b32 s2, s2, exec_lo
; %bb.7:
	s_or_b32 exec_lo, exec_lo, s3
	s_and_saveexec_b32 s3, s2
	s_cbranch_execz .LBB159_37
; %bb.8:
	s_clause 0x1
	s_load_b32 s2, s[0:1], 0x20
	s_load_b128 s[16:19], s[0:1], 0x10
	s_mov_b32 s3, 0
	v_dual_mul_f32 v13, 0x80000000, v12 :: v_dual_mul_f32 v14, 0, v11
	s_mov_b32 s7, s3
	s_waitcnt lgkmcnt(0)
	s_lshl_b64 s[4:5], s[2:3], 2
	v_lshrrev_b32_e32 v1, s2, v0
	s_add_u32 s4, s18, s4
	s_addc_u32 s5, s19, s5
	s_add_i32 s6, s2, 1
	v_bfe_u32 v5, v0, 0, s2
	s_lshl_b64 s[6:7], s[6:7], 2
	s_delay_alu instid0(SALU_CYCLE_1)
	s_add_u32 s6, s18, s6
	s_addc_u32 s7, s19, s7
	s_clause 0x1
	s_load_b32 s13, s[4:5], 0x0
	s_load_b32 s18, s[6:7], 0x0
	s_load_b256 s[4:11], s[0:1], 0x30
	s_lshr_b32 s3, 0x400, s2
	s_delay_alu instid0(SALU_CYCLE_1) | instskip(NEXT) | instid1(SALU_CYCLE_1)
	s_mul_i32 s14, s3, s15
	v_dual_mov_b32 v6, 0 :: v_dual_add_nc_u32 v1, s14, v1
	s_add_i32 s15, s14, s3
	s_waitcnt lgkmcnt(0)
	s_sub_i32 s18, s18, s13
	s_delay_alu instid0(SALU_CYCLE_1)
	s_min_u32 s15, s18, s15
	s_mov_b32 s18, exec_lo
	v_cmpx_gt_u32_e64 s15, v1
	s_cbranch_execz .LBB159_13
; %bb.9:
	v_dual_mov_b32 v2, v6 :: v_dual_add_nc_u32 v1, s13, v1
	s_mov_b32 s19, exec_lo
	s_delay_alu instid0(VALU_DEP_1) | instskip(NEXT) | instid1(VALU_DEP_1)
	v_lshlrev_b64 v[1:2], 2, v[1:2]
	v_add_co_u32 v1, vcc_lo, s16, v1
	s_delay_alu instid0(VALU_DEP_2) | instskip(SKIP_3) | instid1(VALU_DEP_1)
	v_add_co_ci_u32_e32 v2, vcc_lo, s17, v2, vcc_lo
	global_load_b32 v1, v[1:2], off
	s_waitcnt vmcnt(0)
	v_ashrrev_i32_e32 v2, 31, v1
	v_lshlrev_b64 v[1:2], 3, v[1:2]
	s_delay_alu instid0(VALU_DEP_1) | instskip(NEXT) | instid1(VALU_DEP_2)
	v_add_co_u32 v1, vcc_lo, s4, v1
	v_add_co_ci_u32_e32 v2, vcc_lo, s5, v2, vcc_lo
	global_load_b128 v[1:4], v[1:2], off
	s_waitcnt vmcnt(0)
	v_sub_co_u32 v3, vcc_lo, v3, v1
	v_sub_co_ci_u32_e32 v4, vcc_lo, v4, v2, vcc_lo
	s_delay_alu instid0(VALU_DEP_1)
	v_cmpx_le_i64_e64 v[3:4], v[5:6]
	s_xor_b32 s19, exec_lo, s19
	s_cbranch_execz .LBB159_11
; %bb.10:
	v_mov_b32_e32 v1, 0
	s_delay_alu instid0(VALU_DEP_1)
	v_dual_mov_b32 v2, v1 :: v_dual_lshlrev_b32 v3, 3, v0
	ds_store_b64 v3, v[1:2]
                                        ; implicit-def: $vgpr1_vgpr2
.LBB159_11:
	s_and_not1_saveexec_b32 s19, s19
	s_cbranch_execz .LBB159_13
; %bb.12:
	v_sub_co_u32 v1, vcc_lo, v1, s12
	v_subrev_co_ci_u32_e32 v2, vcc_lo, 0, v2, vcc_lo
	s_delay_alu instid0(VALU_DEP_2) | instskip(NEXT) | instid1(VALU_DEP_2)
	v_add_co_u32 v1, vcc_lo, v1, v5
	v_add_co_ci_u32_e32 v2, vcc_lo, 0, v2, vcc_lo
	s_delay_alu instid0(VALU_DEP_1) | instskip(NEXT) | instid1(VALU_DEP_1)
	v_lshlrev_b64 v[1:2], 2, v[1:2]
	v_add_co_u32 v3, vcc_lo, s6, v1
	s_delay_alu instid0(VALU_DEP_2)
	v_add_co_ci_u32_e32 v4, vcc_lo, s7, v2, vcc_lo
	v_add_co_u32 v1, vcc_lo, s8, v1
	v_add_co_ci_u32_e32 v2, vcc_lo, s9, v2, vcc_lo
	global_load_b32 v3, v[3:4], off
	global_load_b32 v7, v[1:2], off
	s_waitcnt vmcnt(1)
	v_subrev_nc_u32_e32 v3, s12, v3
	s_waitcnt vmcnt(0)
	v_fma_f32 v8, v12, v7, v14
	v_fma_f32 v7, v11, v7, v13
	s_delay_alu instid0(VALU_DEP_3) | instskip(NEXT) | instid1(VALU_DEP_1)
	v_ashrrev_i32_e32 v4, 31, v3
	v_lshlrev_b64 v[3:4], 3, v[3:4]
	s_delay_alu instid0(VALU_DEP_1) | instskip(NEXT) | instid1(VALU_DEP_2)
	v_add_co_u32 v1, vcc_lo, s10, v3
	v_add_co_ci_u32_e32 v2, vcc_lo, s11, v4, vcc_lo
	global_load_b64 v[1:2], v[1:2], off
	s_waitcnt vmcnt(0)
	v_mul_f32_e64 v3, v2, -v8
	v_mul_f32_e32 v4, v7, v2
	s_delay_alu instid0(VALU_DEP_2) | instskip(NEXT) | instid1(VALU_DEP_2)
	v_fmac_f32_e32 v3, v7, v1
	v_dual_fmac_f32 v4, v8, v1 :: v_dual_lshlrev_b32 v1, 3, v0
	ds_store_b64 v1, v[3:4]
.LBB159_13:
	s_or_b32 exec_lo, exec_lo, s18
	v_or_b32_e32 v1, 0x100, v0
	s_mov_b32 s18, exec_lo
	s_delay_alu instid0(VALU_DEP_1) | instskip(NEXT) | instid1(VALU_DEP_1)
	v_lshrrev_b32_e32 v1, s2, v1
	v_add_nc_u32_e32 v1, s14, v1
	s_delay_alu instid0(VALU_DEP_1)
	v_cmpx_gt_u32_e64 s15, v1
	s_cbranch_execz .LBB159_18
; %bb.14:
	v_dual_mov_b32 v8, 0 :: v_dual_add_nc_u32 v7, s13, v1
	s_mov_b32 s19, exec_lo
	s_delay_alu instid0(VALU_DEP_1) | instskip(NEXT) | instid1(VALU_DEP_1)
	v_lshlrev_b64 v[1:2], 2, v[7:8]
	v_add_co_u32 v1, vcc_lo, s16, v1
	s_delay_alu instid0(VALU_DEP_2) | instskip(SKIP_3) | instid1(VALU_DEP_1)
	v_add_co_ci_u32_e32 v2, vcc_lo, s17, v2, vcc_lo
	global_load_b32 v1, v[1:2], off
	s_waitcnt vmcnt(0)
	v_ashrrev_i32_e32 v2, 31, v1
	v_lshlrev_b64 v[1:2], 3, v[1:2]
	s_delay_alu instid0(VALU_DEP_1) | instskip(NEXT) | instid1(VALU_DEP_2)
	v_add_co_u32 v1, vcc_lo, s4, v1
	v_add_co_ci_u32_e32 v2, vcc_lo, s5, v2, vcc_lo
	global_load_b128 v[1:4], v[1:2], off
	s_waitcnt vmcnt(0)
	v_sub_co_u32 v3, vcc_lo, v3, v1
	v_sub_co_ci_u32_e32 v4, vcc_lo, v4, v2, vcc_lo
	s_delay_alu instid0(VALU_DEP_1)
	v_cmpx_le_i64_e64 v[3:4], v[5:6]
	s_xor_b32 s19, exec_lo, s19
	s_cbranch_execz .LBB159_16
; %bb.15:
	v_lshlrev_b32_e32 v1, 3, v0
	v_mov_b32_e32 v7, v8
	ds_store_b64 v1, v[7:8] offset:2048
                                        ; implicit-def: $vgpr1_vgpr2
.LBB159_16:
	s_and_not1_saveexec_b32 s19, s19
	s_cbranch_execz .LBB159_18
; %bb.17:
	v_sub_co_u32 v1, vcc_lo, v1, s12
	v_subrev_co_ci_u32_e32 v2, vcc_lo, 0, v2, vcc_lo
	s_delay_alu instid0(VALU_DEP_2) | instskip(NEXT) | instid1(VALU_DEP_2)
	v_add_co_u32 v1, vcc_lo, v1, v5
	v_add_co_ci_u32_e32 v2, vcc_lo, 0, v2, vcc_lo
	s_delay_alu instid0(VALU_DEP_1) | instskip(NEXT) | instid1(VALU_DEP_1)
	v_lshlrev_b64 v[1:2], 2, v[1:2]
	v_add_co_u32 v3, vcc_lo, s6, v1
	s_delay_alu instid0(VALU_DEP_2)
	v_add_co_ci_u32_e32 v4, vcc_lo, s7, v2, vcc_lo
	v_add_co_u32 v1, vcc_lo, s8, v1
	v_add_co_ci_u32_e32 v2, vcc_lo, s9, v2, vcc_lo
	global_load_b32 v3, v[3:4], off
	global_load_b32 v7, v[1:2], off
	s_waitcnt vmcnt(1)
	v_subrev_nc_u32_e32 v3, s12, v3
	s_waitcnt vmcnt(0)
	v_fma_f32 v8, v12, v7, v14
	v_fma_f32 v7, v11, v7, v13
	s_delay_alu instid0(VALU_DEP_3) | instskip(NEXT) | instid1(VALU_DEP_1)
	v_ashrrev_i32_e32 v4, 31, v3
	v_lshlrev_b64 v[3:4], 3, v[3:4]
	s_delay_alu instid0(VALU_DEP_1) | instskip(NEXT) | instid1(VALU_DEP_2)
	v_add_co_u32 v1, vcc_lo, s10, v3
	v_add_co_ci_u32_e32 v2, vcc_lo, s11, v4, vcc_lo
	global_load_b64 v[1:2], v[1:2], off
	s_waitcnt vmcnt(0)
	v_mul_f32_e64 v3, v2, -v8
	v_mul_f32_e32 v4, v7, v2
	s_delay_alu instid0(VALU_DEP_2) | instskip(NEXT) | instid1(VALU_DEP_2)
	v_fmac_f32_e32 v3, v7, v1
	v_dual_fmac_f32 v4, v8, v1 :: v_dual_lshlrev_b32 v1, 3, v0
	ds_store_b64 v1, v[3:4] offset:2048
.LBB159_18:
	s_or_b32 exec_lo, exec_lo, s18
	v_or_b32_e32 v1, 0x200, v0
	s_mov_b32 s18, exec_lo
	s_delay_alu instid0(VALU_DEP_1) | instskip(NEXT) | instid1(VALU_DEP_1)
	v_lshrrev_b32_e32 v1, s2, v1
	v_add_nc_u32_e32 v1, s14, v1
	s_delay_alu instid0(VALU_DEP_1)
	v_cmpx_gt_u32_e64 s15, v1
	s_cbranch_execz .LBB159_23
; %bb.19:
	v_dual_mov_b32 v8, 0 :: v_dual_add_nc_u32 v7, s13, v1
	s_mov_b32 s19, exec_lo
	s_delay_alu instid0(VALU_DEP_1) | instskip(NEXT) | instid1(VALU_DEP_1)
	v_lshlrev_b64 v[1:2], 2, v[7:8]
	v_add_co_u32 v1, vcc_lo, s16, v1
	s_delay_alu instid0(VALU_DEP_2) | instskip(SKIP_3) | instid1(VALU_DEP_1)
	v_add_co_ci_u32_e32 v2, vcc_lo, s17, v2, vcc_lo
	global_load_b32 v1, v[1:2], off
	s_waitcnt vmcnt(0)
	v_ashrrev_i32_e32 v2, 31, v1
	v_lshlrev_b64 v[1:2], 3, v[1:2]
	s_delay_alu instid0(VALU_DEP_1) | instskip(NEXT) | instid1(VALU_DEP_2)
	v_add_co_u32 v1, vcc_lo, s4, v1
	v_add_co_ci_u32_e32 v2, vcc_lo, s5, v2, vcc_lo
	global_load_b128 v[1:4], v[1:2], off
	s_waitcnt vmcnt(0)
	v_sub_co_u32 v3, vcc_lo, v3, v1
	v_sub_co_ci_u32_e32 v4, vcc_lo, v4, v2, vcc_lo
	s_delay_alu instid0(VALU_DEP_1)
	v_cmpx_le_i64_e64 v[3:4], v[5:6]
	s_xor_b32 s19, exec_lo, s19
	s_cbranch_execz .LBB159_21
; %bb.20:
	v_lshlrev_b32_e32 v1, 3, v0
	v_mov_b32_e32 v7, v8
	ds_store_b64 v1, v[7:8] offset:4096
                                        ; implicit-def: $vgpr1_vgpr2
.LBB159_21:
	s_and_not1_saveexec_b32 s19, s19
	s_cbranch_execz .LBB159_23
; %bb.22:
	v_sub_co_u32 v1, vcc_lo, v1, s12
	v_subrev_co_ci_u32_e32 v2, vcc_lo, 0, v2, vcc_lo
	s_delay_alu instid0(VALU_DEP_2) | instskip(NEXT) | instid1(VALU_DEP_2)
	v_add_co_u32 v1, vcc_lo, v1, v5
	v_add_co_ci_u32_e32 v2, vcc_lo, 0, v2, vcc_lo
	s_delay_alu instid0(VALU_DEP_1) | instskip(NEXT) | instid1(VALU_DEP_1)
	v_lshlrev_b64 v[1:2], 2, v[1:2]
	v_add_co_u32 v3, vcc_lo, s6, v1
	s_delay_alu instid0(VALU_DEP_2)
	v_add_co_ci_u32_e32 v4, vcc_lo, s7, v2, vcc_lo
	v_add_co_u32 v1, vcc_lo, s8, v1
	v_add_co_ci_u32_e32 v2, vcc_lo, s9, v2, vcc_lo
	global_load_b32 v3, v[3:4], off
	global_load_b32 v7, v[1:2], off
	s_waitcnt vmcnt(1)
	v_subrev_nc_u32_e32 v3, s12, v3
	s_waitcnt vmcnt(0)
	v_fma_f32 v8, v12, v7, v14
	v_fma_f32 v7, v11, v7, v13
	s_delay_alu instid0(VALU_DEP_3) | instskip(NEXT) | instid1(VALU_DEP_1)
	v_ashrrev_i32_e32 v4, 31, v3
	v_lshlrev_b64 v[3:4], 3, v[3:4]
	s_delay_alu instid0(VALU_DEP_1) | instskip(NEXT) | instid1(VALU_DEP_2)
	v_add_co_u32 v1, vcc_lo, s10, v3
	v_add_co_ci_u32_e32 v2, vcc_lo, s11, v4, vcc_lo
	global_load_b64 v[1:2], v[1:2], off
	s_waitcnt vmcnt(0)
	v_mul_f32_e64 v3, v2, -v8
	v_mul_f32_e32 v4, v7, v2
	s_delay_alu instid0(VALU_DEP_2) | instskip(NEXT) | instid1(VALU_DEP_2)
	v_fmac_f32_e32 v3, v7, v1
	v_dual_fmac_f32 v4, v8, v1 :: v_dual_lshlrev_b32 v1, 3, v0
	ds_store_b64 v1, v[3:4] offset:4096
.LBB159_23:
	s_or_b32 exec_lo, exec_lo, s18
	v_or_b32_e32 v1, 0x300, v0
	s_mov_b32 s18, exec_lo
	s_delay_alu instid0(VALU_DEP_1) | instskip(NEXT) | instid1(VALU_DEP_1)
	v_lshrrev_b32_e32 v1, s2, v1
	v_add_nc_u32_e32 v1, s14, v1
	s_delay_alu instid0(VALU_DEP_1)
	v_cmpx_gt_u32_e64 s15, v1
	s_cbranch_execz .LBB159_28
; %bb.24:
	v_dual_mov_b32 v8, 0 :: v_dual_add_nc_u32 v7, s13, v1
	s_delay_alu instid0(VALU_DEP_1) | instskip(NEXT) | instid1(VALU_DEP_1)
	v_lshlrev_b64 v[1:2], 2, v[7:8]
	v_add_co_u32 v1, vcc_lo, s16, v1
	s_delay_alu instid0(VALU_DEP_2) | instskip(SKIP_3) | instid1(VALU_DEP_1)
	v_add_co_ci_u32_e32 v2, vcc_lo, s17, v2, vcc_lo
	global_load_b32 v1, v[1:2], off
	s_waitcnt vmcnt(0)
	v_ashrrev_i32_e32 v2, 31, v1
	v_lshlrev_b64 v[1:2], 3, v[1:2]
	s_delay_alu instid0(VALU_DEP_1) | instskip(NEXT) | instid1(VALU_DEP_2)
	v_add_co_u32 v1, vcc_lo, s4, v1
	v_add_co_ci_u32_e32 v2, vcc_lo, s5, v2, vcc_lo
	global_load_b128 v[1:4], v[1:2], off
	s_waitcnt vmcnt(0)
	v_sub_co_u32 v3, vcc_lo, v3, v1
	v_sub_co_ci_u32_e32 v4, vcc_lo, v4, v2, vcc_lo
	s_delay_alu instid0(VALU_DEP_1) | instskip(SKIP_2) | instid1(SALU_CYCLE_1)
	v_cmp_le_i64_e32 vcc_lo, v[3:4], v[5:6]
	v_lshlrev_b32_e32 v3, 3, v0
	s_and_saveexec_b32 s4, vcc_lo
	s_xor_b32 s4, exec_lo, s4
	s_cbranch_execz .LBB159_26
; %bb.25:
	v_mov_b32_e32 v7, v8
                                        ; implicit-def: $vgpr1_vgpr2
                                        ; implicit-def: $vgpr5_vgpr6
                                        ; implicit-def: $vgpr11
                                        ; implicit-def: $vgpr13
                                        ; implicit-def: $vgpr12
                                        ; implicit-def: $vgpr14
	ds_store_b64 v3, v[7:8] offset:6144
                                        ; implicit-def: $vgpr3
.LBB159_26:
	s_and_not1_saveexec_b32 s4, s4
	s_cbranch_execz .LBB159_28
; %bb.27:
	v_sub_co_u32 v1, vcc_lo, v1, s12
	v_subrev_co_ci_u32_e32 v2, vcc_lo, 0, v2, vcc_lo
	s_delay_alu instid0(VALU_DEP_2) | instskip(NEXT) | instid1(VALU_DEP_2)
	v_add_co_u32 v1, vcc_lo, v1, v5
	v_add_co_ci_u32_e32 v2, vcc_lo, 0, v2, vcc_lo
	s_delay_alu instid0(VALU_DEP_1) | instskip(NEXT) | instid1(VALU_DEP_1)
	v_lshlrev_b64 v[1:2], 2, v[1:2]
	v_add_co_u32 v4, vcc_lo, s6, v1
	s_delay_alu instid0(VALU_DEP_2)
	v_add_co_ci_u32_e32 v5, vcc_lo, s7, v2, vcc_lo
	v_add_co_u32 v1, vcc_lo, s8, v1
	v_add_co_ci_u32_e32 v2, vcc_lo, s9, v2, vcc_lo
	global_load_b32 v4, v[4:5], off
	global_load_b32 v6, v[1:2], off
	s_waitcnt vmcnt(1)
	v_subrev_nc_u32_e32 v4, s12, v4
	s_waitcnt vmcnt(0)
	v_fmac_f32_e32 v14, v12, v6
	v_fmac_f32_e32 v13, v11, v6
	s_delay_alu instid0(VALU_DEP_3) | instskip(NEXT) | instid1(VALU_DEP_1)
	v_ashrrev_i32_e32 v5, 31, v4
	v_lshlrev_b64 v[4:5], 3, v[4:5]
	s_delay_alu instid0(VALU_DEP_1) | instskip(NEXT) | instid1(VALU_DEP_2)
	v_add_co_u32 v1, vcc_lo, s10, v4
	v_add_co_ci_u32_e32 v2, vcc_lo, s11, v5, vcc_lo
	global_load_b64 v[1:2], v[1:2], off
	s_waitcnt vmcnt(0)
	v_mul_f32_e64 v4, v2, -v14
	v_mul_f32_e32 v5, v13, v2
	s_delay_alu instid0(VALU_DEP_2) | instskip(NEXT) | instid1(VALU_DEP_2)
	v_fmac_f32_e32 v4, v13, v1
	v_fmac_f32_e32 v5, v14, v1
	ds_store_b64 v3, v[4:5] offset:6144
.LBB159_28:
	s_or_b32 exec_lo, exec_lo, s18
	s_cmp_lt_u32 s2, 11
	s_waitcnt lgkmcnt(0)
	s_barrier
	buffer_gl0_inv
	s_cbranch_scc0 .LBB159_37
; %bb.29:
	s_load_b64 s[4:5], s[0:1], 0x58
	v_cmp_neq_f32_e32 vcc_lo, 0, v9
	v_cmp_neq_f32_e64 s0, 0, v10
	v_mov_b32_e32 v2, 0
	s_sub_i32 s1, s15, s14
	s_add_i32 s13, s13, s14
	s_mov_b32 s6, 0
	s_or_b32 s0, vcc_lo, s0
	s_branch .LBB159_32
.LBB159_30:                             ;   in Loop: Header=BB159_32 Depth=1
	s_or_b32 exec_lo, exec_lo, s8
	s_delay_alu instid0(VALU_DEP_1) | instskip(NEXT) | instid1(VALU_DEP_2)
	v_add_co_u32 v5, vcc_lo, s4, v5
	v_add_co_ci_u32_e32 v6, vcc_lo, s5, v6, vcc_lo
	global_store_b64 v[5:6], v[3:4], off
.LBB159_31:                             ;   in Loop: Header=BB159_32 Depth=1
	s_or_b32 exec_lo, exec_lo, s7
	s_addk_i32 s6, 0x100
	s_delay_alu instid0(SALU_CYCLE_1)
	s_cmp_lt_u32 s6, s3
	s_cbranch_scc0 .LBB159_37
.LBB159_32:                             ; =>This Loop Header: Depth=1
                                        ;     Child Loop BB159_34 Depth 2
	v_add_nc_u32_e32 v3, s6, v0
	s_mov_b32 s7, exec_lo
	s_delay_alu instid0(VALU_DEP_1)
	v_cmpx_gt_u32_e64 s1, v3
	s_cbranch_execz .LBB159_31
; %bb.33:                               ;   in Loop: Header=BB159_32 Depth=1
	v_add_nc_u32_e32 v1, s13, v3
	s_mov_b32 s8, 1
	s_delay_alu instid0(VALU_DEP_1) | instskip(SKIP_1) | instid1(VALU_DEP_1)
	v_lshlrev_b64 v[4:5], 2, v[1:2]
	v_lshlrev_b32_e32 v1, s2, v3
	v_lshlrev_b32_e32 v1, 3, v1
	s_delay_alu instid0(VALU_DEP_3) | instskip(NEXT) | instid1(VALU_DEP_4)
	v_add_co_u32 v4, vcc_lo, s16, v4
	v_add_co_ci_u32_e32 v5, vcc_lo, s17, v5, vcc_lo
	global_load_b32 v5, v[4:5], off
	v_mov_b32_e32 v4, 0
	s_delay_alu instid0(VALU_DEP_1)
	v_mov_b32_e32 v3, v4
.LBB159_34:                             ;   Parent Loop BB159_32 Depth=1
                                        ; =>  This Inner Loop Header: Depth=2
	ds_load_b64 v[6:7], v1
	v_add_nc_u32_e32 v1, 8, v1
	s_lshr_b32 s9, s8, s2
	s_add_i32 s8, s8, 1
	s_cmp_lg_u32 s9, 0
	s_waitcnt lgkmcnt(0)
	v_dual_add_f32 v4, v4, v7 :: v_dual_add_f32 v3, v3, v6
	s_cbranch_scc0 .LBB159_34
; %bb.35:                               ;   in Loop: Header=BB159_32 Depth=1
	s_waitcnt vmcnt(0)
	v_ashrrev_i32_e32 v6, 31, v5
	s_delay_alu instid0(VALU_DEP_1)
	v_lshlrev_b64 v[5:6], 3, v[5:6]
	s_and_saveexec_b32 s8, s0
	s_cbranch_execz .LBB159_30
; %bb.36:                               ;   in Loop: Header=BB159_32 Depth=1
	s_delay_alu instid0(VALU_DEP_1) | instskip(NEXT) | instid1(VALU_DEP_2)
	v_add_co_u32 v7, vcc_lo, s4, v5
	v_add_co_ci_u32_e32 v8, vcc_lo, s5, v6, vcc_lo
	global_load_b64 v[7:8], v[7:8], off
	s_waitcnt vmcnt(0)
	v_fmac_f32_e32 v3, v9, v7
	v_fmac_f32_e32 v4, v10, v7
	s_delay_alu instid0(VALU_DEP_2) | instskip(NEXT) | instid1(VALU_DEP_2)
	v_fma_f32 v3, -v10, v8, v3
	v_fmac_f32_e32 v4, v9, v8
	s_branch .LBB159_30
.LBB159_37:
	s_nop 0
	s_sendmsg sendmsg(MSG_DEALLOC_VGPRS)
	s_endpgm
.LBB159_38:
	v_dual_mov_b32 v1, s4 :: v_dual_mov_b32 v2, s5
	flat_load_b32 v11, v[1:2]
	v_cndmask_b32_e64 v1, 0, 1, s6
	v_mov_b32_e32 v12, s5
	s_and_not1_b32 vcc_lo, exec_lo, s6
	s_cbranch_vccnz .LBB159_2
.LBB159_39:
	v_dual_mov_b32 v2, s4 :: v_dual_mov_b32 v3, s5
	flat_load_b32 v12, v[2:3] offset:4
	v_cmp_ne_u32_e32 vcc_lo, 1, v1
	v_mov_b32_e32 v9, s2
	s_cbranch_vccnz .LBB159_3
.LBB159_40:
	v_dual_mov_b32 v2, s2 :: v_dual_mov_b32 v3, s3
	flat_load_b32 v9, v[2:3]
	v_cmp_ne_u32_e32 vcc_lo, 1, v1
	v_mov_b32_e32 v10, s3
	s_cbranch_vccz .LBB159_4
	s_branch .LBB159_5
	.section	.rodata,"a",@progbits
	.p2align	6, 0x0
	.amdhsa_kernel _ZN9rocsparseL30csrmvn_lrb_short_rows_2_kernelIlif21rocsparse_complex_numIfES2_S2_EEvbT_PT0_S5_jNS_24const_host_device_scalarIT4_EEPKS3_PKS4_PKT1_PKT2_S8_PT3_21rocsparse_index_base_b
		.amdhsa_group_segment_fixed_size 8192
		.amdhsa_private_segment_fixed_size 0
		.amdhsa_kernarg_size 104
		.amdhsa_user_sgpr_count 15
		.amdhsa_user_sgpr_dispatch_ptr 0
		.amdhsa_user_sgpr_queue_ptr 0
		.amdhsa_user_sgpr_kernarg_segment_ptr 1
		.amdhsa_user_sgpr_dispatch_id 0
		.amdhsa_user_sgpr_private_segment_size 0
		.amdhsa_wavefront_size32 1
		.amdhsa_uses_dynamic_stack 0
		.amdhsa_enable_private_segment 0
		.amdhsa_system_sgpr_workgroup_id_x 1
		.amdhsa_system_sgpr_workgroup_id_y 0
		.amdhsa_system_sgpr_workgroup_id_z 0
		.amdhsa_system_sgpr_workgroup_info 0
		.amdhsa_system_vgpr_workitem_id 0
		.amdhsa_next_free_vgpr 15
		.amdhsa_next_free_sgpr 20
		.amdhsa_reserve_vcc 1
		.amdhsa_float_round_mode_32 0
		.amdhsa_float_round_mode_16_64 0
		.amdhsa_float_denorm_mode_32 3
		.amdhsa_float_denorm_mode_16_64 3
		.amdhsa_dx10_clamp 1
		.amdhsa_ieee_mode 1
		.amdhsa_fp16_overflow 0
		.amdhsa_workgroup_processor_mode 1
		.amdhsa_memory_ordered 1
		.amdhsa_forward_progress 0
		.amdhsa_shared_vgpr_count 0
		.amdhsa_exception_fp_ieee_invalid_op 0
		.amdhsa_exception_fp_denorm_src 0
		.amdhsa_exception_fp_ieee_div_zero 0
		.amdhsa_exception_fp_ieee_overflow 0
		.amdhsa_exception_fp_ieee_underflow 0
		.amdhsa_exception_fp_ieee_inexact 0
		.amdhsa_exception_int_div_zero 0
	.end_amdhsa_kernel
	.section	.text._ZN9rocsparseL30csrmvn_lrb_short_rows_2_kernelIlif21rocsparse_complex_numIfES2_S2_EEvbT_PT0_S5_jNS_24const_host_device_scalarIT4_EEPKS3_PKS4_PKT1_PKT2_S8_PT3_21rocsparse_index_base_b,"axG",@progbits,_ZN9rocsparseL30csrmvn_lrb_short_rows_2_kernelIlif21rocsparse_complex_numIfES2_S2_EEvbT_PT0_S5_jNS_24const_host_device_scalarIT4_EEPKS3_PKS4_PKT1_PKT2_S8_PT3_21rocsparse_index_base_b,comdat
.Lfunc_end159:
	.size	_ZN9rocsparseL30csrmvn_lrb_short_rows_2_kernelIlif21rocsparse_complex_numIfES2_S2_EEvbT_PT0_S5_jNS_24const_host_device_scalarIT4_EEPKS3_PKS4_PKT1_PKT2_S8_PT3_21rocsparse_index_base_b, .Lfunc_end159-_ZN9rocsparseL30csrmvn_lrb_short_rows_2_kernelIlif21rocsparse_complex_numIfES2_S2_EEvbT_PT0_S5_jNS_24const_host_device_scalarIT4_EEPKS3_PKS4_PKT1_PKT2_S8_PT3_21rocsparse_index_base_b
                                        ; -- End function
	.section	.AMDGPU.csdata,"",@progbits
; Kernel info:
; codeLenInByte = 2292
; NumSgprs: 22
; NumVgprs: 15
; ScratchSize: 0
; MemoryBound: 0
; FloatMode: 240
; IeeeMode: 1
; LDSByteSize: 8192 bytes/workgroup (compile time only)
; SGPRBlocks: 2
; VGPRBlocks: 1
; NumSGPRsForWavesPerEU: 22
; NumVGPRsForWavesPerEU: 15
; Occupancy: 16
; WaveLimiterHint : 1
; COMPUTE_PGM_RSRC2:SCRATCH_EN: 0
; COMPUTE_PGM_RSRC2:USER_SGPR: 15
; COMPUTE_PGM_RSRC2:TRAP_HANDLER: 0
; COMPUTE_PGM_RSRC2:TGID_X_EN: 1
; COMPUTE_PGM_RSRC2:TGID_Y_EN: 0
; COMPUTE_PGM_RSRC2:TGID_Z_EN: 0
; COMPUTE_PGM_RSRC2:TIDIG_COMP_CNT: 0
	.section	.text._ZN9rocsparseL41csrmvn_lrb_medium_rows_warp_reduce_kernelILj256ELj32Elif21rocsparse_complex_numIfES2_S2_EEvbT1_lPT2_S5_jNS_24const_host_device_scalarIT6_EEPKS3_PKS4_PKT3_PKT4_S8_PT5_21rocsparse_index_base_b,"axG",@progbits,_ZN9rocsparseL41csrmvn_lrb_medium_rows_warp_reduce_kernelILj256ELj32Elif21rocsparse_complex_numIfES2_S2_EEvbT1_lPT2_S5_jNS_24const_host_device_scalarIT6_EEPKS3_PKS4_PKT3_PKT4_S8_PT5_21rocsparse_index_base_b,comdat
	.globl	_ZN9rocsparseL41csrmvn_lrb_medium_rows_warp_reduce_kernelILj256ELj32Elif21rocsparse_complex_numIfES2_S2_EEvbT1_lPT2_S5_jNS_24const_host_device_scalarIT6_EEPKS3_PKS4_PKT3_PKT4_S8_PT5_21rocsparse_index_base_b ; -- Begin function _ZN9rocsparseL41csrmvn_lrb_medium_rows_warp_reduce_kernelILj256ELj32Elif21rocsparse_complex_numIfES2_S2_EEvbT1_lPT2_S5_jNS_24const_host_device_scalarIT6_EEPKS3_PKS4_PKT3_PKT4_S8_PT5_21rocsparse_index_base_b
	.p2align	8
	.type	_ZN9rocsparseL41csrmvn_lrb_medium_rows_warp_reduce_kernelILj256ELj32Elif21rocsparse_complex_numIfES2_S2_EEvbT1_lPT2_S5_jNS_24const_host_device_scalarIT6_EEPKS3_PKS4_PKT3_PKT4_S8_PT5_21rocsparse_index_base_b,@function
_ZN9rocsparseL41csrmvn_lrb_medium_rows_warp_reduce_kernelILj256ELj32Elif21rocsparse_complex_numIfES2_S2_EEvbT1_lPT2_S5_jNS_24const_host_device_scalarIT6_EEPKS3_PKS4_PKT3_PKT4_S8_PT5_21rocsparse_index_base_b: ; @_ZN9rocsparseL41csrmvn_lrb_medium_rows_warp_reduce_kernelILj256ELj32Elif21rocsparse_complex_numIfES2_S2_EEvbT1_lPT2_S5_jNS_24const_host_device_scalarIT6_EEPKS3_PKS4_PKT3_PKT4_S8_PT5_21rocsparse_index_base_b
; %bb.0:
	s_clause 0x2
	s_load_b64 s[4:5], s[0:1], 0x68
	s_load_b64 s[6:7], s[0:1], 0x30
	;; [unrolled: 1-line block ×3, first 2 shown]
	s_waitcnt lgkmcnt(0)
	s_bitcmp1_b32 s5, 0
	v_mov_b32_e32 v13, s6
	s_cselect_b32 s5, -1, 0
	s_delay_alu instid0(SALU_CYCLE_1)
	s_and_b32 vcc_lo, exec_lo, s5
	s_xor_b32 s5, s5, -1
	s_cbranch_vccz .LBB160_18
; %bb.1:
	v_cndmask_b32_e64 v1, 0, 1, s5
	v_mov_b32_e32 v14, s7
	s_and_not1_b32 vcc_lo, exec_lo, s5
	s_cbranch_vccz .LBB160_19
.LBB160_2:
	s_delay_alu instid0(VALU_DEP_2)
	v_cmp_ne_u32_e32 vcc_lo, 1, v1
	v_mov_b32_e32 v11, s2
	s_cbranch_vccz .LBB160_20
.LBB160_3:
	v_cmp_ne_u32_e32 vcc_lo, 1, v1
	v_mov_b32_e32 v12, s3
	s_cbranch_vccnz .LBB160_5
.LBB160_4:
	v_dual_mov_b32 v1, s2 :: v_dual_mov_b32 v2, s3
	flat_load_b32 v12, v[1:2] offset:4
.LBB160_5:
	s_waitcnt vmcnt(0) lgkmcnt(0)
	v_cmp_eq_f32_e32 vcc_lo, 0, v13
	v_cmp_eq_f32_e64 s2, 0, v14
	s_delay_alu instid0(VALU_DEP_1)
	s_and_b32 s5, vcc_lo, s2
	s_mov_b32 s2, -1
	s_and_saveexec_b32 s3, s5
; %bb.6:
	v_cmp_neq_f32_e32 vcc_lo, 1.0, v11
	v_cmp_neq_f32_e64 s2, 0, v12
	s_delay_alu instid0(VALU_DEP_1) | instskip(NEXT) | instid1(SALU_CYCLE_1)
	s_or_b32 s2, vcc_lo, s2
	s_or_not1_b32 s2, s2, exec_lo
; %bb.7:
	s_or_b32 exec_lo, exec_lo, s3
	s_and_saveexec_b32 s3, s2
	s_cbranch_execz .LBB160_17
; %bb.8:
	s_load_b64 s[2:3], s[0:1], 0x10
	v_lshrrev_b32_e32 v1, 5, v0
	s_delay_alu instid0(VALU_DEP_1) | instskip(NEXT) | instid1(VALU_DEP_1)
	v_lshl_or_b32 v1, s15, 3, v1
	v_ashrrev_i32_e32 v2, 31, v1
	s_waitcnt lgkmcnt(0)
	s_delay_alu instid0(VALU_DEP_1)
	v_cmp_gt_i64_e32 vcc_lo, s[2:3], v[1:2]
	s_and_b32 exec_lo, exec_lo, vcc_lo
	s_cbranch_execz .LBB160_17
; %bb.9:
	s_clause 0x1
	s_load_b32 s6, s[0:1], 0x28
	s_load_b128 s[8:11], s[0:1], 0x18
	s_mov_b32 s7, 0
	v_dual_mov_b32 v15, 0 :: v_dual_and_b32 v0, 31, v0
	v_mov_b32_e32 v16, 0
	s_delay_alu instid0(VALU_DEP_2) | instskip(NEXT) | instid1(VALU_DEP_1)
	v_sub_co_u32 v9, s5, v0, s4
	v_sub_co_ci_u32_e64 v10, null, 0, 0, s5
	s_mov_b32 s5, exec_lo
	s_waitcnt lgkmcnt(0)
	s_lshl_b64 s[2:3], s[6:7], 2
	s_delay_alu instid0(SALU_CYCLE_1)
	s_add_u32 s2, s10, s2
	s_addc_u32 s3, s11, s3
	s_load_b32 s2, s[2:3], 0x0
	s_waitcnt lgkmcnt(0)
	v_add_nc_u32_e32 v1, s2, v1
	s_load_b64 s[2:3], s[0:1], 0x38
	s_delay_alu instid0(VALU_DEP_1) | instskip(NEXT) | instid1(VALU_DEP_1)
	v_ashrrev_i32_e32 v2, 31, v1
	v_lshlrev_b64 v[1:2], 2, v[1:2]
	s_delay_alu instid0(VALU_DEP_1) | instskip(NEXT) | instid1(VALU_DEP_2)
	v_add_co_u32 v1, vcc_lo, s8, v1
	v_add_co_ci_u32_e32 v2, vcc_lo, s9, v2, vcc_lo
	global_load_b32 v1, v[1:2], off
	s_waitcnt vmcnt(0)
	v_ashrrev_i32_e32 v2, 31, v1
	s_delay_alu instid0(VALU_DEP_1) | instskip(SKIP_1) | instid1(VALU_DEP_1)
	v_lshlrev_b64 v[1:2], 3, v[1:2]
	s_waitcnt lgkmcnt(0)
	v_add_co_u32 v3, vcc_lo, s2, v1
	s_delay_alu instid0(VALU_DEP_2)
	v_add_co_ci_u32_e32 v4, vcc_lo, s3, v2, vcc_lo
	s_load_b64 s[2:3], s[0:1], 0x60
	global_load_b128 v[5:8], v[3:4], off
	s_waitcnt vmcnt(0)
	v_sub_co_u32 v3, vcc_lo, v7, s4
	v_subrev_co_ci_u32_e32 v4, vcc_lo, 0, v8, vcc_lo
	v_add_co_u32 v5, vcc_lo, v5, v9
	v_add_co_ci_u32_e32 v6, vcc_lo, v6, v10, vcc_lo
	s_delay_alu instid0(VALU_DEP_1)
	v_cmpx_lt_i64_e64 v[5:6], v[3:4]
	s_cbranch_execz .LBB160_13
; %bb.10:
	s_clause 0x1
	s_load_b128 s[12:15], s[0:1], 0x40
	s_load_b64 s[8:9], s[0:1], 0x50
	v_lshlrev_b64 v[9:10], 2, v[5:6]
	v_dual_mul_f32 v17, 0x80000000, v14 :: v_dual_mul_f32 v18, 0, v13
	v_dual_mov_b32 v15, 0 :: v_dual_mov_b32 v16, 0
	s_waitcnt lgkmcnt(0)
	s_delay_alu instid0(VALU_DEP_3) | instskip(NEXT) | instid1(VALU_DEP_4)
	v_add_co_u32 v7, vcc_lo, s14, v9
	v_add_co_ci_u32_e32 v8, vcc_lo, s15, v10, vcc_lo
	v_add_co_u32 v9, vcc_lo, s12, v9
	v_add_co_ci_u32_e32 v10, vcc_lo, s13, v10, vcc_lo
	s_set_inst_prefetch_distance 0x1
	.p2align	6
.LBB160_11:                             ; =>This Inner Loop Header: Depth=1
	global_load_b32 v19, v[9:10], off
	global_load_b32 v21, v[7:8], off
	s_waitcnt vmcnt(1)
	v_subrev_nc_u32_e32 v19, s4, v19
	s_waitcnt vmcnt(0)
	v_fma_f32 v22, v13, v21, v17
	v_fma_f32 v21, v14, v21, v18
	s_delay_alu instid0(VALU_DEP_3) | instskip(NEXT) | instid1(VALU_DEP_1)
	v_ashrrev_i32_e32 v20, 31, v19
	v_lshlrev_b64 v[19:20], 3, v[19:20]
	s_delay_alu instid0(VALU_DEP_1) | instskip(NEXT) | instid1(VALU_DEP_2)
	v_add_co_u32 v19, vcc_lo, s8, v19
	v_add_co_ci_u32_e32 v20, vcc_lo, s9, v20, vcc_lo
	v_add_co_u32 v5, vcc_lo, v5, 32
	v_add_co_ci_u32_e32 v6, vcc_lo, 0, v6, vcc_lo
	global_load_b64 v[19:20], v[19:20], off
	v_add_co_u32 v7, vcc_lo, 0x80, v7
	v_add_co_ci_u32_e32 v8, vcc_lo, 0, v8, vcc_lo
	v_cmp_ge_i64_e64 s0, v[5:6], v[3:4]
	v_add_co_u32 v9, vcc_lo, 0x80, v9
	v_add_co_ci_u32_e32 v10, vcc_lo, 0, v10, vcc_lo
	s_delay_alu instid0(VALU_DEP_3) | instskip(SKIP_3) | instid1(VALU_DEP_2)
	s_or_b32 s7, s0, s7
	s_waitcnt vmcnt(0)
	v_fmac_f32_e32 v16, v22, v19
	v_fmac_f32_e32 v15, v21, v19
	v_fma_f32 v16, -v21, v20, v16
	s_delay_alu instid0(VALU_DEP_2)
	v_fmac_f32_e32 v15, v22, v20
	s_and_not1_b32 exec_lo, exec_lo, s7
	s_cbranch_execnz .LBB160_11
; %bb.12:
	s_set_inst_prefetch_distance 0x2
	s_or_b32 exec_lo, exec_lo, s7
.LBB160_13:
	s_delay_alu instid0(SALU_CYCLE_1) | instskip(SKIP_1) | instid1(VALU_DEP_1)
	s_or_b32 exec_lo, exec_lo, s5
	v_mbcnt_lo_u32_b32 v3, -1, 0
	v_xor_b32_e32 v4, 16, v3
	v_xor_b32_e32 v6, 8, v3
	;; [unrolled: 1-line block ×3, first 2 shown]
	s_delay_alu instid0(VALU_DEP_3) | instskip(SKIP_1) | instid1(VALU_DEP_4)
	v_cmp_gt_i32_e32 vcc_lo, 32, v4
	v_cndmask_b32_e32 v4, v3, v4, vcc_lo
	v_cmp_gt_i32_e32 vcc_lo, 32, v6
	s_delay_alu instid0(VALU_DEP_2)
	v_lshlrev_b32_e32 v4, 2, v4
	v_cndmask_b32_e32 v6, v3, v6, vcc_lo
	v_cmp_gt_i32_e32 vcc_lo, 32, v8
	ds_bpermute_b32 v5, v4, v16
	v_lshlrev_b32_e32 v6, 2, v6
	v_cndmask_b32_e32 v8, v3, v8, vcc_lo
	s_waitcnt lgkmcnt(0)
	s_delay_alu instid0(VALU_DEP_1)
	v_dual_add_f32 v5, v16, v5 :: v_dual_lshlrev_b32 v8, 2, v8
	ds_bpermute_b32 v7, v6, v5
	s_waitcnt lgkmcnt(0)
	v_add_f32_e32 v5, v5, v7
	ds_bpermute_b32 v4, v4, v15
	s_waitcnt lgkmcnt(0)
	v_add_f32_e32 v4, v15, v4
	;; [unrolled: 3-line block ×3, first 2 shown]
	ds_bpermute_b32 v6, v8, v5
	ds_bpermute_b32 v7, v8, v4
	v_xor_b32_e32 v8, 2, v3
	s_delay_alu instid0(VALU_DEP_1) | instskip(SKIP_2) | instid1(VALU_DEP_1)
	v_cmp_gt_i32_e32 vcc_lo, 32, v8
	s_waitcnt lgkmcnt(1)
	v_dual_cndmask_b32 v8, v3, v8 :: v_dual_add_f32 v5, v5, v6
	v_lshlrev_b32_e32 v8, 2, v8
	s_waitcnt lgkmcnt(0)
	v_add_f32_e32 v4, v4, v7
	ds_bpermute_b32 v6, v8, v5
	ds_bpermute_b32 v7, v8, v4
	v_xor_b32_e32 v8, 1, v3
	s_delay_alu instid0(VALU_DEP_1) | instskip(SKIP_3) | instid1(VALU_DEP_2)
	v_cmp_gt_i32_e32 vcc_lo, 32, v8
	v_cndmask_b32_e32 v3, v3, v8, vcc_lo
	v_cmp_eq_u32_e32 vcc_lo, 31, v0
	s_waitcnt lgkmcnt(1)
	v_dual_add_f32 v3, v5, v6 :: v_dual_lshlrev_b32 v8, 2, v3
	s_waitcnt lgkmcnt(0)
	v_add_f32_e32 v4, v4, v7
	ds_bpermute_b32 v5, v8, v3
	ds_bpermute_b32 v6, v8, v4
	s_and_b32 exec_lo, exec_lo, vcc_lo
	s_cbranch_execz .LBB160_17
; %bb.14:
	v_cmp_neq_f32_e32 vcc_lo, 0, v11
	v_cmp_neq_f32_e64 s0, 0, v12
	s_waitcnt lgkmcnt(0)
	v_dual_add_f32 v3, v3, v5 :: v_dual_add_f32 v4, v4, v6
	s_delay_alu instid0(VALU_DEP_2) | instskip(NEXT) | instid1(SALU_CYCLE_1)
	s_or_b32 s1, vcc_lo, s0
	s_and_saveexec_b32 s0, s1
	s_cbranch_execz .LBB160_16
; %bb.15:
	v_add_co_u32 v5, vcc_lo, s2, v1
	v_add_co_ci_u32_e32 v6, vcc_lo, s3, v2, vcc_lo
	global_load_b64 v[5:6], v[5:6], off
	s_waitcnt vmcnt(0)
	v_fmac_f32_e32 v3, v11, v5
	v_fmac_f32_e32 v4, v12, v5
	s_delay_alu instid0(VALU_DEP_2) | instskip(NEXT) | instid1(VALU_DEP_2)
	v_fma_f32 v3, -v12, v6, v3
	v_fmac_f32_e32 v4, v11, v6
.LBB160_16:
	s_or_b32 exec_lo, exec_lo, s0
	v_add_co_u32 v0, vcc_lo, s2, v1
	v_add_co_ci_u32_e32 v1, vcc_lo, s3, v2, vcc_lo
	global_store_b64 v[0:1], v[3:4], off
.LBB160_17:
	s_nop 0
	s_sendmsg sendmsg(MSG_DEALLOC_VGPRS)
	s_endpgm
.LBB160_18:
	v_dual_mov_b32 v1, s6 :: v_dual_mov_b32 v2, s7
	flat_load_b32 v13, v[1:2]
	v_cndmask_b32_e64 v1, 0, 1, s5
	v_mov_b32_e32 v14, s7
	s_and_not1_b32 vcc_lo, exec_lo, s5
	s_cbranch_vccnz .LBB160_2
.LBB160_19:
	v_dual_mov_b32 v2, s6 :: v_dual_mov_b32 v3, s7
	flat_load_b32 v14, v[2:3] offset:4
	v_cmp_ne_u32_e32 vcc_lo, 1, v1
	v_mov_b32_e32 v11, s2
	s_cbranch_vccnz .LBB160_3
.LBB160_20:
	v_dual_mov_b32 v2, s2 :: v_dual_mov_b32 v3, s3
	flat_load_b32 v11, v[2:3]
	v_cmp_ne_u32_e32 vcc_lo, 1, v1
	v_mov_b32_e32 v12, s3
	s_cbranch_vccz .LBB160_4
	s_branch .LBB160_5
	.section	.rodata,"a",@progbits
	.p2align	6, 0x0
	.amdhsa_kernel _ZN9rocsparseL41csrmvn_lrb_medium_rows_warp_reduce_kernelILj256ELj32Elif21rocsparse_complex_numIfES2_S2_EEvbT1_lPT2_S5_jNS_24const_host_device_scalarIT6_EEPKS3_PKS4_PKT3_PKT4_S8_PT5_21rocsparse_index_base_b
		.amdhsa_group_segment_fixed_size 0
		.amdhsa_private_segment_fixed_size 0
		.amdhsa_kernarg_size 112
		.amdhsa_user_sgpr_count 15
		.amdhsa_user_sgpr_dispatch_ptr 0
		.amdhsa_user_sgpr_queue_ptr 0
		.amdhsa_user_sgpr_kernarg_segment_ptr 1
		.amdhsa_user_sgpr_dispatch_id 0
		.amdhsa_user_sgpr_private_segment_size 0
		.amdhsa_wavefront_size32 1
		.amdhsa_uses_dynamic_stack 0
		.amdhsa_enable_private_segment 0
		.amdhsa_system_sgpr_workgroup_id_x 1
		.amdhsa_system_sgpr_workgroup_id_y 0
		.amdhsa_system_sgpr_workgroup_id_z 0
		.amdhsa_system_sgpr_workgroup_info 0
		.amdhsa_system_vgpr_workitem_id 0
		.amdhsa_next_free_vgpr 23
		.amdhsa_next_free_sgpr 16
		.amdhsa_reserve_vcc 1
		.amdhsa_float_round_mode_32 0
		.amdhsa_float_round_mode_16_64 0
		.amdhsa_float_denorm_mode_32 3
		.amdhsa_float_denorm_mode_16_64 3
		.amdhsa_dx10_clamp 1
		.amdhsa_ieee_mode 1
		.amdhsa_fp16_overflow 0
		.amdhsa_workgroup_processor_mode 1
		.amdhsa_memory_ordered 1
		.amdhsa_forward_progress 0
		.amdhsa_shared_vgpr_count 0
		.amdhsa_exception_fp_ieee_invalid_op 0
		.amdhsa_exception_fp_denorm_src 0
		.amdhsa_exception_fp_ieee_div_zero 0
		.amdhsa_exception_fp_ieee_overflow 0
		.amdhsa_exception_fp_ieee_underflow 0
		.amdhsa_exception_fp_ieee_inexact 0
		.amdhsa_exception_int_div_zero 0
	.end_amdhsa_kernel
	.section	.text._ZN9rocsparseL41csrmvn_lrb_medium_rows_warp_reduce_kernelILj256ELj32Elif21rocsparse_complex_numIfES2_S2_EEvbT1_lPT2_S5_jNS_24const_host_device_scalarIT6_EEPKS3_PKS4_PKT3_PKT4_S8_PT5_21rocsparse_index_base_b,"axG",@progbits,_ZN9rocsparseL41csrmvn_lrb_medium_rows_warp_reduce_kernelILj256ELj32Elif21rocsparse_complex_numIfES2_S2_EEvbT1_lPT2_S5_jNS_24const_host_device_scalarIT6_EEPKS3_PKS4_PKT3_PKT4_S8_PT5_21rocsparse_index_base_b,comdat
.Lfunc_end160:
	.size	_ZN9rocsparseL41csrmvn_lrb_medium_rows_warp_reduce_kernelILj256ELj32Elif21rocsparse_complex_numIfES2_S2_EEvbT1_lPT2_S5_jNS_24const_host_device_scalarIT6_EEPKS3_PKS4_PKT3_PKT4_S8_PT5_21rocsparse_index_base_b, .Lfunc_end160-_ZN9rocsparseL41csrmvn_lrb_medium_rows_warp_reduce_kernelILj256ELj32Elif21rocsparse_complex_numIfES2_S2_EEvbT1_lPT2_S5_jNS_24const_host_device_scalarIT6_EEPKS3_PKS4_PKT3_PKT4_S8_PT5_21rocsparse_index_base_b
                                        ; -- End function
	.section	.AMDGPU.csdata,"",@progbits
; Kernel info:
; codeLenInByte = 1248
; NumSgprs: 18
; NumVgprs: 23
; ScratchSize: 0
; MemoryBound: 0
; FloatMode: 240
; IeeeMode: 1
; LDSByteSize: 0 bytes/workgroup (compile time only)
; SGPRBlocks: 2
; VGPRBlocks: 2
; NumSGPRsForWavesPerEU: 18
; NumVGPRsForWavesPerEU: 23
; Occupancy: 16
; WaveLimiterHint : 1
; COMPUTE_PGM_RSRC2:SCRATCH_EN: 0
; COMPUTE_PGM_RSRC2:USER_SGPR: 15
; COMPUTE_PGM_RSRC2:TRAP_HANDLER: 0
; COMPUTE_PGM_RSRC2:TGID_X_EN: 1
; COMPUTE_PGM_RSRC2:TGID_Y_EN: 0
; COMPUTE_PGM_RSRC2:TGID_Z_EN: 0
; COMPUTE_PGM_RSRC2:TIDIG_COMP_CNT: 0
	.section	.text._ZN9rocsparseL41csrmvn_lrb_medium_rows_warp_reduce_kernelILj256ELj64Elif21rocsparse_complex_numIfES2_S2_EEvbT1_lPT2_S5_jNS_24const_host_device_scalarIT6_EEPKS3_PKS4_PKT3_PKT4_S8_PT5_21rocsparse_index_base_b,"axG",@progbits,_ZN9rocsparseL41csrmvn_lrb_medium_rows_warp_reduce_kernelILj256ELj64Elif21rocsparse_complex_numIfES2_S2_EEvbT1_lPT2_S5_jNS_24const_host_device_scalarIT6_EEPKS3_PKS4_PKT3_PKT4_S8_PT5_21rocsparse_index_base_b,comdat
	.globl	_ZN9rocsparseL41csrmvn_lrb_medium_rows_warp_reduce_kernelILj256ELj64Elif21rocsparse_complex_numIfES2_S2_EEvbT1_lPT2_S5_jNS_24const_host_device_scalarIT6_EEPKS3_PKS4_PKT3_PKT4_S8_PT5_21rocsparse_index_base_b ; -- Begin function _ZN9rocsparseL41csrmvn_lrb_medium_rows_warp_reduce_kernelILj256ELj64Elif21rocsparse_complex_numIfES2_S2_EEvbT1_lPT2_S5_jNS_24const_host_device_scalarIT6_EEPKS3_PKS4_PKT3_PKT4_S8_PT5_21rocsparse_index_base_b
	.p2align	8
	.type	_ZN9rocsparseL41csrmvn_lrb_medium_rows_warp_reduce_kernelILj256ELj64Elif21rocsparse_complex_numIfES2_S2_EEvbT1_lPT2_S5_jNS_24const_host_device_scalarIT6_EEPKS3_PKS4_PKT3_PKT4_S8_PT5_21rocsparse_index_base_b,@function
_ZN9rocsparseL41csrmvn_lrb_medium_rows_warp_reduce_kernelILj256ELj64Elif21rocsparse_complex_numIfES2_S2_EEvbT1_lPT2_S5_jNS_24const_host_device_scalarIT6_EEPKS3_PKS4_PKT3_PKT4_S8_PT5_21rocsparse_index_base_b: ; @_ZN9rocsparseL41csrmvn_lrb_medium_rows_warp_reduce_kernelILj256ELj64Elif21rocsparse_complex_numIfES2_S2_EEvbT1_lPT2_S5_jNS_24const_host_device_scalarIT6_EEPKS3_PKS4_PKT3_PKT4_S8_PT5_21rocsparse_index_base_b
; %bb.0:
	s_clause 0x2
	s_load_b64 s[4:5], s[0:1], 0x68
	s_load_b64 s[6:7], s[0:1], 0x30
	s_load_b64 s[2:3], s[0:1], 0x58
	s_waitcnt lgkmcnt(0)
	s_bitcmp1_b32 s5, 0
	v_mov_b32_e32 v13, s6
	s_cselect_b32 s5, -1, 0
	s_delay_alu instid0(SALU_CYCLE_1)
	s_and_b32 vcc_lo, exec_lo, s5
	s_xor_b32 s5, s5, -1
	s_cbranch_vccz .LBB161_18
; %bb.1:
	v_cndmask_b32_e64 v1, 0, 1, s5
	v_mov_b32_e32 v14, s7
	s_and_not1_b32 vcc_lo, exec_lo, s5
	s_cbranch_vccz .LBB161_19
.LBB161_2:
	s_delay_alu instid0(VALU_DEP_2)
	v_cmp_ne_u32_e32 vcc_lo, 1, v1
	v_mov_b32_e32 v11, s2
	s_cbranch_vccz .LBB161_20
.LBB161_3:
	v_cmp_ne_u32_e32 vcc_lo, 1, v1
	v_mov_b32_e32 v12, s3
	s_cbranch_vccnz .LBB161_5
.LBB161_4:
	v_dual_mov_b32 v1, s2 :: v_dual_mov_b32 v2, s3
	flat_load_b32 v12, v[1:2] offset:4
.LBB161_5:
	s_waitcnt vmcnt(0) lgkmcnt(0)
	v_cmp_eq_f32_e32 vcc_lo, 0, v13
	v_cmp_eq_f32_e64 s2, 0, v14
	s_delay_alu instid0(VALU_DEP_1)
	s_and_b32 s5, vcc_lo, s2
	s_mov_b32 s2, -1
	s_and_saveexec_b32 s3, s5
; %bb.6:
	v_cmp_neq_f32_e32 vcc_lo, 1.0, v11
	v_cmp_neq_f32_e64 s2, 0, v12
	s_delay_alu instid0(VALU_DEP_1) | instskip(NEXT) | instid1(SALU_CYCLE_1)
	s_or_b32 s2, vcc_lo, s2
	s_or_not1_b32 s2, s2, exec_lo
; %bb.7:
	s_or_b32 exec_lo, exec_lo, s3
	s_and_saveexec_b32 s3, s2
	s_cbranch_execz .LBB161_17
; %bb.8:
	s_load_b64 s[2:3], s[0:1], 0x10
	v_lshrrev_b32_e32 v1, 6, v0
	s_delay_alu instid0(VALU_DEP_1) | instskip(NEXT) | instid1(VALU_DEP_1)
	v_lshl_or_b32 v1, s15, 2, v1
	v_ashrrev_i32_e32 v2, 31, v1
	s_waitcnt lgkmcnt(0)
	s_delay_alu instid0(VALU_DEP_1)
	v_cmp_gt_i64_e32 vcc_lo, s[2:3], v[1:2]
	s_and_b32 exec_lo, exec_lo, vcc_lo
	s_cbranch_execz .LBB161_17
; %bb.9:
	s_clause 0x1
	s_load_b32 s6, s[0:1], 0x28
	s_load_b128 s[8:11], s[0:1], 0x18
	s_mov_b32 s7, 0
	v_dual_mov_b32 v15, 0 :: v_dual_and_b32 v0, 63, v0
	v_mov_b32_e32 v16, 0
	s_delay_alu instid0(VALU_DEP_2) | instskip(NEXT) | instid1(VALU_DEP_1)
	v_sub_co_u32 v9, s5, v0, s4
	v_sub_co_ci_u32_e64 v10, null, 0, 0, s5
	s_mov_b32 s5, exec_lo
	s_waitcnt lgkmcnt(0)
	s_lshl_b64 s[2:3], s[6:7], 2
	s_delay_alu instid0(SALU_CYCLE_1)
	s_add_u32 s2, s10, s2
	s_addc_u32 s3, s11, s3
	s_load_b32 s2, s[2:3], 0x0
	s_waitcnt lgkmcnt(0)
	v_add_nc_u32_e32 v1, s2, v1
	s_load_b64 s[2:3], s[0:1], 0x38
	s_delay_alu instid0(VALU_DEP_1) | instskip(NEXT) | instid1(VALU_DEP_1)
	v_ashrrev_i32_e32 v2, 31, v1
	v_lshlrev_b64 v[1:2], 2, v[1:2]
	s_delay_alu instid0(VALU_DEP_1) | instskip(NEXT) | instid1(VALU_DEP_2)
	v_add_co_u32 v1, vcc_lo, s8, v1
	v_add_co_ci_u32_e32 v2, vcc_lo, s9, v2, vcc_lo
	global_load_b32 v1, v[1:2], off
	s_waitcnt vmcnt(0)
	v_ashrrev_i32_e32 v2, 31, v1
	s_delay_alu instid0(VALU_DEP_1) | instskip(SKIP_1) | instid1(VALU_DEP_1)
	v_lshlrev_b64 v[1:2], 3, v[1:2]
	s_waitcnt lgkmcnt(0)
	v_add_co_u32 v3, vcc_lo, s2, v1
	s_delay_alu instid0(VALU_DEP_2)
	v_add_co_ci_u32_e32 v4, vcc_lo, s3, v2, vcc_lo
	s_load_b64 s[2:3], s[0:1], 0x60
	global_load_b128 v[5:8], v[3:4], off
	s_waitcnt vmcnt(0)
	v_sub_co_u32 v3, vcc_lo, v7, s4
	v_subrev_co_ci_u32_e32 v4, vcc_lo, 0, v8, vcc_lo
	v_add_co_u32 v5, vcc_lo, v5, v9
	v_add_co_ci_u32_e32 v6, vcc_lo, v6, v10, vcc_lo
	s_delay_alu instid0(VALU_DEP_1)
	v_cmpx_lt_i64_e64 v[5:6], v[3:4]
	s_cbranch_execz .LBB161_13
; %bb.10:
	s_clause 0x1
	s_load_b128 s[12:15], s[0:1], 0x40
	s_load_b64 s[8:9], s[0:1], 0x50
	v_lshlrev_b64 v[9:10], 2, v[5:6]
	v_dual_mul_f32 v17, 0x80000000, v14 :: v_dual_mul_f32 v18, 0, v13
	v_dual_mov_b32 v15, 0 :: v_dual_mov_b32 v16, 0
	s_waitcnt lgkmcnt(0)
	s_delay_alu instid0(VALU_DEP_3) | instskip(NEXT) | instid1(VALU_DEP_4)
	v_add_co_u32 v7, vcc_lo, s14, v9
	v_add_co_ci_u32_e32 v8, vcc_lo, s15, v10, vcc_lo
	v_add_co_u32 v9, vcc_lo, s12, v9
	v_add_co_ci_u32_e32 v10, vcc_lo, s13, v10, vcc_lo
	s_set_inst_prefetch_distance 0x1
	.p2align	6
.LBB161_11:                             ; =>This Inner Loop Header: Depth=1
	global_load_b32 v19, v[9:10], off
	global_load_b32 v21, v[7:8], off
	s_waitcnt vmcnt(1)
	v_subrev_nc_u32_e32 v19, s4, v19
	s_waitcnt vmcnt(0)
	v_fma_f32 v22, v13, v21, v17
	v_fma_f32 v21, v14, v21, v18
	s_delay_alu instid0(VALU_DEP_3) | instskip(NEXT) | instid1(VALU_DEP_1)
	v_ashrrev_i32_e32 v20, 31, v19
	v_lshlrev_b64 v[19:20], 3, v[19:20]
	s_delay_alu instid0(VALU_DEP_1) | instskip(NEXT) | instid1(VALU_DEP_2)
	v_add_co_u32 v19, vcc_lo, s8, v19
	v_add_co_ci_u32_e32 v20, vcc_lo, s9, v20, vcc_lo
	v_add_co_u32 v5, vcc_lo, v5, 64
	v_add_co_ci_u32_e32 v6, vcc_lo, 0, v6, vcc_lo
	global_load_b64 v[19:20], v[19:20], off
	v_add_co_u32 v7, vcc_lo, 0x100, v7
	v_add_co_ci_u32_e32 v8, vcc_lo, 0, v8, vcc_lo
	v_cmp_ge_i64_e64 s0, v[5:6], v[3:4]
	v_add_co_u32 v9, vcc_lo, 0x100, v9
	v_add_co_ci_u32_e32 v10, vcc_lo, 0, v10, vcc_lo
	s_delay_alu instid0(VALU_DEP_3) | instskip(SKIP_3) | instid1(VALU_DEP_2)
	s_or_b32 s7, s0, s7
	s_waitcnt vmcnt(0)
	v_fmac_f32_e32 v16, v22, v19
	v_fmac_f32_e32 v15, v21, v19
	v_fma_f32 v16, -v21, v20, v16
	s_delay_alu instid0(VALU_DEP_2)
	v_fmac_f32_e32 v15, v22, v20
	s_and_not1_b32 exec_lo, exec_lo, s7
	s_cbranch_execnz .LBB161_11
; %bb.12:
	s_set_inst_prefetch_distance 0x2
	s_or_b32 exec_lo, exec_lo, s7
.LBB161_13:
	s_delay_alu instid0(SALU_CYCLE_1) | instskip(SKIP_1) | instid1(VALU_DEP_1)
	s_or_b32 exec_lo, exec_lo, s5
	v_mbcnt_lo_u32_b32 v3, -1, 0
	v_or_b32_e32 v4, 32, v3
	v_xor_b32_e32 v6, 16, v3
	v_xor_b32_e32 v8, 8, v3
	s_delay_alu instid0(VALU_DEP_3) | instskip(SKIP_1) | instid1(VALU_DEP_4)
	v_cmp_gt_i32_e32 vcc_lo, 32, v4
	v_cndmask_b32_e32 v4, v3, v4, vcc_lo
	v_cmp_gt_i32_e32 vcc_lo, 32, v6
	s_delay_alu instid0(VALU_DEP_2)
	v_lshlrev_b32_e32 v4, 2, v4
	v_cndmask_b32_e32 v6, v3, v6, vcc_lo
	v_cmp_gt_i32_e32 vcc_lo, 32, v8
	ds_bpermute_b32 v5, v4, v16
	v_lshlrev_b32_e32 v6, 2, v6
	v_cndmask_b32_e32 v8, v3, v8, vcc_lo
	s_waitcnt lgkmcnt(0)
	s_delay_alu instid0(VALU_DEP_1)
	v_dual_add_f32 v5, v16, v5 :: v_dual_lshlrev_b32 v8, 2, v8
	ds_bpermute_b32 v7, v6, v5
	s_waitcnt lgkmcnt(0)
	v_add_f32_e32 v5, v5, v7
	ds_bpermute_b32 v4, v4, v15
	s_waitcnt lgkmcnt(0)
	v_add_f32_e32 v4, v15, v4
	ds_bpermute_b32 v6, v6, v4
	s_waitcnt lgkmcnt(0)
	v_add_f32_e32 v4, v4, v6
	ds_bpermute_b32 v6, v8, v5
	ds_bpermute_b32 v7, v8, v4
	v_xor_b32_e32 v8, 4, v3
	s_delay_alu instid0(VALU_DEP_1) | instskip(SKIP_2) | instid1(VALU_DEP_1)
	v_cmp_gt_i32_e32 vcc_lo, 32, v8
	s_waitcnt lgkmcnt(1)
	v_dual_cndmask_b32 v8, v3, v8 :: v_dual_add_f32 v5, v5, v6
	v_lshlrev_b32_e32 v8, 2, v8
	s_waitcnt lgkmcnt(0)
	v_add_f32_e32 v4, v4, v7
	ds_bpermute_b32 v6, v8, v5
	ds_bpermute_b32 v7, v8, v4
	v_xor_b32_e32 v8, 2, v3
	s_delay_alu instid0(VALU_DEP_1) | instskip(SKIP_2) | instid1(VALU_DEP_1)
	v_cmp_gt_i32_e32 vcc_lo, 32, v8
	v_cndmask_b32_e32 v8, v3, v8, vcc_lo
	s_waitcnt lgkmcnt(1)
	v_dual_add_f32 v5, v5, v6 :: v_dual_lshlrev_b32 v8, 2, v8
	s_waitcnt lgkmcnt(0)
	v_add_f32_e32 v4, v4, v7
	ds_bpermute_b32 v6, v8, v5
	ds_bpermute_b32 v7, v8, v4
	v_xor_b32_e32 v8, 1, v3
	s_delay_alu instid0(VALU_DEP_1) | instskip(SKIP_3) | instid1(VALU_DEP_2)
	v_cmp_gt_i32_e32 vcc_lo, 32, v8
	v_cndmask_b32_e32 v3, v3, v8, vcc_lo
	v_cmp_eq_u32_e32 vcc_lo, 63, v0
	s_waitcnt lgkmcnt(1)
	v_dual_add_f32 v3, v5, v6 :: v_dual_lshlrev_b32 v8, 2, v3
	s_waitcnt lgkmcnt(0)
	v_add_f32_e32 v4, v4, v7
	ds_bpermute_b32 v5, v8, v3
	ds_bpermute_b32 v6, v8, v4
	s_and_b32 exec_lo, exec_lo, vcc_lo
	s_cbranch_execz .LBB161_17
; %bb.14:
	v_cmp_neq_f32_e32 vcc_lo, 0, v11
	v_cmp_neq_f32_e64 s0, 0, v12
	s_waitcnt lgkmcnt(0)
	v_dual_add_f32 v3, v3, v5 :: v_dual_add_f32 v4, v4, v6
	s_delay_alu instid0(VALU_DEP_2) | instskip(NEXT) | instid1(SALU_CYCLE_1)
	s_or_b32 s1, vcc_lo, s0
	s_and_saveexec_b32 s0, s1
	s_cbranch_execz .LBB161_16
; %bb.15:
	v_add_co_u32 v5, vcc_lo, s2, v1
	v_add_co_ci_u32_e32 v6, vcc_lo, s3, v2, vcc_lo
	global_load_b64 v[5:6], v[5:6], off
	s_waitcnt vmcnt(0)
	v_fmac_f32_e32 v3, v11, v5
	v_fmac_f32_e32 v4, v12, v5
	s_delay_alu instid0(VALU_DEP_2) | instskip(NEXT) | instid1(VALU_DEP_2)
	v_fma_f32 v3, -v12, v6, v3
	v_fmac_f32_e32 v4, v11, v6
.LBB161_16:
	s_or_b32 exec_lo, exec_lo, s0
	v_add_co_u32 v0, vcc_lo, s2, v1
	v_add_co_ci_u32_e32 v1, vcc_lo, s3, v2, vcc_lo
	global_store_b64 v[0:1], v[3:4], off
.LBB161_17:
	s_nop 0
	s_sendmsg sendmsg(MSG_DEALLOC_VGPRS)
	s_endpgm
.LBB161_18:
	v_dual_mov_b32 v1, s6 :: v_dual_mov_b32 v2, s7
	flat_load_b32 v13, v[1:2]
	v_cndmask_b32_e64 v1, 0, 1, s5
	v_mov_b32_e32 v14, s7
	s_and_not1_b32 vcc_lo, exec_lo, s5
	s_cbranch_vccnz .LBB161_2
.LBB161_19:
	v_dual_mov_b32 v2, s6 :: v_dual_mov_b32 v3, s7
	flat_load_b32 v14, v[2:3] offset:4
	v_cmp_ne_u32_e32 vcc_lo, 1, v1
	v_mov_b32_e32 v11, s2
	s_cbranch_vccnz .LBB161_3
.LBB161_20:
	v_dual_mov_b32 v2, s2 :: v_dual_mov_b32 v3, s3
	flat_load_b32 v11, v[2:3]
	v_cmp_ne_u32_e32 vcc_lo, 1, v1
	v_mov_b32_e32 v12, s3
	s_cbranch_vccz .LBB161_4
	s_branch .LBB161_5
	.section	.rodata,"a",@progbits
	.p2align	6, 0x0
	.amdhsa_kernel _ZN9rocsparseL41csrmvn_lrb_medium_rows_warp_reduce_kernelILj256ELj64Elif21rocsparse_complex_numIfES2_S2_EEvbT1_lPT2_S5_jNS_24const_host_device_scalarIT6_EEPKS3_PKS4_PKT3_PKT4_S8_PT5_21rocsparse_index_base_b
		.amdhsa_group_segment_fixed_size 0
		.amdhsa_private_segment_fixed_size 0
		.amdhsa_kernarg_size 112
		.amdhsa_user_sgpr_count 15
		.amdhsa_user_sgpr_dispatch_ptr 0
		.amdhsa_user_sgpr_queue_ptr 0
		.amdhsa_user_sgpr_kernarg_segment_ptr 1
		.amdhsa_user_sgpr_dispatch_id 0
		.amdhsa_user_sgpr_private_segment_size 0
		.amdhsa_wavefront_size32 1
		.amdhsa_uses_dynamic_stack 0
		.amdhsa_enable_private_segment 0
		.amdhsa_system_sgpr_workgroup_id_x 1
		.amdhsa_system_sgpr_workgroup_id_y 0
		.amdhsa_system_sgpr_workgroup_id_z 0
		.amdhsa_system_sgpr_workgroup_info 0
		.amdhsa_system_vgpr_workitem_id 0
		.amdhsa_next_free_vgpr 23
		.amdhsa_next_free_sgpr 16
		.amdhsa_reserve_vcc 1
		.amdhsa_float_round_mode_32 0
		.amdhsa_float_round_mode_16_64 0
		.amdhsa_float_denorm_mode_32 3
		.amdhsa_float_denorm_mode_16_64 3
		.amdhsa_dx10_clamp 1
		.amdhsa_ieee_mode 1
		.amdhsa_fp16_overflow 0
		.amdhsa_workgroup_processor_mode 1
		.amdhsa_memory_ordered 1
		.amdhsa_forward_progress 0
		.amdhsa_shared_vgpr_count 0
		.amdhsa_exception_fp_ieee_invalid_op 0
		.amdhsa_exception_fp_denorm_src 0
		.amdhsa_exception_fp_ieee_div_zero 0
		.amdhsa_exception_fp_ieee_overflow 0
		.amdhsa_exception_fp_ieee_underflow 0
		.amdhsa_exception_fp_ieee_inexact 0
		.amdhsa_exception_int_div_zero 0
	.end_amdhsa_kernel
	.section	.text._ZN9rocsparseL41csrmvn_lrb_medium_rows_warp_reduce_kernelILj256ELj64Elif21rocsparse_complex_numIfES2_S2_EEvbT1_lPT2_S5_jNS_24const_host_device_scalarIT6_EEPKS3_PKS4_PKT3_PKT4_S8_PT5_21rocsparse_index_base_b,"axG",@progbits,_ZN9rocsparseL41csrmvn_lrb_medium_rows_warp_reduce_kernelILj256ELj64Elif21rocsparse_complex_numIfES2_S2_EEvbT1_lPT2_S5_jNS_24const_host_device_scalarIT6_EEPKS3_PKS4_PKT3_PKT4_S8_PT5_21rocsparse_index_base_b,comdat
.Lfunc_end161:
	.size	_ZN9rocsparseL41csrmvn_lrb_medium_rows_warp_reduce_kernelILj256ELj64Elif21rocsparse_complex_numIfES2_S2_EEvbT1_lPT2_S5_jNS_24const_host_device_scalarIT6_EEPKS3_PKS4_PKT3_PKT4_S8_PT5_21rocsparse_index_base_b, .Lfunc_end161-_ZN9rocsparseL41csrmvn_lrb_medium_rows_warp_reduce_kernelILj256ELj64Elif21rocsparse_complex_numIfES2_S2_EEvbT1_lPT2_S5_jNS_24const_host_device_scalarIT6_EEPKS3_PKS4_PKT3_PKT4_S8_PT5_21rocsparse_index_base_b
                                        ; -- End function
	.section	.AMDGPU.csdata,"",@progbits
; Kernel info:
; codeLenInByte = 1300
; NumSgprs: 18
; NumVgprs: 23
; ScratchSize: 0
; MemoryBound: 0
; FloatMode: 240
; IeeeMode: 1
; LDSByteSize: 0 bytes/workgroup (compile time only)
; SGPRBlocks: 2
; VGPRBlocks: 2
; NumSGPRsForWavesPerEU: 18
; NumVGPRsForWavesPerEU: 23
; Occupancy: 16
; WaveLimiterHint : 1
; COMPUTE_PGM_RSRC2:SCRATCH_EN: 0
; COMPUTE_PGM_RSRC2:USER_SGPR: 15
; COMPUTE_PGM_RSRC2:TRAP_HANDLER: 0
; COMPUTE_PGM_RSRC2:TGID_X_EN: 1
; COMPUTE_PGM_RSRC2:TGID_Y_EN: 0
; COMPUTE_PGM_RSRC2:TGID_Z_EN: 0
; COMPUTE_PGM_RSRC2:TIDIG_COMP_CNT: 0
	.section	.text._ZN9rocsparseL29csrmvn_lrb_medium_rows_kernelILj256Elif21rocsparse_complex_numIfES2_S2_EEvbT0_PT1_S5_jNS_24const_host_device_scalarIT5_EEPKS3_PKS4_PKT2_PKT3_S8_PT4_21rocsparse_index_base_b,"axG",@progbits,_ZN9rocsparseL29csrmvn_lrb_medium_rows_kernelILj256Elif21rocsparse_complex_numIfES2_S2_EEvbT0_PT1_S5_jNS_24const_host_device_scalarIT5_EEPKS3_PKS4_PKT2_PKT3_S8_PT4_21rocsparse_index_base_b,comdat
	.globl	_ZN9rocsparseL29csrmvn_lrb_medium_rows_kernelILj256Elif21rocsparse_complex_numIfES2_S2_EEvbT0_PT1_S5_jNS_24const_host_device_scalarIT5_EEPKS3_PKS4_PKT2_PKT3_S8_PT4_21rocsparse_index_base_b ; -- Begin function _ZN9rocsparseL29csrmvn_lrb_medium_rows_kernelILj256Elif21rocsparse_complex_numIfES2_S2_EEvbT0_PT1_S5_jNS_24const_host_device_scalarIT5_EEPKS3_PKS4_PKT2_PKT3_S8_PT4_21rocsparse_index_base_b
	.p2align	8
	.type	_ZN9rocsparseL29csrmvn_lrb_medium_rows_kernelILj256Elif21rocsparse_complex_numIfES2_S2_EEvbT0_PT1_S5_jNS_24const_host_device_scalarIT5_EEPKS3_PKS4_PKT2_PKT3_S8_PT4_21rocsparse_index_base_b,@function
_ZN9rocsparseL29csrmvn_lrb_medium_rows_kernelILj256Elif21rocsparse_complex_numIfES2_S2_EEvbT0_PT1_S5_jNS_24const_host_device_scalarIT5_EEPKS3_PKS4_PKT2_PKT3_S8_PT4_21rocsparse_index_base_b: ; @_ZN9rocsparseL29csrmvn_lrb_medium_rows_kernelILj256Elif21rocsparse_complex_numIfES2_S2_EEvbT0_PT1_S5_jNS_24const_host_device_scalarIT5_EEPKS3_PKS4_PKT2_PKT3_S8_PT4_21rocsparse_index_base_b
; %bb.0:
	s_clause 0x2
	s_load_b64 s[6:7], s[0:1], 0x60
	s_load_b64 s[4:5], s[0:1], 0x28
	;; [unrolled: 1-line block ×3, first 2 shown]
	s_waitcnt lgkmcnt(0)
	s_bitcmp1_b32 s7, 0
	v_mov_b32_e32 v11, s4
	s_cselect_b32 s7, -1, 0
	s_delay_alu instid0(SALU_CYCLE_1)
	s_and_b32 vcc_lo, exec_lo, s7
	s_xor_b32 s7, s7, -1
	s_cbranch_vccz .LBB162_33
; %bb.1:
	v_cndmask_b32_e64 v1, 0, 1, s7
	v_mov_b32_e32 v12, s5
	s_and_not1_b32 vcc_lo, exec_lo, s7
	s_cbranch_vccz .LBB162_34
.LBB162_2:
	s_delay_alu instid0(VALU_DEP_2)
	v_cmp_ne_u32_e32 vcc_lo, 1, v1
	v_mov_b32_e32 v9, s2
	s_cbranch_vccz .LBB162_35
.LBB162_3:
	v_cmp_ne_u32_e32 vcc_lo, 1, v1
	v_mov_b32_e32 v10, s3
	s_cbranch_vccnz .LBB162_5
.LBB162_4:
	v_dual_mov_b32 v1, s2 :: v_dual_mov_b32 v2, s3
	flat_load_b32 v10, v[1:2] offset:4
.LBB162_5:
	s_waitcnt vmcnt(0) lgkmcnt(0)
	v_cmp_eq_f32_e32 vcc_lo, 0, v11
	v_cmp_eq_f32_e64 s2, 0, v12
	s_delay_alu instid0(VALU_DEP_1)
	s_and_b32 s4, vcc_lo, s2
	s_mov_b32 s2, -1
	s_and_saveexec_b32 s3, s4
; %bb.6:
	v_cmp_neq_f32_e32 vcc_lo, 1.0, v9
	v_cmp_neq_f32_e64 s2, 0, v10
	s_delay_alu instid0(VALU_DEP_1) | instskip(NEXT) | instid1(SALU_CYCLE_1)
	s_or_b32 s2, vcc_lo, s2
	s_or_not1_b32 s2, s2, exec_lo
; %bb.7:
	s_or_b32 exec_lo, exec_lo, s3
	s_and_saveexec_b32 s3, s2
	s_cbranch_execz .LBB162_32
; %bb.8:
	s_clause 0x1
	s_load_b32 s8, s[0:1], 0x20
	s_load_b128 s[16:19], s[0:1], 0x10
	s_mov_b32 s9, 0
	v_sub_co_u32 v1, s7, v0, s6
	s_delay_alu instid0(VALU_DEP_1) | instskip(SKIP_4) | instid1(SALU_CYCLE_1)
	v_sub_co_ci_u32_e64 v2, null, 0, 0, s7
	v_dual_mov_b32 v4, 0 :: v_dual_mov_b32 v3, 0
	s_mov_b32 s7, exec_lo
	s_waitcnt lgkmcnt(0)
	s_lshl_b64 s[2:3], s[8:9], 2
	s_add_u32 s2, s18, s2
	s_addc_u32 s3, s19, s3
	s_load_b32 s2, s[2:3], 0x0
	s_waitcnt lgkmcnt(0)
	s_add_i32 s2, s2, s15
	s_delay_alu instid0(SALU_CYCLE_1) | instskip(NEXT) | instid1(SALU_CYCLE_1)
	s_ashr_i32 s3, s2, 31
	s_lshl_b64 s[2:3], s[2:3], 2
	s_delay_alu instid0(SALU_CYCLE_1)
	s_add_u32 s2, s16, s2
	s_addc_u32 s3, s17, s3
	s_load_b32 s2, s[2:3], 0x0
	s_load_b64 s[4:5], s[0:1], 0x30
	s_waitcnt lgkmcnt(0)
	s_ashr_i32 s3, s2, 31
	s_delay_alu instid0(SALU_CYCLE_1) | instskip(NEXT) | instid1(SALU_CYCLE_1)
	s_lshl_b64 s[2:3], s[2:3], 3
	s_add_u32 s4, s4, s2
	s_addc_u32 s5, s5, s3
	s_load_b128 s[12:15], s[4:5], 0x0
	s_load_b64 s[4:5], s[0:1], 0x58
	s_waitcnt lgkmcnt(0)
	v_add_co_u32 v1, vcc_lo, s12, v1
	v_add_co_ci_u32_e32 v2, vcc_lo, s13, v2, vcc_lo
	s_sub_u32 s10, s14, s6
	s_subb_u32 s11, s15, 0
	s_delay_alu instid0(VALU_DEP_1) | instid1(SALU_CYCLE_1)
	v_cmpx_gt_i64_e64 s[10:11], v[1:2]
	s_cbranch_execz .LBB162_12
; %bb.9:
	s_clause 0x1
	s_load_b128 s[16:19], s[0:1], 0x38
	s_load_b64 s[12:13], s[0:1], 0x48
	v_lshlrev_b64 v[7:8], 2, v[1:2]
	v_dual_mov_b32 v4, 0 :: v_dual_mul_f32 v13, 0x80000000, v12
	s_delay_alu instid0(VALU_DEP_1) | instskip(SKIP_1) | instid1(VALU_DEP_3)
	v_dual_mul_f32 v14, 0, v11 :: v_dual_mov_b32 v3, v4
	s_waitcnt lgkmcnt(0)
	v_add_co_u32 v5, vcc_lo, s18, v7
	s_delay_alu instid0(VALU_DEP_4)
	v_add_co_ci_u32_e32 v6, vcc_lo, s19, v8, vcc_lo
	v_add_co_u32 v7, vcc_lo, s16, v7
	v_add_co_ci_u32_e32 v8, vcc_lo, s17, v8, vcc_lo
	s_set_inst_prefetch_distance 0x1
	.p2align	6
.LBB162_10:                             ; =>This Inner Loop Header: Depth=1
	global_load_b32 v15, v[7:8], off
	global_load_b32 v17, v[5:6], off
	s_waitcnt vmcnt(1)
	v_subrev_nc_u32_e32 v15, s6, v15
	s_waitcnt vmcnt(0)
	v_fma_f32 v18, v11, v17, v13
	v_fma_f32 v17, v12, v17, v14
	s_delay_alu instid0(VALU_DEP_3) | instskip(NEXT) | instid1(VALU_DEP_1)
	v_ashrrev_i32_e32 v16, 31, v15
	v_lshlrev_b64 v[15:16], 3, v[15:16]
	s_delay_alu instid0(VALU_DEP_1) | instskip(NEXT) | instid1(VALU_DEP_2)
	v_add_co_u32 v15, vcc_lo, s12, v15
	v_add_co_ci_u32_e32 v16, vcc_lo, s13, v16, vcc_lo
	v_add_co_u32 v1, vcc_lo, 0x100, v1
	v_add_co_ci_u32_e32 v2, vcc_lo, 0, v2, vcc_lo
	global_load_b64 v[15:16], v[15:16], off
	v_add_co_u32 v5, vcc_lo, 0x400, v5
	v_add_co_ci_u32_e32 v6, vcc_lo, 0, v6, vcc_lo
	v_cmp_le_i64_e64 s0, s[10:11], v[1:2]
	v_add_co_u32 v7, vcc_lo, 0x400, v7
	v_add_co_ci_u32_e32 v8, vcc_lo, 0, v8, vcc_lo
	s_delay_alu instid0(VALU_DEP_3) | instskip(SKIP_3) | instid1(VALU_DEP_2)
	s_or_b32 s9, s0, s9
	s_waitcnt vmcnt(0)
	v_fmac_f32_e32 v3, v18, v15
	v_fmac_f32_e32 v4, v17, v15
	v_fma_f32 v3, -v17, v16, v3
	s_delay_alu instid0(VALU_DEP_2)
	v_fmac_f32_e32 v4, v18, v16
	s_and_not1_b32 exec_lo, exec_lo, s9
	s_cbranch_execnz .LBB162_10
; %bb.11:
	s_set_inst_prefetch_distance 0x2
	s_or_b32 exec_lo, exec_lo, s9
.LBB162_12:
	s_delay_alu instid0(SALU_CYCLE_1)
	s_or_b32 exec_lo, exec_lo, s7
	v_lshlrev_b32_e32 v1, 3, v0
	s_mov_b32 s0, exec_lo
	ds_store_b64 v1, v[3:4]
	s_waitcnt lgkmcnt(0)
	s_barrier
	buffer_gl0_inv
	v_cmpx_gt_u32_e32 0x80, v0
	s_cbranch_execz .LBB162_14
; %bb.13:
	ds_load_2addr_stride64_b64 v[2:5], v1 offset1:2
	s_waitcnt lgkmcnt(0)
	v_dual_add_f32 v2, v4, v2 :: v_dual_add_f32 v3, v5, v3
	ds_store_b64 v1, v[2:3]
.LBB162_14:
	s_or_b32 exec_lo, exec_lo, s0
	s_delay_alu instid0(SALU_CYCLE_1)
	s_mov_b32 s0, exec_lo
	s_waitcnt lgkmcnt(0)
	s_barrier
	buffer_gl0_inv
	v_cmpx_gt_u32_e32 64, v0
	s_cbranch_execz .LBB162_16
; %bb.15:
	ds_load_2addr_stride64_b64 v[2:5], v1 offset1:1
	s_waitcnt lgkmcnt(0)
	v_dual_add_f32 v2, v4, v2 :: v_dual_add_f32 v3, v5, v3
	ds_store_b64 v1, v[2:3]
.LBB162_16:
	s_or_b32 exec_lo, exec_lo, s0
	s_delay_alu instid0(SALU_CYCLE_1)
	s_mov_b32 s0, exec_lo
	s_waitcnt lgkmcnt(0)
	s_barrier
	buffer_gl0_inv
	v_cmpx_gt_u32_e32 32, v0
	s_cbranch_execz .LBB162_18
; %bb.17:
	ds_load_2addr_b64 v[2:5], v1 offset1:32
	s_waitcnt lgkmcnt(0)
	v_dual_add_f32 v2, v4, v2 :: v_dual_add_f32 v3, v5, v3
	ds_store_b64 v1, v[2:3]
.LBB162_18:
	s_or_b32 exec_lo, exec_lo, s0
	s_delay_alu instid0(SALU_CYCLE_1)
	s_mov_b32 s0, exec_lo
	s_waitcnt lgkmcnt(0)
	s_barrier
	buffer_gl0_inv
	v_cmpx_gt_u32_e32 16, v0
	s_cbranch_execz .LBB162_20
; %bb.19:
	ds_load_2addr_b64 v[2:5], v1 offset1:16
	s_waitcnt lgkmcnt(0)
	v_dual_add_f32 v2, v4, v2 :: v_dual_add_f32 v3, v5, v3
	ds_store_b64 v1, v[2:3]
.LBB162_20:
	;; [unrolled: 14-line block ×5, first 2 shown]
	s_or_b32 exec_lo, exec_lo, s0
	v_cmp_eq_u32_e32 vcc_lo, 0, v0
	s_waitcnt lgkmcnt(0)
	s_barrier
	buffer_gl0_inv
	s_and_saveexec_b32 s0, vcc_lo
	s_cbranch_execz .LBB162_28
; %bb.27:
	v_mov_b32_e32 v4, 0
	ds_load_2addr_b64 v[0:3], v4 offset1:1
	s_waitcnt lgkmcnt(0)
	v_dual_add_f32 v1, v3, v1 :: v_dual_add_f32 v0, v2, v0
	ds_store_b64 v4, v[0:1]
.LBB162_28:
	s_or_b32 exec_lo, exec_lo, s0
	s_waitcnt lgkmcnt(0)
	s_barrier
	buffer_gl0_inv
	s_and_b32 exec_lo, exec_lo, vcc_lo
	s_cbranch_execz .LBB162_32
; %bb.29:
	v_mov_b32_e32 v2, 0
	v_cmp_neq_f32_e32 vcc_lo, 0, v9
	v_cmp_neq_f32_e64 s0, 0, v10
	ds_load_b64 v[0:1], v2
	s_or_b32 s1, vcc_lo, s0
	s_delay_alu instid0(SALU_CYCLE_1)
	s_and_saveexec_b32 s0, s1
	s_cbranch_execz .LBB162_31
; %bb.30:
	s_add_u32 s6, s4, s2
	s_addc_u32 s7, s5, s3
	s_load_b64 s[6:7], s[6:7], 0x0
	s_waitcnt lgkmcnt(0)
	v_fma_f32 v0, s6, v9, v0
	v_fmac_f32_e32 v1, s6, v10
	s_delay_alu instid0(VALU_DEP_2) | instskip(NEXT) | instid1(VALU_DEP_2)
	v_fma_f32 v0, -v10, s7, v0
	v_fmac_f32_e32 v1, s7, v9
.LBB162_31:
	s_or_b32 exec_lo, exec_lo, s0
	s_add_u32 s0, s4, s2
	s_addc_u32 s1, s5, s3
	s_waitcnt lgkmcnt(0)
	global_store_b64 v2, v[0:1], s[0:1]
.LBB162_32:
	s_nop 0
	s_sendmsg sendmsg(MSG_DEALLOC_VGPRS)
	s_endpgm
.LBB162_33:
	v_dual_mov_b32 v1, s4 :: v_dual_mov_b32 v2, s5
	flat_load_b32 v11, v[1:2]
	v_cndmask_b32_e64 v1, 0, 1, s7
	v_mov_b32_e32 v12, s5
	s_and_not1_b32 vcc_lo, exec_lo, s7
	s_cbranch_vccnz .LBB162_2
.LBB162_34:
	v_dual_mov_b32 v2, s4 :: v_dual_mov_b32 v3, s5
	flat_load_b32 v12, v[2:3] offset:4
	v_cmp_ne_u32_e32 vcc_lo, 1, v1
	v_mov_b32_e32 v9, s2
	s_cbranch_vccnz .LBB162_3
.LBB162_35:
	v_dual_mov_b32 v2, s2 :: v_dual_mov_b32 v3, s3
	flat_load_b32 v9, v[2:3]
	v_cmp_ne_u32_e32 vcc_lo, 1, v1
	v_mov_b32_e32 v10, s3
	s_cbranch_vccz .LBB162_4
	s_branch .LBB162_5
	.section	.rodata,"a",@progbits
	.p2align	6, 0x0
	.amdhsa_kernel _ZN9rocsparseL29csrmvn_lrb_medium_rows_kernelILj256Elif21rocsparse_complex_numIfES2_S2_EEvbT0_PT1_S5_jNS_24const_host_device_scalarIT5_EEPKS3_PKS4_PKT2_PKT3_S8_PT4_21rocsparse_index_base_b
		.amdhsa_group_segment_fixed_size 2048
		.amdhsa_private_segment_fixed_size 0
		.amdhsa_kernarg_size 104
		.amdhsa_user_sgpr_count 15
		.amdhsa_user_sgpr_dispatch_ptr 0
		.amdhsa_user_sgpr_queue_ptr 0
		.amdhsa_user_sgpr_kernarg_segment_ptr 1
		.amdhsa_user_sgpr_dispatch_id 0
		.amdhsa_user_sgpr_private_segment_size 0
		.amdhsa_wavefront_size32 1
		.amdhsa_uses_dynamic_stack 0
		.amdhsa_enable_private_segment 0
		.amdhsa_system_sgpr_workgroup_id_x 1
		.amdhsa_system_sgpr_workgroup_id_y 0
		.amdhsa_system_sgpr_workgroup_id_z 0
		.amdhsa_system_sgpr_workgroup_info 0
		.amdhsa_system_vgpr_workitem_id 0
		.amdhsa_next_free_vgpr 19
		.amdhsa_next_free_sgpr 20
		.amdhsa_reserve_vcc 1
		.amdhsa_float_round_mode_32 0
		.amdhsa_float_round_mode_16_64 0
		.amdhsa_float_denorm_mode_32 3
		.amdhsa_float_denorm_mode_16_64 3
		.amdhsa_dx10_clamp 1
		.amdhsa_ieee_mode 1
		.amdhsa_fp16_overflow 0
		.amdhsa_workgroup_processor_mode 1
		.amdhsa_memory_ordered 1
		.amdhsa_forward_progress 0
		.amdhsa_shared_vgpr_count 0
		.amdhsa_exception_fp_ieee_invalid_op 0
		.amdhsa_exception_fp_denorm_src 0
		.amdhsa_exception_fp_ieee_div_zero 0
		.amdhsa_exception_fp_ieee_overflow 0
		.amdhsa_exception_fp_ieee_underflow 0
		.amdhsa_exception_fp_ieee_inexact 0
		.amdhsa_exception_int_div_zero 0
	.end_amdhsa_kernel
	.section	.text._ZN9rocsparseL29csrmvn_lrb_medium_rows_kernelILj256Elif21rocsparse_complex_numIfES2_S2_EEvbT0_PT1_S5_jNS_24const_host_device_scalarIT5_EEPKS3_PKS4_PKT2_PKT3_S8_PT4_21rocsparse_index_base_b,"axG",@progbits,_ZN9rocsparseL29csrmvn_lrb_medium_rows_kernelILj256Elif21rocsparse_complex_numIfES2_S2_EEvbT0_PT1_S5_jNS_24const_host_device_scalarIT5_EEPKS3_PKS4_PKT2_PKT3_S8_PT4_21rocsparse_index_base_b,comdat
.Lfunc_end162:
	.size	_ZN9rocsparseL29csrmvn_lrb_medium_rows_kernelILj256Elif21rocsparse_complex_numIfES2_S2_EEvbT0_PT1_S5_jNS_24const_host_device_scalarIT5_EEPKS3_PKS4_PKT2_PKT3_S8_PT4_21rocsparse_index_base_b, .Lfunc_end162-_ZN9rocsparseL29csrmvn_lrb_medium_rows_kernelILj256Elif21rocsparse_complex_numIfES2_S2_EEvbT0_PT1_S5_jNS_24const_host_device_scalarIT5_EEPKS3_PKS4_PKT2_PKT3_S8_PT4_21rocsparse_index_base_b
                                        ; -- End function
	.section	.AMDGPU.csdata,"",@progbits
; Kernel info:
; codeLenInByte = 1456
; NumSgprs: 22
; NumVgprs: 19
; ScratchSize: 0
; MemoryBound: 0
; FloatMode: 240
; IeeeMode: 1
; LDSByteSize: 2048 bytes/workgroup (compile time only)
; SGPRBlocks: 2
; VGPRBlocks: 2
; NumSGPRsForWavesPerEU: 22
; NumVGPRsForWavesPerEU: 19
; Occupancy: 16
; WaveLimiterHint : 1
; COMPUTE_PGM_RSRC2:SCRATCH_EN: 0
; COMPUTE_PGM_RSRC2:USER_SGPR: 15
; COMPUTE_PGM_RSRC2:TRAP_HANDLER: 0
; COMPUTE_PGM_RSRC2:TGID_X_EN: 1
; COMPUTE_PGM_RSRC2:TGID_Y_EN: 0
; COMPUTE_PGM_RSRC2:TGID_Z_EN: 0
; COMPUTE_PGM_RSRC2:TIDIG_COMP_CNT: 0
	.section	.text._ZN9rocsparseL27csrmvn_lrb_long_rows_kernelIlif21rocsparse_complex_numIfES2_S2_EEvbT_PjPT0_S6_jNS_24const_host_device_scalarIT4_EEPKS3_PKS5_PKT1_PKT2_S9_PT3_21rocsparse_index_base_b,"axG",@progbits,_ZN9rocsparseL27csrmvn_lrb_long_rows_kernelIlif21rocsparse_complex_numIfES2_S2_EEvbT_PjPT0_S6_jNS_24const_host_device_scalarIT4_EEPKS3_PKS5_PKT1_PKT2_S9_PT3_21rocsparse_index_base_b,comdat
	.globl	_ZN9rocsparseL27csrmvn_lrb_long_rows_kernelIlif21rocsparse_complex_numIfES2_S2_EEvbT_PjPT0_S6_jNS_24const_host_device_scalarIT4_EEPKS3_PKS5_PKT1_PKT2_S9_PT3_21rocsparse_index_base_b ; -- Begin function _ZN9rocsparseL27csrmvn_lrb_long_rows_kernelIlif21rocsparse_complex_numIfES2_S2_EEvbT_PjPT0_S6_jNS_24const_host_device_scalarIT4_EEPKS3_PKS5_PKT1_PKT2_S9_PT3_21rocsparse_index_base_b
	.p2align	8
	.type	_ZN9rocsparseL27csrmvn_lrb_long_rows_kernelIlif21rocsparse_complex_numIfES2_S2_EEvbT_PjPT0_S6_jNS_24const_host_device_scalarIT4_EEPKS3_PKS5_PKT1_PKT2_S9_PT3_21rocsparse_index_base_b,@function
_ZN9rocsparseL27csrmvn_lrb_long_rows_kernelIlif21rocsparse_complex_numIfES2_S2_EEvbT_PjPT0_S6_jNS_24const_host_device_scalarIT4_EEPKS3_PKS5_PKT1_PKT2_S9_PT3_21rocsparse_index_base_b: ; @_ZN9rocsparseL27csrmvn_lrb_long_rows_kernelIlif21rocsparse_complex_numIfES2_S2_EEvbT_PjPT0_S6_jNS_24const_host_device_scalarIT4_EEPKS3_PKS5_PKT1_PKT2_S9_PT3_21rocsparse_index_base_b
; %bb.0:
	s_clause 0x2
	s_load_b64 s[16:17], s[0:1], 0x68
	s_load_b64 s[4:5], s[0:1], 0x30
	;; [unrolled: 1-line block ×3, first 2 shown]
	s_mov_b32 s8, s15
	s_waitcnt lgkmcnt(0)
	s_bitcmp1_b32 s17, 0
	v_mov_b32_e32 v9, s4
	s_cselect_b32 s6, -1, 0
	s_delay_alu instid0(SALU_CYCLE_1)
	s_and_b32 vcc_lo, exec_lo, s6
	s_xor_b32 s6, s6, -1
	s_cbranch_vccz .LBB163_38
; %bb.1:
	v_cndmask_b32_e64 v1, 0, 1, s6
	v_mov_b32_e32 v10, s5
	s_and_not1_b32 vcc_lo, exec_lo, s6
	s_cbranch_vccz .LBB163_39
.LBB163_2:
	s_delay_alu instid0(VALU_DEP_2)
	v_cmp_ne_u32_e32 vcc_lo, 1, v1
	v_mov_b32_e32 v4, s2
	s_cbranch_vccz .LBB163_40
.LBB163_3:
	v_cmp_ne_u32_e32 vcc_lo, 1, v1
	v_mov_b32_e32 v3, s3
	s_cbranch_vccnz .LBB163_5
.LBB163_4:
	v_dual_mov_b32 v1, s2 :: v_dual_mov_b32 v2, s3
	flat_load_b32 v3, v[1:2] offset:4
.LBB163_5:
	s_waitcnt vmcnt(0) lgkmcnt(0)
	v_cmp_eq_f32_e32 vcc_lo, 0, v9
	v_cmp_eq_f32_e64 s2, 0, v10
	s_delay_alu instid0(VALU_DEP_1)
	s_and_b32 s4, vcc_lo, s2
	s_mov_b32 s2, -1
	s_and_saveexec_b32 s3, s4
; %bb.6:
	v_cmp_neq_f32_e32 vcc_lo, 1.0, v4
	v_cmp_neq_f32_e64 s2, 0, v3
	s_delay_alu instid0(VALU_DEP_1) | instskip(NEXT) | instid1(SALU_CYCLE_1)
	s_or_b32 s2, vcc_lo, s2
	s_or_not1_b32 s2, s2, exec_lo
; %bb.7:
	s_or_b32 exec_lo, exec_lo, s3
	s_and_saveexec_b32 s3, s2
	s_cbranch_execz .LBB163_48
; %bb.8:
	s_clause 0x1
	s_load_b32 s18, s[0:1], 0x28
	s_load_b64 s[2:3], s[0:1], 0x20
	s_mov_b32 s19, 0
	v_mov_b32_e32 v2, 0
	s_waitcnt lgkmcnt(0)
	s_lshl_b64 s[4:5], s[18:19], 2
	s_delay_alu instid0(SALU_CYCLE_1) | instskip(SKIP_4) | instid1(SALU_CYCLE_1)
	s_add_u32 s2, s2, s4
	s_addc_u32 s3, s3, s5
	s_lshl_b32 s4, -1, s18
	s_load_b32 s2, s[2:3], 0x0
	s_not_b32 s4, s4
	s_mul_hi_u32 s4, s4, 0x2aaaaaab
	s_delay_alu instid0(SALU_CYCLE_1) | instskip(NEXT) | instid1(SALU_CYCLE_1)
	s_lshr_b32 s4, s4, 7
	s_add_i32 s9, s4, 1
	s_not_b32 s4, s4
	v_cvt_f32_u32_e32 v1, s9
	s_delay_alu instid0(VALU_DEP_1) | instskip(SKIP_2) | instid1(VALU_DEP_1)
	v_rcp_iflag_f32_e32 v1, v1
	s_waitcnt_depctr 0xfff
	v_mul_f32_e32 v1, 0x4f7ffffe, v1
	v_cvt_u32_f32_e32 v1, v1
	s_delay_alu instid0(VALU_DEP_1) | instskip(NEXT) | instid1(VALU_DEP_1)
	v_readfirstlane_b32 s5, v1
	s_mul_i32 s4, s4, s5
	s_delay_alu instid0(SALU_CYCLE_1) | instskip(NEXT) | instid1(SALU_CYCLE_1)
	s_mul_hi_u32 s3, s5, s4
	s_add_i32 s5, s5, s3
	s_delay_alu instid0(SALU_CYCLE_1) | instskip(SKIP_4) | instid1(SALU_CYCLE_1)
	s_mul_hi_u32 s3, s8, s5
	s_load_b128 s[4:7], s[0:1], 0x10
	s_mul_i32 s10, s3, s9
	s_add_i32 s11, s3, 1
	s_sub_i32 s10, s8, s10
	s_sub_i32 s12, s10, s9
	s_cmp_ge_u32 s10, s9
	s_cselect_b32 s3, s11, s3
	s_cselect_b32 s10, s12, s10
	s_add_i32 s11, s3, 1
	s_cmp_ge_u32 s10, s9
	s_cselect_b32 s10, s11, s3
	s_waitcnt lgkmcnt(0)
	s_add_i32 s2, s10, s2
	s_mul_i32 s14, s10, s9
	s_ashr_i32 s3, s2, 31
	s_sub_i32 s22, s8, s14
	s_lshl_b64 s[2:3], s[2:3], 2
	v_or_b32_e32 v1, s22, v0
	s_add_u32 s2, s6, s2
	s_addc_u32 s3, s7, s3
	s_load_b32 s2, s[2:3], 0x0
	s_load_b64 s[6:7], s[0:1], 0x38
	v_cmp_eq_u32_e32 vcc_lo, 0, v1
	v_mov_b32_e32 v1, 0
	s_waitcnt lgkmcnt(0)
	s_ashr_i32 s3, s2, 31
	s_delay_alu instid0(SALU_CYCLE_1) | instskip(NEXT) | instid1(SALU_CYCLE_1)
	s_lshl_b64 s[2:3], s[2:3], 3
	s_add_u32 s10, s6, s2
	s_addc_u32 s11, s7, s3
	s_ashr_i32 s9, s8, 31
	s_load_b64 s[6:7], s[0:1], 0x60
	s_lshl_b64 s[8:9], s[8:9], 2
	s_delay_alu instid0(SALU_CYCLE_1)
	s_add_u32 s12, s4, s8
	s_addc_u32 s13, s5, s9
	s_load_b128 s[8:11], s[10:11], 0x0
	s_load_b32 s17, s[12:13], 0x0
	s_and_saveexec_b32 s18, vcc_lo
	s_cbranch_execz .LBB163_12
; %bb.9:
	s_waitcnt lgkmcnt(0)
	s_add_u32 s20, s6, s2
	s_addc_u32 s21, s7, s3
	v_add_f32_e32 v4, -1.0, v4
	s_load_b64 s[20:21], s[20:21], 0x0
	s_mov_b32 s23, exec_lo
	s_waitcnt lgkmcnt(0)
	v_mbcnt_lo_u32_b32 v5, s23, 0
	s_waitcnt vmcnt(0) expcnt(0) lgkmcnt(0)
	v_mul_f32_e64 v1, s21, -v3
	v_mul_f32_e32 v2, s21, v4
	s_mov_b32 s21, exec_lo
	v_cmpx_eq_u32_e32 0, v5
	s_cbranch_execz .LBB163_11
; %bb.10:
	s_ashr_i32 s15, s14, 31
	s_delay_alu instid0(SALU_CYCLE_1) | instskip(NEXT) | instid1(SALU_CYCLE_1)
	s_lshl_b64 s[24:25], s[14:15], 2
	s_add_u32 s24, s4, s24
	s_addc_u32 s25, s5, s25
	s_bcnt1_i32_b32 s15, s23
	s_delay_alu instid0(SALU_CYCLE_1) | instskip(NEXT) | instid1(SALU_CYCLE_1)
	s_and_b32 s15, s15, 1
	v_dual_mov_b32 v5, 0 :: v_dual_mov_b32 v6, s15
	global_atomic_xor_b32 v5, v6, s[24:25]
.LBB163_11:
	s_or_b32 exec_lo, exec_lo, s21
	v_dual_fmac_f32 v1, s20, v4 :: v_dual_fmac_f32 v2, s20, v3
.LBB163_12:
	s_or_b32 exec_lo, exec_lo, s18
	s_mul_i32 s18, s22, 3
	s_delay_alu instid0(SALU_CYCLE_1)
	s_lshl_b64 s[18:19], s[18:19], 8
	s_waitcnt lgkmcnt(0)
	s_sub_u32 s8, s8, s16
	s_subb_u32 s9, s9, 0
	s_add_u32 s15, s8, s18
	s_addc_u32 s18, s9, s19
	s_sub_u32 s8, s10, s16
	s_subb_u32 s9, s11, 0
	s_add_u32 s10, s15, 0x300
	s_addc_u32 s11, s18, 0
	v_add_co_u32 v3, s15, s15, v0
	v_cmp_lt_i64_e64 s19, s[10:11], s[8:9]
	v_add_co_ci_u32_e64 v4, null, s18, 0, s15
	s_delay_alu instid0(VALU_DEP_2)
	s_and_b32 s15, s19, exec_lo
	s_cselect_b32 s9, s11, s9
	s_cselect_b32 s8, s10, s8
	s_mov_b32 s15, exec_lo
	v_cmpx_gt_i64_e64 s[8:9], v[3:4]
	s_cbranch_execz .LBB163_16
; %bb.13:
	s_clause 0x1
	s_load_b128 s[24:27], s[0:1], 0x40
	s_load_b64 s[10:11], s[0:1], 0x50
	v_lshlrev_b64 v[7:8], 2, v[3:4]
	v_dual_mul_f32 v11, 0x80000000, v10 :: v_dual_mul_f32 v12, 0, v9
	s_mov_b32 s1, 0
	s_waitcnt lgkmcnt(0)
	s_delay_alu instid0(VALU_DEP_2) | instskip(NEXT) | instid1(VALU_DEP_3)
	v_add_co_u32 v5, vcc_lo, s26, v7
	v_add_co_ci_u32_e32 v6, vcc_lo, s27, v8, vcc_lo
	v_add_co_u32 v7, vcc_lo, s24, v7
	v_add_co_ci_u32_e32 v8, vcc_lo, s25, v8, vcc_lo
	s_set_inst_prefetch_distance 0x1
	.p2align	6
.LBB163_14:                             ; =>This Inner Loop Header: Depth=1
	global_load_b32 v13, v[7:8], off
	global_load_b32 v15, v[5:6], off
	s_waitcnt vmcnt(1)
	v_subrev_nc_u32_e32 v13, s16, v13
	s_waitcnt vmcnt(0)
	v_fma_f32 v16, v9, v15, v11
	v_fma_f32 v15, v10, v15, v12
	s_delay_alu instid0(VALU_DEP_3) | instskip(NEXT) | instid1(VALU_DEP_1)
	v_ashrrev_i32_e32 v14, 31, v13
	v_lshlrev_b64 v[13:14], 3, v[13:14]
	s_delay_alu instid0(VALU_DEP_1) | instskip(NEXT) | instid1(VALU_DEP_2)
	v_add_co_u32 v13, vcc_lo, s10, v13
	v_add_co_ci_u32_e32 v14, vcc_lo, s11, v14, vcc_lo
	v_add_co_u32 v3, vcc_lo, 0x100, v3
	v_add_co_ci_u32_e32 v4, vcc_lo, 0, v4, vcc_lo
	global_load_b64 v[13:14], v[13:14], off
	v_add_co_u32 v5, vcc_lo, 0x400, v5
	v_add_co_ci_u32_e32 v6, vcc_lo, 0, v6, vcc_lo
	v_cmp_le_i64_e64 s0, s[8:9], v[3:4]
	v_add_co_u32 v7, vcc_lo, 0x400, v7
	v_add_co_ci_u32_e32 v8, vcc_lo, 0, v8, vcc_lo
	s_delay_alu instid0(VALU_DEP_3) | instskip(SKIP_3) | instid1(VALU_DEP_2)
	s_or_b32 s1, s0, s1
	s_waitcnt vmcnt(0)
	v_fmac_f32_e32 v1, v16, v13
	v_fmac_f32_e32 v2, v15, v13
	v_fma_f32 v1, -v15, v14, v1
	s_delay_alu instid0(VALU_DEP_2)
	v_fmac_f32_e32 v2, v16, v14
	s_and_not1_b32 exec_lo, exec_lo, s1
	s_cbranch_execnz .LBB163_14
; %bb.15:
	s_set_inst_prefetch_distance 0x2
	s_or_b32 exec_lo, exec_lo, s1
.LBB163_16:
	s_delay_alu instid0(SALU_CYCLE_1)
	s_or_b32 exec_lo, exec_lo, s15
	v_lshlrev_b32_e32 v3, 3, v0
	s_mov_b32 s0, exec_lo
	ds_store_b64 v3, v[1:2]
	s_waitcnt lgkmcnt(0)
	s_waitcnt_vscnt null, 0x0
	s_barrier
	buffer_gl0_inv
	v_cmpx_gt_u32_e32 0x80, v0
	s_cbranch_execz .LBB163_18
; %bb.17:
	ds_load_2addr_stride64_b64 v[4:7], v3 offset1:2
	s_waitcnt lgkmcnt(0)
	v_dual_add_f32 v1, v6, v4 :: v_dual_add_f32 v2, v7, v5
	ds_store_b64 v3, v[1:2]
.LBB163_18:
	s_or_b32 exec_lo, exec_lo, s0
	s_delay_alu instid0(SALU_CYCLE_1)
	s_mov_b32 s0, exec_lo
	s_waitcnt lgkmcnt(0)
	s_barrier
	buffer_gl0_inv
	v_cmpx_gt_u32_e32 64, v0
	s_cbranch_execz .LBB163_20
; %bb.19:
	ds_load_2addr_stride64_b64 v[4:7], v3 offset1:1
	s_waitcnt lgkmcnt(0)
	v_dual_add_f32 v1, v6, v4 :: v_dual_add_f32 v2, v7, v5
	ds_store_b64 v3, v[1:2]
.LBB163_20:
	s_or_b32 exec_lo, exec_lo, s0
	s_delay_alu instid0(SALU_CYCLE_1)
	s_mov_b32 s0, exec_lo
	s_waitcnt lgkmcnt(0)
	s_barrier
	buffer_gl0_inv
	v_cmpx_gt_u32_e32 32, v0
	s_cbranch_execz .LBB163_22
; %bb.21:
	ds_load_2addr_b64 v[4:7], v3 offset1:32
	s_waitcnt lgkmcnt(0)
	v_dual_add_f32 v1, v6, v4 :: v_dual_add_f32 v2, v7, v5
	ds_store_b64 v3, v[1:2]
.LBB163_22:
	s_or_b32 exec_lo, exec_lo, s0
	s_delay_alu instid0(SALU_CYCLE_1)
	s_mov_b32 s0, exec_lo
	s_waitcnt lgkmcnt(0)
	s_barrier
	buffer_gl0_inv
	v_cmpx_gt_u32_e32 16, v0
	s_cbranch_execz .LBB163_24
; %bb.23:
	ds_load_2addr_b64 v[4:7], v3 offset1:16
	s_waitcnt lgkmcnt(0)
	v_dual_add_f32 v1, v6, v4 :: v_dual_add_f32 v2, v7, v5
	ds_store_b64 v3, v[1:2]
.LBB163_24:
	;; [unrolled: 14-line block ×5, first 2 shown]
	s_or_b32 exec_lo, exec_lo, s0
	v_cmp_eq_u32_e32 vcc_lo, 0, v0
	s_waitcnt lgkmcnt(0)
	s_barrier
	buffer_gl0_inv
	s_and_saveexec_b32 s0, vcc_lo
	s_cbranch_execz .LBB163_32
; %bb.31:
	v_mov_b32_e32 v4, 0
	ds_load_2addr_b64 v[0:3], v4 offset1:1
	s_waitcnt lgkmcnt(0)
	v_dual_add_f32 v1, v3, v1 :: v_dual_add_f32 v0, v2, v0
	ds_store_b64 v4, v[0:1]
.LBB163_32:
	s_or_b32 exec_lo, exec_lo, s0
	s_waitcnt lgkmcnt(0)
	s_barrier
	buffer_gl0_inv
	s_and_b32 exec_lo, exec_lo, vcc_lo
	s_cbranch_execz .LBB163_48
; %bb.33:
	s_cmp_eq_u32 s22, 0
	s_cbranch_scc1 .LBB163_42
; %bb.34:
	s_ashr_i32 s15, s14, 31
	v_mov_b32_e32 v0, 0
	s_lshl_b64 s[0:1], s[14:15], 2
	s_delay_alu instid0(SALU_CYCLE_1)
	s_add_u32 s0, s4, s0
	s_addc_u32 s1, s5, s1
	s_branch .LBB163_36
.LBB163_35:                             ;   in Loop: Header=BB163_36 Depth=1
	s_or_b32 exec_lo, exec_lo, s4
	s_waitcnt vmcnt(0)
	v_readfirstlane_b32 s4, v1
	s_delay_alu instid0(VALU_DEP_1)
	s_cmp_eq_u32 s4, s17
	s_cbranch_scc0 .LBB163_41
.LBB163_36:                             ; =>This Inner Loop Header: Depth=1
	v_mbcnt_lo_u32_b32 v1, exec_lo, 0
	s_delay_alu instid0(VALU_DEP_1)
	v_cmp_eq_u32_e32 vcc_lo, 0, v1
                                        ; implicit-def: $vgpr1
	s_and_saveexec_b32 s4, vcc_lo
	s_cbranch_execz .LBB163_35
; %bb.37:                               ;   in Loop: Header=BB163_36 Depth=1
	global_load_b32 v1, v0, s[0:1] glc
	s_branch .LBB163_35
.LBB163_38:
	v_dual_mov_b32 v1, s4 :: v_dual_mov_b32 v2, s5
	flat_load_b32 v9, v[1:2]
	v_cndmask_b32_e64 v1, 0, 1, s6
	v_mov_b32_e32 v10, s5
	s_and_not1_b32 vcc_lo, exec_lo, s6
	s_cbranch_vccnz .LBB163_2
.LBB163_39:
	v_dual_mov_b32 v2, s4 :: v_dual_mov_b32 v3, s5
	flat_load_b32 v10, v[2:3] offset:4
	v_cmp_ne_u32_e32 vcc_lo, 1, v1
	v_mov_b32_e32 v4, s2
	s_cbranch_vccnz .LBB163_3
.LBB163_40:
	v_dual_mov_b32 v2, s2 :: v_dual_mov_b32 v3, s3
	flat_load_b32 v4, v[2:3]
	v_cmp_ne_u32_e32 vcc_lo, 1, v1
	v_mov_b32_e32 v3, s3
	s_cbranch_vccz .LBB163_4
	s_branch .LBB163_5
.LBB163_41:
	v_mov_b32_e32 v0, 0
	global_load_b32 v1, v0, s[12:13]
	s_waitcnt vmcnt(0)
	v_xor_b32_e32 v1, 1, v1
	global_store_b32 v0, v1, s[12:13]
.LBB163_42:
	v_mov_b32_e32 v4, 0
	s_mov_b32 s4, exec_lo
	s_add_u32 s0, s6, s2
	v_mbcnt_lo_u32_b32 v2, s4, 0
	s_addc_u32 s1, s7, s3
	ds_load_b64 v[0:1], v4
	s_mov_b32 s2, exec_lo
	v_cmpx_eq_u32_e32 0, v2
	s_cbranch_execz .LBB163_45
; %bb.43:
	global_load_b32 v3, v4, s[0:1]
	s_bcnt1_i32_b32 s3, s4
	s_delay_alu instid0(SALU_CYCLE_1) | instskip(SKIP_2) | instid1(VALU_DEP_1)
	v_cvt_f32_ubyte0_e32 v2, s3
	s_mov_b32 s3, 0
	s_waitcnt lgkmcnt(0)
	v_mul_f32_e32 v0, v0, v2
.LBB163_44:                             ; =>This Inner Loop Header: Depth=1
	s_waitcnt vmcnt(0)
	s_delay_alu instid0(VALU_DEP_1)
	v_add_f32_e32 v2, v3, v0
	global_atomic_cmpswap_b32 v2, v4, v[2:3], s[0:1] glc
	s_waitcnt vmcnt(0)
	v_cmp_eq_u32_e32 vcc_lo, v2, v3
	v_mov_b32_e32 v3, v2
	s_or_b32 s3, vcc_lo, s3
	s_delay_alu instid0(SALU_CYCLE_1)
	s_and_not1_b32 exec_lo, exec_lo, s3
	s_cbranch_execnz .LBB163_44
.LBB163_45:
	s_or_b32 exec_lo, exec_lo, s2
	s_delay_alu instid0(SALU_CYCLE_1) | instskip(SKIP_3) | instid1(VALU_DEP_1)
	s_mov_b32 s3, exec_lo
	s_mov_b32 s2, 0
	s_waitcnt lgkmcnt(0)
	v_mbcnt_lo_u32_b32 v0, s3, 0
	v_cmp_eq_u32_e32 vcc_lo, 0, v0
	s_and_b32 s4, exec_lo, vcc_lo
	s_delay_alu instid0(SALU_CYCLE_1)
	s_mov_b32 exec_lo, s4
	s_cbranch_execz .LBB163_48
; %bb.46:
	s_bcnt1_i32_b32 s3, s3
	s_delay_alu instid0(SALU_CYCLE_1) | instskip(NEXT) | instid1(VALU_DEP_1)
	v_cvt_f32_ubyte0_e32 v3, s3
	v_dual_mov_b32 v0, 0 :: v_dual_mul_f32 v3, v1, v3
	global_load_b32 v2, v0, s[0:1] offset:4
.LBB163_47:                             ; =>This Inner Loop Header: Depth=1
	s_waitcnt vmcnt(0)
	v_add_f32_e32 v1, v2, v3
	global_atomic_cmpswap_b32 v1, v0, v[1:2], s[0:1] offset:4 glc
	s_waitcnt vmcnt(0)
	v_cmp_eq_u32_e32 vcc_lo, v1, v2
	v_mov_b32_e32 v2, v1
	s_or_b32 s2, vcc_lo, s2
	s_delay_alu instid0(SALU_CYCLE_1)
	s_and_not1_b32 exec_lo, exec_lo, s2
	s_cbranch_execnz .LBB163_47
.LBB163_48:
	s_nop 0
	s_sendmsg sendmsg(MSG_DEALLOC_VGPRS)
	s_endpgm
	.section	.rodata,"a",@progbits
	.p2align	6, 0x0
	.amdhsa_kernel _ZN9rocsparseL27csrmvn_lrb_long_rows_kernelIlif21rocsparse_complex_numIfES2_S2_EEvbT_PjPT0_S6_jNS_24const_host_device_scalarIT4_EEPKS3_PKS5_PKT1_PKT2_S9_PT3_21rocsparse_index_base_b
		.amdhsa_group_segment_fixed_size 2048
		.amdhsa_private_segment_fixed_size 0
		.amdhsa_kernarg_size 112
		.amdhsa_user_sgpr_count 15
		.amdhsa_user_sgpr_dispatch_ptr 0
		.amdhsa_user_sgpr_queue_ptr 0
		.amdhsa_user_sgpr_kernarg_segment_ptr 1
		.amdhsa_user_sgpr_dispatch_id 0
		.amdhsa_user_sgpr_private_segment_size 0
		.amdhsa_wavefront_size32 1
		.amdhsa_uses_dynamic_stack 0
		.amdhsa_enable_private_segment 0
		.amdhsa_system_sgpr_workgroup_id_x 1
		.amdhsa_system_sgpr_workgroup_id_y 0
		.amdhsa_system_sgpr_workgroup_id_z 0
		.amdhsa_system_sgpr_workgroup_info 0
		.amdhsa_system_vgpr_workitem_id 0
		.amdhsa_next_free_vgpr 17
		.amdhsa_next_free_sgpr 28
		.amdhsa_reserve_vcc 1
		.amdhsa_float_round_mode_32 0
		.amdhsa_float_round_mode_16_64 0
		.amdhsa_float_denorm_mode_32 3
		.amdhsa_float_denorm_mode_16_64 3
		.amdhsa_dx10_clamp 1
		.amdhsa_ieee_mode 1
		.amdhsa_fp16_overflow 0
		.amdhsa_workgroup_processor_mode 1
		.amdhsa_memory_ordered 1
		.amdhsa_forward_progress 0
		.amdhsa_shared_vgpr_count 0
		.amdhsa_exception_fp_ieee_invalid_op 0
		.amdhsa_exception_fp_denorm_src 0
		.amdhsa_exception_fp_ieee_div_zero 0
		.amdhsa_exception_fp_ieee_overflow 0
		.amdhsa_exception_fp_ieee_underflow 0
		.amdhsa_exception_fp_ieee_inexact 0
		.amdhsa_exception_int_div_zero 0
	.end_amdhsa_kernel
	.section	.text._ZN9rocsparseL27csrmvn_lrb_long_rows_kernelIlif21rocsparse_complex_numIfES2_S2_EEvbT_PjPT0_S6_jNS_24const_host_device_scalarIT4_EEPKS3_PKS5_PKT1_PKT2_S9_PT3_21rocsparse_index_base_b,"axG",@progbits,_ZN9rocsparseL27csrmvn_lrb_long_rows_kernelIlif21rocsparse_complex_numIfES2_S2_EEvbT_PjPT0_S6_jNS_24const_host_device_scalarIT4_EEPKS3_PKS5_PKT1_PKT2_S9_PT3_21rocsparse_index_base_b,comdat
.Lfunc_end163:
	.size	_ZN9rocsparseL27csrmvn_lrb_long_rows_kernelIlif21rocsparse_complex_numIfES2_S2_EEvbT_PjPT0_S6_jNS_24const_host_device_scalarIT4_EEPKS3_PKS5_PKT1_PKT2_S9_PT3_21rocsparse_index_base_b, .Lfunc_end163-_ZN9rocsparseL27csrmvn_lrb_long_rows_kernelIlif21rocsparse_complex_numIfES2_S2_EEvbT_PjPT0_S6_jNS_24const_host_device_scalarIT4_EEPKS3_PKS5_PKT1_PKT2_S9_PT3_21rocsparse_index_base_b
                                        ; -- End function
	.section	.AMDGPU.csdata,"",@progbits
; Kernel info:
; codeLenInByte = 2076
; NumSgprs: 30
; NumVgprs: 17
; ScratchSize: 0
; MemoryBound: 0
; FloatMode: 240
; IeeeMode: 1
; LDSByteSize: 2048 bytes/workgroup (compile time only)
; SGPRBlocks: 3
; VGPRBlocks: 2
; NumSGPRsForWavesPerEU: 30
; NumVGPRsForWavesPerEU: 17
; Occupancy: 16
; WaveLimiterHint : 1
; COMPUTE_PGM_RSRC2:SCRATCH_EN: 0
; COMPUTE_PGM_RSRC2:USER_SGPR: 15
; COMPUTE_PGM_RSRC2:TRAP_HANDLER: 0
; COMPUTE_PGM_RSRC2:TGID_X_EN: 1
; COMPUTE_PGM_RSRC2:TGID_Y_EN: 0
; COMPUTE_PGM_RSRC2:TGID_Z_EN: 0
; COMPUTE_PGM_RSRC2:TIDIG_COMP_CNT: 0
	.section	.text._ZN9rocsparseL28csrmvn_lrb_short_rows_kernelIllf21rocsparse_complex_numIfES2_S2_EEvbT_PT0_S5_jNS_24const_host_device_scalarIT4_EEPKS3_PKS4_PKT1_PKT2_S8_PT3_21rocsparse_index_base_b,"axG",@progbits,_ZN9rocsparseL28csrmvn_lrb_short_rows_kernelIllf21rocsparse_complex_numIfES2_S2_EEvbT_PT0_S5_jNS_24const_host_device_scalarIT4_EEPKS3_PKS4_PKT1_PKT2_S8_PT3_21rocsparse_index_base_b,comdat
	.globl	_ZN9rocsparseL28csrmvn_lrb_short_rows_kernelIllf21rocsparse_complex_numIfES2_S2_EEvbT_PT0_S5_jNS_24const_host_device_scalarIT4_EEPKS3_PKS4_PKT1_PKT2_S8_PT3_21rocsparse_index_base_b ; -- Begin function _ZN9rocsparseL28csrmvn_lrb_short_rows_kernelIllf21rocsparse_complex_numIfES2_S2_EEvbT_PT0_S5_jNS_24const_host_device_scalarIT4_EEPKS3_PKS4_PKT1_PKT2_S8_PT3_21rocsparse_index_base_b
	.p2align	8
	.type	_ZN9rocsparseL28csrmvn_lrb_short_rows_kernelIllf21rocsparse_complex_numIfES2_S2_EEvbT_PT0_S5_jNS_24const_host_device_scalarIT4_EEPKS3_PKS4_PKT1_PKT2_S8_PT3_21rocsparse_index_base_b,@function
_ZN9rocsparseL28csrmvn_lrb_short_rows_kernelIllf21rocsparse_complex_numIfES2_S2_EEvbT_PT0_S5_jNS_24const_host_device_scalarIT4_EEPKS3_PKS4_PKT1_PKT2_S8_PT3_21rocsparse_index_base_b: ; @_ZN9rocsparseL28csrmvn_lrb_short_rows_kernelIllf21rocsparse_complex_numIfES2_S2_EEvbT_PT0_S5_jNS_24const_host_device_scalarIT4_EEPKS3_PKS4_PKT1_PKT2_S8_PT3_21rocsparse_index_base_b
; %bb.0:
	s_clause 0x2
	s_load_b64 s[12:13], s[0:1], 0x60
	s_load_b64 s[4:5], s[0:1], 0x28
	;; [unrolled: 1-line block ×3, first 2 shown]
	s_waitcnt lgkmcnt(0)
	s_bitcmp1_b32 s13, 0
	v_mov_b32_e32 v10, s4
	s_cselect_b32 s6, -1, 0
	s_delay_alu instid0(SALU_CYCLE_1)
	s_and_b32 vcc_lo, exec_lo, s6
	s_xor_b32 s6, s6, -1
	s_cbranch_vccz .LBB164_16
; %bb.1:
	v_cndmask_b32_e64 v1, 0, 1, s6
	v_mov_b32_e32 v11, s5
	s_and_not1_b32 vcc_lo, exec_lo, s6
	s_cbranch_vccz .LBB164_17
.LBB164_2:
	s_delay_alu instid0(VALU_DEP_2)
	v_cmp_ne_u32_e32 vcc_lo, 1, v1
	v_mov_b32_e32 v8, s2
	s_cbranch_vccz .LBB164_18
.LBB164_3:
	v_cmp_ne_u32_e32 vcc_lo, 1, v1
	v_mov_b32_e32 v9, s3
	s_cbranch_vccnz .LBB164_5
.LBB164_4:
	v_dual_mov_b32 v1, s2 :: v_dual_mov_b32 v2, s3
	flat_load_b32 v9, v[1:2] offset:4
.LBB164_5:
	s_waitcnt vmcnt(0) lgkmcnt(0)
	v_cmp_eq_f32_e32 vcc_lo, 0, v10
	v_cmp_eq_f32_e64 s2, 0, v11
	s_delay_alu instid0(VALU_DEP_1)
	s_and_b32 s4, vcc_lo, s2
	s_mov_b32 s2, -1
	s_and_saveexec_b32 s3, s4
; %bb.6:
	v_cmp_neq_f32_e32 vcc_lo, 1.0, v8
	v_cmp_neq_f32_e64 s2, 0, v9
	s_delay_alu instid0(VALU_DEP_1) | instskip(NEXT) | instid1(SALU_CYCLE_1)
	s_or_b32 s2, vcc_lo, s2
	s_or_not1_b32 s2, s2, exec_lo
; %bb.7:
	s_or_b32 exec_lo, exec_lo, s3
	s_and_saveexec_b32 s3, s2
	s_cbranch_execz .LBB164_25
; %bb.8:
	s_clause 0x1
	s_load_b32 s2, s[0:1], 0x20
	s_load_b128 s[16:19], s[0:1], 0x10
	s_mov_b32 s3, 0
	s_delay_alu instid0(SALU_CYCLE_1) | instskip(SKIP_2) | instid1(SALU_CYCLE_1)
	s_mov_b32 s7, s3
	s_waitcnt lgkmcnt(0)
	s_lshl_b64 s[4:5], s[2:3], 3
	s_add_u32 s4, s18, s4
	s_addc_u32 s5, s19, s5
	s_add_i32 s6, s2, 1
	s_delay_alu instid0(SALU_CYCLE_1) | instskip(NEXT) | instid1(SALU_CYCLE_1)
	s_lshl_b64 s[6:7], s[6:7], 3
	s_add_u32 s6, s18, s6
	s_addc_u32 s7, s19, s7
	s_clause 0x1
	s_load_b64 s[18:19], s[4:5], 0x0
	s_load_b32 s4, s[6:7], 0x0
	s_lshl_b32 s14, s15, 8
	s_delay_alu instid0(SALU_CYCLE_1) | instskip(SKIP_2) | instid1(SALU_CYCLE_1)
	s_add_i32 s5, s14, 0x100
	s_waitcnt lgkmcnt(0)
	s_sub_i32 s4, s4, s18
	s_min_u32 s13, s4, s5
	s_cmp_gt_u32 s2, 23
	s_cbranch_scc1 .LBB164_19
; %bb.9:
	s_load_b256 s[4:11], s[0:1], 0x30
	v_dual_mov_b32 v5, 0 :: v_dual_mul_f32 v12, 0x80000000, v11
	s_lshl_b64 s[20:21], s[18:19], 3
	v_bfe_u32 v6, v0, 0, s2
	v_mul_f32_e32 v13, 0, v10
	s_delay_alu instid0(VALU_DEP_3)
	v_mov_b32_e32 v7, v5
	v_lshl_add_u32 v14, v0, 3, 0
	s_lshl_b32 s15, 0x100, s2
	s_add_u32 s20, s16, s20
	s_addc_u32 s21, s17, s21
	s_branch .LBB164_11
.LBB164_10:                             ;   in Loop: Header=BB164_11 Depth=1
	s_or_b32 exec_lo, exec_lo, s22
	v_add_nc_u32_e32 v14, 0x800, v14
	s_addk_i32 s3, 0x100
	s_delay_alu instid0(SALU_CYCLE_1)
	s_cmp_ge_u32 s3, s15
	s_cbranch_scc1 .LBB164_19
.LBB164_11:                             ; =>This Inner Loop Header: Depth=1
	v_add_nc_u32_e32 v1, s3, v0
	s_mov_b32 s22, exec_lo
	s_delay_alu instid0(VALU_DEP_1) | instskip(NEXT) | instid1(VALU_DEP_1)
	v_lshrrev_b32_e32 v1, s2, v1
	v_add_nc_u32_e32 v4, s14, v1
	s_delay_alu instid0(VALU_DEP_1)
	v_cmpx_gt_u32_e64 s13, v4
	s_cbranch_execz .LBB164_10
; %bb.12:                               ;   in Loop: Header=BB164_11 Depth=1
	v_lshlrev_b64 v[1:2], 3, v[4:5]
	s_mov_b32 s23, exec_lo
	s_delay_alu instid0(VALU_DEP_1) | instskip(NEXT) | instid1(VALU_DEP_2)
	v_add_co_u32 v1, vcc_lo, s20, v1
	v_add_co_ci_u32_e32 v2, vcc_lo, s21, v2, vcc_lo
	global_load_b64 v[1:2], v[1:2], off
	s_waitcnt vmcnt(0)
	v_lshlrev_b64 v[1:2], 3, v[1:2]
	s_waitcnt lgkmcnt(0)
	s_delay_alu instid0(VALU_DEP_1) | instskip(NEXT) | instid1(VALU_DEP_2)
	v_add_co_u32 v1, vcc_lo, s4, v1
	v_add_co_ci_u32_e32 v2, vcc_lo, s5, v2, vcc_lo
	global_load_b128 v[1:4], v[1:2], off
	s_waitcnt vmcnt(0)
	v_sub_co_u32 v3, vcc_lo, v3, v1
	v_sub_co_ci_u32_e32 v4, vcc_lo, v4, v2, vcc_lo
	s_delay_alu instid0(VALU_DEP_1)
	v_cmpx_le_i64_e64 v[3:4], v[6:7]
	s_xor_b32 s23, exec_lo, s23
	s_cbranch_execz .LBB164_14
; %bb.13:                               ;   in Loop: Header=BB164_11 Depth=1
	ds_store_2addr_b32 v14, v5, v5 offset1:1
                                        ; implicit-def: $vgpr1_vgpr2
.LBB164_14:                             ;   in Loop: Header=BB164_11 Depth=1
	s_and_not1_saveexec_b32 s23, s23
	s_cbranch_execz .LBB164_10
; %bb.15:                               ;   in Loop: Header=BB164_11 Depth=1
	v_sub_co_u32 v1, vcc_lo, v1, s12
	v_subrev_co_ci_u32_e32 v2, vcc_lo, 0, v2, vcc_lo
	s_delay_alu instid0(VALU_DEP_2) | instskip(NEXT) | instid1(VALU_DEP_2)
	v_add_co_u32 v1, vcc_lo, v1, v6
	v_add_co_ci_u32_e32 v2, vcc_lo, 0, v2, vcc_lo
	s_delay_alu instid0(VALU_DEP_1) | instskip(SKIP_1) | instid1(VALU_DEP_2)
	v_lshlrev_b64 v[3:4], 3, v[1:2]
	v_lshlrev_b64 v[1:2], 2, v[1:2]
	v_add_co_u32 v3, vcc_lo, s6, v3
	s_delay_alu instid0(VALU_DEP_3)
	v_add_co_ci_u32_e32 v4, vcc_lo, s7, v4, vcc_lo
	global_load_b64 v[3:4], v[3:4], off
	s_waitcnt vmcnt(0)
	v_sub_co_u32 v3, vcc_lo, v3, s12
	v_subrev_co_ci_u32_e32 v4, vcc_lo, 0, v4, vcc_lo
	v_add_co_u32 v1, vcc_lo, s8, v1
	v_add_co_ci_u32_e32 v2, vcc_lo, s9, v2, vcc_lo
	s_delay_alu instid0(VALU_DEP_3)
	v_lshlrev_b64 v[3:4], 3, v[3:4]
	global_load_b32 v15, v[1:2], off
	v_add_co_u32 v1, vcc_lo, s10, v3
	v_add_co_ci_u32_e32 v2, vcc_lo, s11, v4, vcc_lo
	global_load_b64 v[1:2], v[1:2], off
	s_waitcnt vmcnt(1)
	v_fma_f32 v3, v11, v15, v13
	v_fma_f32 v4, v10, v15, v12
	s_waitcnt vmcnt(0)
	s_delay_alu instid0(VALU_DEP_2) | instskip(NEXT) | instid1(VALU_DEP_2)
	v_mul_f32_e64 v15, v2, -v3
	v_mul_f32_e32 v2, v4, v2
	s_delay_alu instid0(VALU_DEP_2) | instskip(NEXT) | instid1(VALU_DEP_2)
	v_fmac_f32_e32 v15, v4, v1
	v_fmac_f32_e32 v2, v3, v1
	ds_store_2addr_b32 v14, v15, v2 offset1:1
	s_branch .LBB164_10
.LBB164_16:
	v_dual_mov_b32 v1, s4 :: v_dual_mov_b32 v2, s5
	flat_load_b32 v10, v[1:2]
	v_cndmask_b32_e64 v1, 0, 1, s6
	v_mov_b32_e32 v11, s5
	s_and_not1_b32 vcc_lo, exec_lo, s6
	s_cbranch_vccnz .LBB164_2
.LBB164_17:
	v_dual_mov_b32 v2, s4 :: v_dual_mov_b32 v3, s5
	flat_load_b32 v11, v[2:3] offset:4
	v_cmp_ne_u32_e32 vcc_lo, 1, v1
	v_mov_b32_e32 v8, s2
	s_cbranch_vccnz .LBB164_3
.LBB164_18:
	v_dual_mov_b32 v2, s2 :: v_dual_mov_b32 v3, s3
	flat_load_b32 v8, v[2:3]
	v_cmp_ne_u32_e32 vcc_lo, 1, v1
	v_mov_b32_e32 v9, s3
	s_cbranch_vccz .LBB164_4
	s_branch .LBB164_5
.LBB164_19:
	s_sub_i32 s3, s13, s14
	s_waitcnt lgkmcnt(0)
	v_cmp_gt_u32_e32 vcc_lo, s3, v0
	s_barrier
	buffer_gl0_inv
	s_and_b32 exec_lo, exec_lo, vcc_lo
	s_cbranch_execz .LBB164_25
; %bb.20:
	s_lshl_b64 s[4:5], s[18:19], 3
	s_mov_b32 s15, 0
	s_add_u32 s3, s16, s4
	s_addc_u32 s6, s17, s5
	s_lshl_b64 s[4:5], s[14:15], 3
	v_lshlrev_b32_e32 v1, 3, v0
	s_add_u32 s4, s3, s4
	s_addc_u32 s5, s6, s5
	v_lshlrev_b32_e32 v0, s2, v0
	global_load_b64 v[2:3], v1, s[4:5]
	v_mov_b32_e32 v1, 0
	s_load_b64 s[4:5], s[0:1], 0x58
	v_lshl_add_u32 v4, v0, 3, 0
	s_mov_b32 s0, 1
	s_delay_alu instid0(VALU_DEP_2)
	v_mov_b32_e32 v0, v1
.LBB164_21:                             ; =>This Inner Loop Header: Depth=1
	ds_load_2addr_b32 v[5:6], v4 offset1:1
	v_add_nc_u32_e32 v4, 8, v4
	s_lshr_b32 s1, s0, s2
	s_add_i32 s0, s0, 1
	s_cmp_lg_u32 s1, 0
	s_waitcnt lgkmcnt(0)
	v_dual_add_f32 v1, v1, v6 :: v_dual_add_f32 v0, v0, v5
	s_cbranch_scc0 .LBB164_21
; %bb.22:
	v_cmp_neq_f32_e32 vcc_lo, 0, v8
	v_cmp_neq_f32_e64 s0, 0, v9
	s_waitcnt vmcnt(0)
	v_lshlrev_b64 v[2:3], 3, v[2:3]
	s_delay_alu instid0(VALU_DEP_2) | instskip(NEXT) | instid1(SALU_CYCLE_1)
	s_or_b32 s1, vcc_lo, s0
	s_and_saveexec_b32 s0, s1
	s_cbranch_execz .LBB164_24
; %bb.23:
	s_delay_alu instid0(VALU_DEP_1) | instskip(NEXT) | instid1(VALU_DEP_2)
	v_add_co_u32 v4, vcc_lo, s4, v2
	v_add_co_ci_u32_e32 v5, vcc_lo, s5, v3, vcc_lo
	global_load_b64 v[4:5], v[4:5], off
	s_waitcnt vmcnt(0)
	v_fmac_f32_e32 v0, v8, v4
	v_fmac_f32_e32 v1, v9, v4
	s_delay_alu instid0(VALU_DEP_2) | instskip(NEXT) | instid1(VALU_DEP_2)
	v_fma_f32 v0, -v9, v5, v0
	v_fmac_f32_e32 v1, v8, v5
.LBB164_24:
	s_or_b32 exec_lo, exec_lo, s0
	s_delay_alu instid0(VALU_DEP_1)
	v_add_co_u32 v2, vcc_lo, s4, v2
	v_add_co_ci_u32_e32 v3, vcc_lo, s5, v3, vcc_lo
	global_store_b64 v[2:3], v[0:1], off
.LBB164_25:
	s_nop 0
	s_sendmsg sendmsg(MSG_DEALLOC_VGPRS)
	s_endpgm
	.section	.rodata,"a",@progbits
	.p2align	6, 0x0
	.amdhsa_kernel _ZN9rocsparseL28csrmvn_lrb_short_rows_kernelIllf21rocsparse_complex_numIfES2_S2_EEvbT_PT0_S5_jNS_24const_host_device_scalarIT4_EEPKS3_PKS4_PKT1_PKT2_S8_PT3_21rocsparse_index_base_b
		.amdhsa_group_segment_fixed_size 0
		.amdhsa_private_segment_fixed_size 0
		.amdhsa_kernarg_size 104
		.amdhsa_user_sgpr_count 15
		.amdhsa_user_sgpr_dispatch_ptr 0
		.amdhsa_user_sgpr_queue_ptr 0
		.amdhsa_user_sgpr_kernarg_segment_ptr 1
		.amdhsa_user_sgpr_dispatch_id 0
		.amdhsa_user_sgpr_private_segment_size 0
		.amdhsa_wavefront_size32 1
		.amdhsa_uses_dynamic_stack 0
		.amdhsa_enable_private_segment 0
		.amdhsa_system_sgpr_workgroup_id_x 1
		.amdhsa_system_sgpr_workgroup_id_y 0
		.amdhsa_system_sgpr_workgroup_id_z 0
		.amdhsa_system_sgpr_workgroup_info 0
		.amdhsa_system_vgpr_workitem_id 0
		.amdhsa_next_free_vgpr 16
		.amdhsa_next_free_sgpr 24
		.amdhsa_reserve_vcc 1
		.amdhsa_float_round_mode_32 0
		.amdhsa_float_round_mode_16_64 0
		.amdhsa_float_denorm_mode_32 3
		.amdhsa_float_denorm_mode_16_64 3
		.amdhsa_dx10_clamp 1
		.amdhsa_ieee_mode 1
		.amdhsa_fp16_overflow 0
		.amdhsa_workgroup_processor_mode 1
		.amdhsa_memory_ordered 1
		.amdhsa_forward_progress 0
		.amdhsa_shared_vgpr_count 0
		.amdhsa_exception_fp_ieee_invalid_op 0
		.amdhsa_exception_fp_denorm_src 0
		.amdhsa_exception_fp_ieee_div_zero 0
		.amdhsa_exception_fp_ieee_overflow 0
		.amdhsa_exception_fp_ieee_underflow 0
		.amdhsa_exception_fp_ieee_inexact 0
		.amdhsa_exception_int_div_zero 0
	.end_amdhsa_kernel
	.section	.text._ZN9rocsparseL28csrmvn_lrb_short_rows_kernelIllf21rocsparse_complex_numIfES2_S2_EEvbT_PT0_S5_jNS_24const_host_device_scalarIT4_EEPKS3_PKS4_PKT1_PKT2_S8_PT3_21rocsparse_index_base_b,"axG",@progbits,_ZN9rocsparseL28csrmvn_lrb_short_rows_kernelIllf21rocsparse_complex_numIfES2_S2_EEvbT_PT0_S5_jNS_24const_host_device_scalarIT4_EEPKS3_PKS4_PKT1_PKT2_S8_PT3_21rocsparse_index_base_b,comdat
.Lfunc_end164:
	.size	_ZN9rocsparseL28csrmvn_lrb_short_rows_kernelIllf21rocsparse_complex_numIfES2_S2_EEvbT_PT0_S5_jNS_24const_host_device_scalarIT4_EEPKS3_PKS4_PKT1_PKT2_S8_PT3_21rocsparse_index_base_b, .Lfunc_end164-_ZN9rocsparseL28csrmvn_lrb_short_rows_kernelIllf21rocsparse_complex_numIfES2_S2_EEvbT_PT0_S5_jNS_24const_host_device_scalarIT4_EEPKS3_PKS4_PKT1_PKT2_S8_PT3_21rocsparse_index_base_b
                                        ; -- End function
	.section	.AMDGPU.csdata,"",@progbits
; Kernel info:
; codeLenInByte = 1160
; NumSgprs: 26
; NumVgprs: 16
; ScratchSize: 0
; MemoryBound: 0
; FloatMode: 240
; IeeeMode: 1
; LDSByteSize: 0 bytes/workgroup (compile time only)
; SGPRBlocks: 3
; VGPRBlocks: 1
; NumSGPRsForWavesPerEU: 26
; NumVGPRsForWavesPerEU: 16
; Occupancy: 16
; WaveLimiterHint : 1
; COMPUTE_PGM_RSRC2:SCRATCH_EN: 0
; COMPUTE_PGM_RSRC2:USER_SGPR: 15
; COMPUTE_PGM_RSRC2:TRAP_HANDLER: 0
; COMPUTE_PGM_RSRC2:TGID_X_EN: 1
; COMPUTE_PGM_RSRC2:TGID_Y_EN: 0
; COMPUTE_PGM_RSRC2:TGID_Z_EN: 0
; COMPUTE_PGM_RSRC2:TIDIG_COMP_CNT: 0
	.section	.text._ZN9rocsparseL30csrmvn_lrb_short_rows_2_kernelIllf21rocsparse_complex_numIfES2_S2_EEvbT_PT0_S5_jNS_24const_host_device_scalarIT4_EEPKS3_PKS4_PKT1_PKT2_S8_PT3_21rocsparse_index_base_b,"axG",@progbits,_ZN9rocsparseL30csrmvn_lrb_short_rows_2_kernelIllf21rocsparse_complex_numIfES2_S2_EEvbT_PT0_S5_jNS_24const_host_device_scalarIT4_EEPKS3_PKS4_PKT1_PKT2_S8_PT3_21rocsparse_index_base_b,comdat
	.globl	_ZN9rocsparseL30csrmvn_lrb_short_rows_2_kernelIllf21rocsparse_complex_numIfES2_S2_EEvbT_PT0_S5_jNS_24const_host_device_scalarIT4_EEPKS3_PKS4_PKT1_PKT2_S8_PT3_21rocsparse_index_base_b ; -- Begin function _ZN9rocsparseL30csrmvn_lrb_short_rows_2_kernelIllf21rocsparse_complex_numIfES2_S2_EEvbT_PT0_S5_jNS_24const_host_device_scalarIT4_EEPKS3_PKS4_PKT1_PKT2_S8_PT3_21rocsparse_index_base_b
	.p2align	8
	.type	_ZN9rocsparseL30csrmvn_lrb_short_rows_2_kernelIllf21rocsparse_complex_numIfES2_S2_EEvbT_PT0_S5_jNS_24const_host_device_scalarIT4_EEPKS3_PKS4_PKT1_PKT2_S8_PT3_21rocsparse_index_base_b,@function
_ZN9rocsparseL30csrmvn_lrb_short_rows_2_kernelIllf21rocsparse_complex_numIfES2_S2_EEvbT_PT0_S5_jNS_24const_host_device_scalarIT4_EEPKS3_PKS4_PKT1_PKT2_S8_PT3_21rocsparse_index_base_b: ; @_ZN9rocsparseL30csrmvn_lrb_short_rows_2_kernelIllf21rocsparse_complex_numIfES2_S2_EEvbT_PT0_S5_jNS_24const_host_device_scalarIT4_EEPKS3_PKS4_PKT1_PKT2_S8_PT3_21rocsparse_index_base_b
; %bb.0:
	s_clause 0x2
	s_load_b64 s[20:21], s[0:1], 0x60
	s_load_b64 s[4:5], s[0:1], 0x28
	;; [unrolled: 1-line block ×3, first 2 shown]
	s_waitcnt lgkmcnt(0)
	s_bitcmp1_b32 s21, 0
	v_mov_b32_e32 v11, s4
	s_cselect_b32 s6, -1, 0
	s_delay_alu instid0(SALU_CYCLE_1)
	s_and_b32 vcc_lo, exec_lo, s6
	s_xor_b32 s6, s6, -1
	s_cbranch_vccz .LBB165_38
; %bb.1:
	v_cndmask_b32_e64 v1, 0, 1, s6
	v_mov_b32_e32 v12, s5
	s_and_not1_b32 vcc_lo, exec_lo, s6
	s_cbranch_vccz .LBB165_39
.LBB165_2:
	s_delay_alu instid0(VALU_DEP_2)
	v_cmp_ne_u32_e32 vcc_lo, 1, v1
	v_mov_b32_e32 v9, s2
	s_cbranch_vccz .LBB165_40
.LBB165_3:
	v_cmp_ne_u32_e32 vcc_lo, 1, v1
	v_mov_b32_e32 v10, s3
	s_cbranch_vccnz .LBB165_5
.LBB165_4:
	v_dual_mov_b32 v1, s2 :: v_dual_mov_b32 v2, s3
	flat_load_b32 v10, v[1:2] offset:4
.LBB165_5:
	s_waitcnt vmcnt(0) lgkmcnt(0)
	v_cmp_eq_f32_e32 vcc_lo, 0, v11
	v_cmp_eq_f32_e64 s2, 0, v12
	s_delay_alu instid0(VALU_DEP_1)
	s_and_b32 s4, vcc_lo, s2
	s_mov_b32 s2, -1
	s_and_saveexec_b32 s3, s4
; %bb.6:
	v_cmp_neq_f32_e32 vcc_lo, 1.0, v9
	v_cmp_neq_f32_e64 s2, 0, v10
	s_delay_alu instid0(VALU_DEP_1) | instskip(NEXT) | instid1(SALU_CYCLE_1)
	s_or_b32 s2, vcc_lo, s2
	s_or_not1_b32 s2, s2, exec_lo
; %bb.7:
	s_or_b32 exec_lo, exec_lo, s3
	s_and_saveexec_b32 s3, s2
	s_cbranch_execz .LBB165_37
; %bb.8:
	s_clause 0x1
	s_load_b32 s2, s[0:1], 0x20
	s_load_b128 s[16:19], s[0:1], 0x10
	s_mov_b32 s3, 0
	v_dual_mul_f32 v13, 0x80000000, v12 :: v_dual_mul_f32 v14, 0, v11
	s_mov_b32 s7, s3
	s_waitcnt lgkmcnt(0)
	s_lshl_b64 s[4:5], s[2:3], 3
	v_lshrrev_b32_e32 v1, s2, v0
	s_add_u32 s4, s18, s4
	s_addc_u32 s5, s19, s5
	s_add_i32 s6, s2, 1
	v_bfe_u32 v5, v0, 0, s2
	s_lshl_b64 s[6:7], s[6:7], 3
	s_delay_alu instid0(SALU_CYCLE_1)
	s_add_u32 s6, s18, s6
	s_addc_u32 s7, s19, s7
	s_clause 0x1
	s_load_b64 s[18:19], s[4:5], 0x0
	s_load_b32 s13, s[6:7], 0x0
	s_load_b256 s[4:11], s[0:1], 0x30
	s_lshr_b32 s3, 0x400, s2
	s_delay_alu instid0(SALU_CYCLE_1) | instskip(NEXT) | instid1(SALU_CYCLE_1)
	s_mul_i32 s12, s3, s15
	v_dual_mov_b32 v6, 0 :: v_dual_add_nc_u32 v1, s12, v1
	s_add_i32 s21, s12, s3
	s_waitcnt lgkmcnt(0)
	s_lshl_b64 s[14:15], s[18:19], 3
	s_sub_i32 s13, s13, s18
	s_delay_alu instid0(SALU_CYCLE_1)
	s_min_u32 s13, s13, s21
	s_add_u32 s14, s16, s14
	s_addc_u32 s15, s17, s15
	s_mov_b32 s16, exec_lo
	v_cmpx_gt_u32_e64 s13, v1
	s_cbranch_execz .LBB165_13
; %bb.9:
	v_mov_b32_e32 v2, v6
	s_mov_b32 s17, exec_lo
	s_delay_alu instid0(VALU_DEP_1) | instskip(NEXT) | instid1(VALU_DEP_1)
	v_lshlrev_b64 v[1:2], 3, v[1:2]
	v_add_co_u32 v1, vcc_lo, s14, v1
	s_delay_alu instid0(VALU_DEP_2) | instskip(SKIP_3) | instid1(VALU_DEP_1)
	v_add_co_ci_u32_e32 v2, vcc_lo, s15, v2, vcc_lo
	global_load_b64 v[1:2], v[1:2], off
	s_waitcnt vmcnt(0)
	v_lshlrev_b64 v[1:2], 3, v[1:2]
	v_add_co_u32 v1, vcc_lo, s4, v1
	s_delay_alu instid0(VALU_DEP_2) | instskip(SKIP_4) | instid1(VALU_DEP_1)
	v_add_co_ci_u32_e32 v2, vcc_lo, s5, v2, vcc_lo
	global_load_b128 v[1:4], v[1:2], off
	s_waitcnt vmcnt(0)
	v_sub_co_u32 v3, vcc_lo, v3, v1
	v_sub_co_ci_u32_e32 v4, vcc_lo, v4, v2, vcc_lo
	v_cmpx_le_i64_e64 v[3:4], v[5:6]
	s_xor_b32 s17, exec_lo, s17
	s_cbranch_execz .LBB165_11
; %bb.10:
	v_mov_b32_e32 v1, 0
	s_delay_alu instid0(VALU_DEP_1)
	v_dual_mov_b32 v2, v1 :: v_dual_lshlrev_b32 v3, 3, v0
	ds_store_b64 v3, v[1:2]
                                        ; implicit-def: $vgpr1_vgpr2
.LBB165_11:
	s_and_not1_saveexec_b32 s17, s17
	s_cbranch_execz .LBB165_13
; %bb.12:
	v_sub_co_u32 v1, vcc_lo, v1, s20
	v_subrev_co_ci_u32_e32 v2, vcc_lo, 0, v2, vcc_lo
	s_delay_alu instid0(VALU_DEP_2) | instskip(NEXT) | instid1(VALU_DEP_2)
	v_add_co_u32 v1, vcc_lo, v1, v5
	v_add_co_ci_u32_e32 v2, vcc_lo, 0, v2, vcc_lo
	s_delay_alu instid0(VALU_DEP_1) | instskip(SKIP_1) | instid1(VALU_DEP_2)
	v_lshlrev_b64 v[3:4], 3, v[1:2]
	v_lshlrev_b64 v[1:2], 2, v[1:2]
	v_add_co_u32 v3, vcc_lo, s6, v3
	s_delay_alu instid0(VALU_DEP_3)
	v_add_co_ci_u32_e32 v4, vcc_lo, s7, v4, vcc_lo
	global_load_b64 v[3:4], v[3:4], off
	s_waitcnt vmcnt(0)
	v_sub_co_u32 v3, vcc_lo, v3, s20
	v_subrev_co_ci_u32_e32 v4, vcc_lo, 0, v4, vcc_lo
	v_add_co_u32 v1, vcc_lo, s8, v1
	v_add_co_ci_u32_e32 v2, vcc_lo, s9, v2, vcc_lo
	s_delay_alu instid0(VALU_DEP_3)
	v_lshlrev_b64 v[3:4], 3, v[3:4]
	global_load_b32 v7, v[1:2], off
	v_add_co_u32 v1, vcc_lo, s10, v3
	v_add_co_ci_u32_e32 v2, vcc_lo, s11, v4, vcc_lo
	global_load_b64 v[1:2], v[1:2], off
	s_waitcnt vmcnt(1)
	v_fma_f32 v8, v12, v7, v14
	v_fma_f32 v7, v11, v7, v13
	s_waitcnt vmcnt(0)
	s_delay_alu instid0(VALU_DEP_2) | instskip(NEXT) | instid1(VALU_DEP_2)
	v_mul_f32_e64 v3, v2, -v8
	v_mul_f32_e32 v4, v7, v2
	s_delay_alu instid0(VALU_DEP_2) | instskip(NEXT) | instid1(VALU_DEP_2)
	v_fmac_f32_e32 v3, v7, v1
	v_dual_fmac_f32 v4, v8, v1 :: v_dual_lshlrev_b32 v1, 3, v0
	ds_store_b64 v1, v[3:4]
.LBB165_13:
	s_or_b32 exec_lo, exec_lo, s16
	v_or_b32_e32 v1, 0x100, v0
	s_mov_b32 s16, exec_lo
	s_delay_alu instid0(VALU_DEP_1) | instskip(NEXT) | instid1(VALU_DEP_1)
	v_lshrrev_b32_e32 v1, s2, v1
	v_add_nc_u32_e32 v7, s12, v1
	s_delay_alu instid0(VALU_DEP_1)
	v_cmpx_gt_u32_e64 s13, v7
	s_cbranch_execz .LBB165_18
; %bb.14:
	v_mov_b32_e32 v8, 0
	s_mov_b32 s17, exec_lo
	s_delay_alu instid0(VALU_DEP_1) | instskip(NEXT) | instid1(VALU_DEP_1)
	v_lshlrev_b64 v[1:2], 3, v[7:8]
	v_add_co_u32 v1, vcc_lo, s14, v1
	s_delay_alu instid0(VALU_DEP_2) | instskip(SKIP_3) | instid1(VALU_DEP_1)
	v_add_co_ci_u32_e32 v2, vcc_lo, s15, v2, vcc_lo
	global_load_b64 v[1:2], v[1:2], off
	s_waitcnt vmcnt(0)
	v_lshlrev_b64 v[1:2], 3, v[1:2]
	v_add_co_u32 v1, vcc_lo, s4, v1
	s_delay_alu instid0(VALU_DEP_2) | instskip(SKIP_4) | instid1(VALU_DEP_1)
	v_add_co_ci_u32_e32 v2, vcc_lo, s5, v2, vcc_lo
	global_load_b128 v[1:4], v[1:2], off
	s_waitcnt vmcnt(0)
	v_sub_co_u32 v3, vcc_lo, v3, v1
	v_sub_co_ci_u32_e32 v4, vcc_lo, v4, v2, vcc_lo
	v_cmpx_le_i64_e64 v[3:4], v[5:6]
	s_xor_b32 s17, exec_lo, s17
	s_cbranch_execz .LBB165_16
; %bb.15:
	v_lshlrev_b32_e32 v1, 3, v0
	v_mov_b32_e32 v7, v8
	ds_store_b64 v1, v[7:8] offset:2048
                                        ; implicit-def: $vgpr1_vgpr2
.LBB165_16:
	s_and_not1_saveexec_b32 s17, s17
	s_cbranch_execz .LBB165_18
; %bb.17:
	v_sub_co_u32 v1, vcc_lo, v1, s20
	v_subrev_co_ci_u32_e32 v2, vcc_lo, 0, v2, vcc_lo
	s_delay_alu instid0(VALU_DEP_2) | instskip(NEXT) | instid1(VALU_DEP_2)
	v_add_co_u32 v1, vcc_lo, v1, v5
	v_add_co_ci_u32_e32 v2, vcc_lo, 0, v2, vcc_lo
	s_delay_alu instid0(VALU_DEP_1) | instskip(SKIP_1) | instid1(VALU_DEP_2)
	v_lshlrev_b64 v[3:4], 3, v[1:2]
	v_lshlrev_b64 v[1:2], 2, v[1:2]
	v_add_co_u32 v3, vcc_lo, s6, v3
	s_delay_alu instid0(VALU_DEP_3)
	v_add_co_ci_u32_e32 v4, vcc_lo, s7, v4, vcc_lo
	global_load_b64 v[3:4], v[3:4], off
	s_waitcnt vmcnt(0)
	v_sub_co_u32 v3, vcc_lo, v3, s20
	v_subrev_co_ci_u32_e32 v4, vcc_lo, 0, v4, vcc_lo
	v_add_co_u32 v1, vcc_lo, s8, v1
	v_add_co_ci_u32_e32 v2, vcc_lo, s9, v2, vcc_lo
	s_delay_alu instid0(VALU_DEP_3)
	v_lshlrev_b64 v[3:4], 3, v[3:4]
	global_load_b32 v7, v[1:2], off
	v_add_co_u32 v1, vcc_lo, s10, v3
	v_add_co_ci_u32_e32 v2, vcc_lo, s11, v4, vcc_lo
	global_load_b64 v[1:2], v[1:2], off
	s_waitcnt vmcnt(1)
	v_fma_f32 v8, v12, v7, v14
	v_fma_f32 v7, v11, v7, v13
	s_waitcnt vmcnt(0)
	s_delay_alu instid0(VALU_DEP_2) | instskip(NEXT) | instid1(VALU_DEP_2)
	v_mul_f32_e64 v3, v2, -v8
	v_mul_f32_e32 v4, v7, v2
	s_delay_alu instid0(VALU_DEP_2) | instskip(NEXT) | instid1(VALU_DEP_2)
	v_fmac_f32_e32 v3, v7, v1
	v_dual_fmac_f32 v4, v8, v1 :: v_dual_lshlrev_b32 v1, 3, v0
	ds_store_b64 v1, v[3:4] offset:2048
.LBB165_18:
	s_or_b32 exec_lo, exec_lo, s16
	v_or_b32_e32 v1, 0x200, v0
	s_mov_b32 s16, exec_lo
	s_delay_alu instid0(VALU_DEP_1) | instskip(NEXT) | instid1(VALU_DEP_1)
	v_lshrrev_b32_e32 v1, s2, v1
	v_add_nc_u32_e32 v7, s12, v1
	s_delay_alu instid0(VALU_DEP_1)
	v_cmpx_gt_u32_e64 s13, v7
	s_cbranch_execz .LBB165_23
; %bb.19:
	v_mov_b32_e32 v8, 0
	s_mov_b32 s17, exec_lo
	s_delay_alu instid0(VALU_DEP_1) | instskip(NEXT) | instid1(VALU_DEP_1)
	v_lshlrev_b64 v[1:2], 3, v[7:8]
	v_add_co_u32 v1, vcc_lo, s14, v1
	s_delay_alu instid0(VALU_DEP_2) | instskip(SKIP_3) | instid1(VALU_DEP_1)
	v_add_co_ci_u32_e32 v2, vcc_lo, s15, v2, vcc_lo
	global_load_b64 v[1:2], v[1:2], off
	s_waitcnt vmcnt(0)
	v_lshlrev_b64 v[1:2], 3, v[1:2]
	v_add_co_u32 v1, vcc_lo, s4, v1
	s_delay_alu instid0(VALU_DEP_2) | instskip(SKIP_4) | instid1(VALU_DEP_1)
	v_add_co_ci_u32_e32 v2, vcc_lo, s5, v2, vcc_lo
	global_load_b128 v[1:4], v[1:2], off
	s_waitcnt vmcnt(0)
	v_sub_co_u32 v3, vcc_lo, v3, v1
	v_sub_co_ci_u32_e32 v4, vcc_lo, v4, v2, vcc_lo
	v_cmpx_le_i64_e64 v[3:4], v[5:6]
	s_xor_b32 s17, exec_lo, s17
	s_cbranch_execz .LBB165_21
; %bb.20:
	v_lshlrev_b32_e32 v1, 3, v0
	v_mov_b32_e32 v7, v8
	ds_store_b64 v1, v[7:8] offset:4096
                                        ; implicit-def: $vgpr1_vgpr2
.LBB165_21:
	s_and_not1_saveexec_b32 s17, s17
	s_cbranch_execz .LBB165_23
; %bb.22:
	v_sub_co_u32 v1, vcc_lo, v1, s20
	v_subrev_co_ci_u32_e32 v2, vcc_lo, 0, v2, vcc_lo
	s_delay_alu instid0(VALU_DEP_2) | instskip(NEXT) | instid1(VALU_DEP_2)
	v_add_co_u32 v1, vcc_lo, v1, v5
	v_add_co_ci_u32_e32 v2, vcc_lo, 0, v2, vcc_lo
	s_delay_alu instid0(VALU_DEP_1) | instskip(SKIP_1) | instid1(VALU_DEP_2)
	v_lshlrev_b64 v[3:4], 3, v[1:2]
	v_lshlrev_b64 v[1:2], 2, v[1:2]
	v_add_co_u32 v3, vcc_lo, s6, v3
	s_delay_alu instid0(VALU_DEP_3)
	v_add_co_ci_u32_e32 v4, vcc_lo, s7, v4, vcc_lo
	global_load_b64 v[3:4], v[3:4], off
	s_waitcnt vmcnt(0)
	v_sub_co_u32 v3, vcc_lo, v3, s20
	v_subrev_co_ci_u32_e32 v4, vcc_lo, 0, v4, vcc_lo
	v_add_co_u32 v1, vcc_lo, s8, v1
	v_add_co_ci_u32_e32 v2, vcc_lo, s9, v2, vcc_lo
	s_delay_alu instid0(VALU_DEP_3)
	v_lshlrev_b64 v[3:4], 3, v[3:4]
	global_load_b32 v7, v[1:2], off
	v_add_co_u32 v1, vcc_lo, s10, v3
	v_add_co_ci_u32_e32 v2, vcc_lo, s11, v4, vcc_lo
	global_load_b64 v[1:2], v[1:2], off
	s_waitcnt vmcnt(1)
	v_fma_f32 v8, v12, v7, v14
	v_fma_f32 v7, v11, v7, v13
	s_waitcnt vmcnt(0)
	s_delay_alu instid0(VALU_DEP_2) | instskip(NEXT) | instid1(VALU_DEP_2)
	v_mul_f32_e64 v3, v2, -v8
	v_mul_f32_e32 v4, v7, v2
	s_delay_alu instid0(VALU_DEP_2) | instskip(NEXT) | instid1(VALU_DEP_2)
	v_fmac_f32_e32 v3, v7, v1
	v_dual_fmac_f32 v4, v8, v1 :: v_dual_lshlrev_b32 v1, 3, v0
	ds_store_b64 v1, v[3:4] offset:4096
.LBB165_23:
	s_or_b32 exec_lo, exec_lo, s16
	v_or_b32_e32 v1, 0x300, v0
	s_mov_b32 s16, exec_lo
	s_delay_alu instid0(VALU_DEP_1) | instskip(NEXT) | instid1(VALU_DEP_1)
	v_lshrrev_b32_e32 v1, s2, v1
	v_add_nc_u32_e32 v7, s12, v1
	s_delay_alu instid0(VALU_DEP_1)
	v_cmpx_gt_u32_e64 s13, v7
	s_cbranch_execz .LBB165_28
; %bb.24:
	v_mov_b32_e32 v8, 0
	s_delay_alu instid0(VALU_DEP_1) | instskip(NEXT) | instid1(VALU_DEP_1)
	v_lshlrev_b64 v[1:2], 3, v[7:8]
	v_add_co_u32 v1, vcc_lo, s14, v1
	s_delay_alu instid0(VALU_DEP_2) | instskip(SKIP_3) | instid1(VALU_DEP_1)
	v_add_co_ci_u32_e32 v2, vcc_lo, s15, v2, vcc_lo
	global_load_b64 v[1:2], v[1:2], off
	s_waitcnt vmcnt(0)
	v_lshlrev_b64 v[1:2], 3, v[1:2]
	v_add_co_u32 v1, vcc_lo, s4, v1
	s_delay_alu instid0(VALU_DEP_2) | instskip(SKIP_4) | instid1(VALU_DEP_1)
	v_add_co_ci_u32_e32 v2, vcc_lo, s5, v2, vcc_lo
	global_load_b128 v[1:4], v[1:2], off
	s_waitcnt vmcnt(0)
	v_sub_co_u32 v3, vcc_lo, v3, v1
	v_sub_co_ci_u32_e32 v4, vcc_lo, v4, v2, vcc_lo
	v_cmp_le_i64_e32 vcc_lo, v[3:4], v[5:6]
	v_lshlrev_b32_e32 v3, 3, v0
	s_and_saveexec_b32 s4, vcc_lo
	s_delay_alu instid0(SALU_CYCLE_1)
	s_xor_b32 s4, exec_lo, s4
	s_cbranch_execz .LBB165_26
; %bb.25:
	v_mov_b32_e32 v7, v8
                                        ; implicit-def: $vgpr1_vgpr2
                                        ; implicit-def: $vgpr5_vgpr6
                                        ; implicit-def: $vgpr11
                                        ; implicit-def: $vgpr13
                                        ; implicit-def: $vgpr12
                                        ; implicit-def: $vgpr14
	ds_store_b64 v3, v[7:8] offset:6144
                                        ; implicit-def: $vgpr3
.LBB165_26:
	s_and_not1_saveexec_b32 s4, s4
	s_cbranch_execz .LBB165_28
; %bb.27:
	v_sub_co_u32 v1, vcc_lo, v1, s20
	v_subrev_co_ci_u32_e32 v2, vcc_lo, 0, v2, vcc_lo
	s_delay_alu instid0(VALU_DEP_2) | instskip(NEXT) | instid1(VALU_DEP_2)
	v_add_co_u32 v1, vcc_lo, v1, v5
	v_add_co_ci_u32_e32 v2, vcc_lo, 0, v2, vcc_lo
	s_delay_alu instid0(VALU_DEP_1) | instskip(SKIP_1) | instid1(VALU_DEP_2)
	v_lshlrev_b64 v[4:5], 3, v[1:2]
	v_lshlrev_b64 v[1:2], 2, v[1:2]
	v_add_co_u32 v4, vcc_lo, s6, v4
	s_delay_alu instid0(VALU_DEP_3)
	v_add_co_ci_u32_e32 v5, vcc_lo, s7, v5, vcc_lo
	global_load_b64 v[4:5], v[4:5], off
	s_waitcnt vmcnt(0)
	v_sub_co_u32 v4, vcc_lo, v4, s20
	v_subrev_co_ci_u32_e32 v5, vcc_lo, 0, v5, vcc_lo
	v_add_co_u32 v1, vcc_lo, s8, v1
	v_add_co_ci_u32_e32 v2, vcc_lo, s9, v2, vcc_lo
	s_delay_alu instid0(VALU_DEP_3)
	v_lshlrev_b64 v[4:5], 3, v[4:5]
	global_load_b32 v6, v[1:2], off
	v_add_co_u32 v1, vcc_lo, s10, v4
	v_add_co_ci_u32_e32 v2, vcc_lo, s11, v5, vcc_lo
	global_load_b64 v[1:2], v[1:2], off
	s_waitcnt vmcnt(1)
	v_fmac_f32_e32 v14, v12, v6
	v_fmac_f32_e32 v13, v11, v6
	s_waitcnt vmcnt(0)
	s_delay_alu instid0(VALU_DEP_2) | instskip(NEXT) | instid1(VALU_DEP_2)
	v_mul_f32_e64 v4, v2, -v14
	v_mul_f32_e32 v5, v13, v2
	s_delay_alu instid0(VALU_DEP_2) | instskip(NEXT) | instid1(VALU_DEP_2)
	v_fmac_f32_e32 v4, v13, v1
	v_fmac_f32_e32 v5, v14, v1
	ds_store_b64 v3, v[4:5] offset:6144
.LBB165_28:
	s_or_b32 exec_lo, exec_lo, s16
	s_cmp_lt_u32 s2, 11
	s_waitcnt lgkmcnt(0)
	s_barrier
	buffer_gl0_inv
	s_cbranch_scc0 .LBB165_37
; %bb.29:
	s_load_b64 s[4:5], s[0:1], 0x58
	s_sub_i32 s1, s13, s12
	s_mov_b32 s13, 0
	v_cmp_neq_f32_e32 vcc_lo, 0, v9
	v_cmp_neq_f32_e64 s0, 0, v10
	s_lshl_b64 s[6:7], s[12:13], 3
	v_mov_b32_e32 v2, 0
	s_add_u32 s6, s14, s6
	s_addc_u32 s7, s15, s7
	s_or_b32 s0, vcc_lo, s0
	s_branch .LBB165_32
.LBB165_30:                             ;   in Loop: Header=BB165_32 Depth=1
	s_or_b32 exec_lo, exec_lo, s9
	s_delay_alu instid0(VALU_DEP_1) | instskip(NEXT) | instid1(VALU_DEP_2)
	v_add_co_u32 v5, vcc_lo, s4, v5
	v_add_co_ci_u32_e32 v6, vcc_lo, s5, v6, vcc_lo
	global_store_b64 v[5:6], v[3:4], off
.LBB165_31:                             ;   in Loop: Header=BB165_32 Depth=1
	s_or_b32 exec_lo, exec_lo, s8
	s_addk_i32 s13, 0x100
	s_delay_alu instid0(SALU_CYCLE_1)
	s_cmp_lt_u32 s13, s3
	s_cbranch_scc0 .LBB165_37
.LBB165_32:                             ; =>This Loop Header: Depth=1
                                        ;     Child Loop BB165_34 Depth 2
	v_add_nc_u32_e32 v1, s13, v0
	s_mov_b32 s8, exec_lo
	s_delay_alu instid0(VALU_DEP_1)
	v_cmpx_gt_u32_e64 s1, v1
	s_cbranch_execz .LBB165_31
; %bb.33:                               ;   in Loop: Header=BB165_32 Depth=1
	v_lshlrev_b64 v[3:4], 3, v[1:2]
	v_lshlrev_b32_e32 v1, s2, v1
	s_mov_b32 s9, 1
	s_delay_alu instid0(VALU_DEP_2) | instskip(NEXT) | instid1(VALU_DEP_3)
	v_add_co_u32 v3, vcc_lo, s6, v3
	v_add_co_ci_u32_e32 v4, vcc_lo, s7, v4, vcc_lo
	global_load_b64 v[5:6], v[3:4], off
	v_dual_mov_b32 v4, 0 :: v_dual_lshlrev_b32 v1, 3, v1
	s_delay_alu instid0(VALU_DEP_1)
	v_mov_b32_e32 v3, v4
.LBB165_34:                             ;   Parent Loop BB165_32 Depth=1
                                        ; =>  This Inner Loop Header: Depth=2
	ds_load_b64 v[7:8], v1
	v_add_nc_u32_e32 v1, 8, v1
	s_lshr_b32 s10, s9, s2
	s_add_i32 s9, s9, 1
	s_cmp_lg_u32 s10, 0
	s_waitcnt lgkmcnt(0)
	v_dual_add_f32 v4, v4, v8 :: v_dual_add_f32 v3, v3, v7
	s_cbranch_scc0 .LBB165_34
; %bb.35:                               ;   in Loop: Header=BB165_32 Depth=1
	s_waitcnt vmcnt(0)
	v_lshlrev_b64 v[5:6], 3, v[5:6]
	s_and_saveexec_b32 s9, s0
	s_cbranch_execz .LBB165_30
; %bb.36:                               ;   in Loop: Header=BB165_32 Depth=1
	s_delay_alu instid0(VALU_DEP_1) | instskip(NEXT) | instid1(VALU_DEP_2)
	v_add_co_u32 v7, vcc_lo, s4, v5
	v_add_co_ci_u32_e32 v8, vcc_lo, s5, v6, vcc_lo
	global_load_b64 v[7:8], v[7:8], off
	s_waitcnt vmcnt(0)
	v_fmac_f32_e32 v3, v9, v7
	v_fmac_f32_e32 v4, v10, v7
	s_delay_alu instid0(VALU_DEP_2) | instskip(NEXT) | instid1(VALU_DEP_2)
	v_fma_f32 v3, -v10, v8, v3
	v_fmac_f32_e32 v4, v9, v8
	s_branch .LBB165_30
.LBB165_37:
	s_nop 0
	s_sendmsg sendmsg(MSG_DEALLOC_VGPRS)
	s_endpgm
.LBB165_38:
	v_dual_mov_b32 v1, s4 :: v_dual_mov_b32 v2, s5
	flat_load_b32 v11, v[1:2]
	v_cndmask_b32_e64 v1, 0, 1, s6
	v_mov_b32_e32 v12, s5
	s_and_not1_b32 vcc_lo, exec_lo, s6
	s_cbranch_vccnz .LBB165_2
.LBB165_39:
	v_dual_mov_b32 v2, s4 :: v_dual_mov_b32 v3, s5
	flat_load_b32 v12, v[2:3] offset:4
	v_cmp_ne_u32_e32 vcc_lo, 1, v1
	v_mov_b32_e32 v9, s2
	s_cbranch_vccnz .LBB165_3
.LBB165_40:
	v_dual_mov_b32 v2, s2 :: v_dual_mov_b32 v3, s3
	flat_load_b32 v9, v[2:3]
	v_cmp_ne_u32_e32 vcc_lo, 1, v1
	v_mov_b32_e32 v10, s3
	s_cbranch_vccz .LBB165_4
	s_branch .LBB165_5
	.section	.rodata,"a",@progbits
	.p2align	6, 0x0
	.amdhsa_kernel _ZN9rocsparseL30csrmvn_lrb_short_rows_2_kernelIllf21rocsparse_complex_numIfES2_S2_EEvbT_PT0_S5_jNS_24const_host_device_scalarIT4_EEPKS3_PKS4_PKT1_PKT2_S8_PT3_21rocsparse_index_base_b
		.amdhsa_group_segment_fixed_size 8192
		.amdhsa_private_segment_fixed_size 0
		.amdhsa_kernarg_size 104
		.amdhsa_user_sgpr_count 15
		.amdhsa_user_sgpr_dispatch_ptr 0
		.amdhsa_user_sgpr_queue_ptr 0
		.amdhsa_user_sgpr_kernarg_segment_ptr 1
		.amdhsa_user_sgpr_dispatch_id 0
		.amdhsa_user_sgpr_private_segment_size 0
		.amdhsa_wavefront_size32 1
		.amdhsa_uses_dynamic_stack 0
		.amdhsa_enable_private_segment 0
		.amdhsa_system_sgpr_workgroup_id_x 1
		.amdhsa_system_sgpr_workgroup_id_y 0
		.amdhsa_system_sgpr_workgroup_id_z 0
		.amdhsa_system_sgpr_workgroup_info 0
		.amdhsa_system_vgpr_workitem_id 0
		.amdhsa_next_free_vgpr 15
		.amdhsa_next_free_sgpr 22
		.amdhsa_reserve_vcc 1
		.amdhsa_float_round_mode_32 0
		.amdhsa_float_round_mode_16_64 0
		.amdhsa_float_denorm_mode_32 3
		.amdhsa_float_denorm_mode_16_64 3
		.amdhsa_dx10_clamp 1
		.amdhsa_ieee_mode 1
		.amdhsa_fp16_overflow 0
		.amdhsa_workgroup_processor_mode 1
		.amdhsa_memory_ordered 1
		.amdhsa_forward_progress 0
		.amdhsa_shared_vgpr_count 0
		.amdhsa_exception_fp_ieee_invalid_op 0
		.amdhsa_exception_fp_denorm_src 0
		.amdhsa_exception_fp_ieee_div_zero 0
		.amdhsa_exception_fp_ieee_overflow 0
		.amdhsa_exception_fp_ieee_underflow 0
		.amdhsa_exception_fp_ieee_inexact 0
		.amdhsa_exception_int_div_zero 0
	.end_amdhsa_kernel
	.section	.text._ZN9rocsparseL30csrmvn_lrb_short_rows_2_kernelIllf21rocsparse_complex_numIfES2_S2_EEvbT_PT0_S5_jNS_24const_host_device_scalarIT4_EEPKS3_PKS4_PKT1_PKT2_S8_PT3_21rocsparse_index_base_b,"axG",@progbits,_ZN9rocsparseL30csrmvn_lrb_short_rows_2_kernelIllf21rocsparse_complex_numIfES2_S2_EEvbT_PT0_S5_jNS_24const_host_device_scalarIT4_EEPKS3_PKS4_PKT1_PKT2_S8_PT3_21rocsparse_index_base_b,comdat
.Lfunc_end165:
	.size	_ZN9rocsparseL30csrmvn_lrb_short_rows_2_kernelIllf21rocsparse_complex_numIfES2_S2_EEvbT_PT0_S5_jNS_24const_host_device_scalarIT4_EEPKS3_PKS4_PKT1_PKT2_S8_PT3_21rocsparse_index_base_b, .Lfunc_end165-_ZN9rocsparseL30csrmvn_lrb_short_rows_2_kernelIllf21rocsparse_complex_numIfES2_S2_EEvbT_PT0_S5_jNS_24const_host_device_scalarIT4_EEPKS3_PKS4_PKT1_PKT2_S8_PT3_21rocsparse_index_base_b
                                        ; -- End function
	.section	.AMDGPU.csdata,"",@progbits
; Kernel info:
; codeLenInByte = 2300
; NumSgprs: 24
; NumVgprs: 15
; ScratchSize: 0
; MemoryBound: 0
; FloatMode: 240
; IeeeMode: 1
; LDSByteSize: 8192 bytes/workgroup (compile time only)
; SGPRBlocks: 2
; VGPRBlocks: 1
; NumSGPRsForWavesPerEU: 24
; NumVGPRsForWavesPerEU: 15
; Occupancy: 16
; WaveLimiterHint : 1
; COMPUTE_PGM_RSRC2:SCRATCH_EN: 0
; COMPUTE_PGM_RSRC2:USER_SGPR: 15
; COMPUTE_PGM_RSRC2:TRAP_HANDLER: 0
; COMPUTE_PGM_RSRC2:TGID_X_EN: 1
; COMPUTE_PGM_RSRC2:TGID_Y_EN: 0
; COMPUTE_PGM_RSRC2:TGID_Z_EN: 0
; COMPUTE_PGM_RSRC2:TIDIG_COMP_CNT: 0
	.section	.text._ZN9rocsparseL41csrmvn_lrb_medium_rows_warp_reduce_kernelILj256ELj32Ellf21rocsparse_complex_numIfES2_S2_EEvbT1_lPT2_S5_jNS_24const_host_device_scalarIT6_EEPKS3_PKS4_PKT3_PKT4_S8_PT5_21rocsparse_index_base_b,"axG",@progbits,_ZN9rocsparseL41csrmvn_lrb_medium_rows_warp_reduce_kernelILj256ELj32Ellf21rocsparse_complex_numIfES2_S2_EEvbT1_lPT2_S5_jNS_24const_host_device_scalarIT6_EEPKS3_PKS4_PKT3_PKT4_S8_PT5_21rocsparse_index_base_b,comdat
	.globl	_ZN9rocsparseL41csrmvn_lrb_medium_rows_warp_reduce_kernelILj256ELj32Ellf21rocsparse_complex_numIfES2_S2_EEvbT1_lPT2_S5_jNS_24const_host_device_scalarIT6_EEPKS3_PKS4_PKT3_PKT4_S8_PT5_21rocsparse_index_base_b ; -- Begin function _ZN9rocsparseL41csrmvn_lrb_medium_rows_warp_reduce_kernelILj256ELj32Ellf21rocsparse_complex_numIfES2_S2_EEvbT1_lPT2_S5_jNS_24const_host_device_scalarIT6_EEPKS3_PKS4_PKT3_PKT4_S8_PT5_21rocsparse_index_base_b
	.p2align	8
	.type	_ZN9rocsparseL41csrmvn_lrb_medium_rows_warp_reduce_kernelILj256ELj32Ellf21rocsparse_complex_numIfES2_S2_EEvbT1_lPT2_S5_jNS_24const_host_device_scalarIT6_EEPKS3_PKS4_PKT3_PKT4_S8_PT5_21rocsparse_index_base_b,@function
_ZN9rocsparseL41csrmvn_lrb_medium_rows_warp_reduce_kernelILj256ELj32Ellf21rocsparse_complex_numIfES2_S2_EEvbT1_lPT2_S5_jNS_24const_host_device_scalarIT6_EEPKS3_PKS4_PKT3_PKT4_S8_PT5_21rocsparse_index_base_b: ; @_ZN9rocsparseL41csrmvn_lrb_medium_rows_warp_reduce_kernelILj256ELj32Ellf21rocsparse_complex_numIfES2_S2_EEvbT1_lPT2_S5_jNS_24const_host_device_scalarIT6_EEPKS3_PKS4_PKT3_PKT4_S8_PT5_21rocsparse_index_base_b
; %bb.0:
	s_clause 0x2
	s_load_b64 s[4:5], s[0:1], 0x68
	s_load_b64 s[6:7], s[0:1], 0x30
	;; [unrolled: 1-line block ×3, first 2 shown]
	s_waitcnt lgkmcnt(0)
	s_bitcmp1_b32 s5, 0
	v_mov_b32_e32 v13, s6
	s_cselect_b32 s5, -1, 0
	s_delay_alu instid0(SALU_CYCLE_1)
	s_and_b32 vcc_lo, exec_lo, s5
	s_xor_b32 s5, s5, -1
	s_cbranch_vccz .LBB166_18
; %bb.1:
	v_cndmask_b32_e64 v1, 0, 1, s5
	v_mov_b32_e32 v14, s7
	s_and_not1_b32 vcc_lo, exec_lo, s5
	s_cbranch_vccz .LBB166_19
.LBB166_2:
	s_delay_alu instid0(VALU_DEP_2)
	v_cmp_ne_u32_e32 vcc_lo, 1, v1
	v_mov_b32_e32 v11, s2
	s_cbranch_vccz .LBB166_20
.LBB166_3:
	v_cmp_ne_u32_e32 vcc_lo, 1, v1
	v_mov_b32_e32 v12, s3
	s_cbranch_vccnz .LBB166_5
.LBB166_4:
	v_dual_mov_b32 v1, s2 :: v_dual_mov_b32 v2, s3
	flat_load_b32 v12, v[1:2] offset:4
.LBB166_5:
	s_waitcnt vmcnt(0) lgkmcnt(0)
	v_cmp_eq_f32_e32 vcc_lo, 0, v13
	v_cmp_eq_f32_e64 s2, 0, v14
	s_delay_alu instid0(VALU_DEP_1)
	s_and_b32 s5, vcc_lo, s2
	s_mov_b32 s2, -1
	s_and_saveexec_b32 s3, s5
; %bb.6:
	v_cmp_neq_f32_e32 vcc_lo, 1.0, v11
	v_cmp_neq_f32_e64 s2, 0, v12
	s_delay_alu instid0(VALU_DEP_1) | instskip(NEXT) | instid1(SALU_CYCLE_1)
	s_or_b32 s2, vcc_lo, s2
	s_or_not1_b32 s2, s2, exec_lo
; %bb.7:
	s_or_b32 exec_lo, exec_lo, s3
	s_and_saveexec_b32 s3, s2
	s_cbranch_execz .LBB166_17
; %bb.8:
	s_load_b64 s[2:3], s[0:1], 0x10
	v_lshrrev_b32_e32 v1, 5, v0
	s_delay_alu instid0(VALU_DEP_1) | instskip(NEXT) | instid1(VALU_DEP_1)
	v_lshl_or_b32 v1, s15, 3, v1
	v_ashrrev_i32_e32 v2, 31, v1
	s_waitcnt lgkmcnt(0)
	s_delay_alu instid0(VALU_DEP_1)
	v_cmp_gt_i64_e32 vcc_lo, s[2:3], v[1:2]
	s_and_b32 exec_lo, exec_lo, vcc_lo
	s_cbranch_execz .LBB166_17
; %bb.9:
	s_clause 0x1
	s_load_b32 s6, s[0:1], 0x28
	s_load_b128 s[8:11], s[0:1], 0x18
	s_mov_b32 s7, 0
	v_lshlrev_b64 v[1:2], 3, v[1:2]
	v_dual_mov_b32 v15, 0 :: v_dual_and_b32 v0, 31, v0
	v_mov_b32_e32 v16, 0
	s_delay_alu instid0(VALU_DEP_2) | instskip(NEXT) | instid1(VALU_DEP_1)
	v_sub_co_u32 v9, s5, v0, s4
	v_sub_co_ci_u32_e64 v10, null, 0, 0, s5
	s_mov_b32 s5, exec_lo
	s_waitcnt lgkmcnt(0)
	s_lshl_b64 s[2:3], s[6:7], 3
	s_delay_alu instid0(SALU_CYCLE_1) | instskip(SKIP_4) | instid1(SALU_CYCLE_1)
	s_add_u32 s2, s10, s2
	s_addc_u32 s3, s11, s3
	s_load_b64 s[2:3], s[2:3], 0x0
	s_waitcnt lgkmcnt(0)
	s_lshl_b64 s[2:3], s[2:3], 3
	s_add_u32 s2, s8, s2
	s_addc_u32 s3, s9, s3
	v_add_co_u32 v1, vcc_lo, s2, v1
	v_add_co_ci_u32_e32 v2, vcc_lo, s3, v2, vcc_lo
	s_load_b64 s[2:3], s[0:1], 0x38
	global_load_b64 v[1:2], v[1:2], off
	s_waitcnt vmcnt(0)
	v_lshlrev_b64 v[1:2], 3, v[1:2]
	s_waitcnt lgkmcnt(0)
	s_delay_alu instid0(VALU_DEP_1) | instskip(NEXT) | instid1(VALU_DEP_2)
	v_add_co_u32 v3, vcc_lo, s2, v1
	v_add_co_ci_u32_e32 v4, vcc_lo, s3, v2, vcc_lo
	s_load_b64 s[2:3], s[0:1], 0x60
	global_load_b128 v[5:8], v[3:4], off
	s_waitcnt vmcnt(0)
	v_sub_co_u32 v3, vcc_lo, v7, s4
	v_subrev_co_ci_u32_e32 v4, vcc_lo, 0, v8, vcc_lo
	v_add_co_u32 v5, vcc_lo, v5, v9
	v_add_co_ci_u32_e32 v6, vcc_lo, v6, v10, vcc_lo
	s_delay_alu instid0(VALU_DEP_1)
	v_cmpx_lt_i64_e64 v[5:6], v[3:4]
	s_cbranch_execz .LBB166_13
; %bb.10:
	s_clause 0x1
	s_load_b128 s[12:15], s[0:1], 0x40
	s_load_b64 s[8:9], s[0:1], 0x50
	v_lshlrev_b64 v[7:8], 2, v[5:6]
	v_lshlrev_b64 v[9:10], 3, v[5:6]
	v_dual_mul_f32 v17, 0x80000000, v14 :: v_dual_mul_f32 v18, 0, v13
	v_dual_mov_b32 v15, 0 :: v_dual_mov_b32 v16, 0
	s_waitcnt lgkmcnt(0)
	s_delay_alu instid0(VALU_DEP_4)
	v_add_co_u32 v7, vcc_lo, s14, v7
	v_add_co_ci_u32_e32 v8, vcc_lo, s15, v8, vcc_lo
	v_add_co_u32 v9, vcc_lo, s12, v9
	v_add_co_ci_u32_e32 v10, vcc_lo, s13, v10, vcc_lo
	s_set_inst_prefetch_distance 0x1
	.p2align	6
.LBB166_11:                             ; =>This Inner Loop Header: Depth=1
	global_load_b64 v[19:20], v[9:10], off
	global_load_b32 v21, v[7:8], off
	s_waitcnt vmcnt(1)
	v_sub_co_u32 v19, vcc_lo, v19, s4
	v_subrev_co_ci_u32_e32 v20, vcc_lo, 0, v20, vcc_lo
	s_waitcnt vmcnt(0)
	v_fma_f32 v22, v13, v21, v17
	v_fma_f32 v21, v14, v21, v18
	s_delay_alu instid0(VALU_DEP_3) | instskip(NEXT) | instid1(VALU_DEP_1)
	v_lshlrev_b64 v[19:20], 3, v[19:20]
	v_add_co_u32 v19, vcc_lo, s8, v19
	s_delay_alu instid0(VALU_DEP_2)
	v_add_co_ci_u32_e32 v20, vcc_lo, s9, v20, vcc_lo
	v_add_co_u32 v5, vcc_lo, v5, 32
	v_add_co_ci_u32_e32 v6, vcc_lo, 0, v6, vcc_lo
	global_load_b64 v[19:20], v[19:20], off
	v_add_co_u32 v7, vcc_lo, 0x80, v7
	v_add_co_ci_u32_e32 v8, vcc_lo, 0, v8, vcc_lo
	v_cmp_ge_i64_e64 s0, v[5:6], v[3:4]
	v_add_co_u32 v9, vcc_lo, 0x100, v9
	v_add_co_ci_u32_e32 v10, vcc_lo, 0, v10, vcc_lo
	s_delay_alu instid0(VALU_DEP_3) | instskip(SKIP_3) | instid1(VALU_DEP_2)
	s_or_b32 s7, s0, s7
	s_waitcnt vmcnt(0)
	v_fmac_f32_e32 v16, v22, v19
	v_fmac_f32_e32 v15, v21, v19
	v_fma_f32 v16, -v21, v20, v16
	s_delay_alu instid0(VALU_DEP_2)
	v_fmac_f32_e32 v15, v22, v20
	s_and_not1_b32 exec_lo, exec_lo, s7
	s_cbranch_execnz .LBB166_11
; %bb.12:
	s_set_inst_prefetch_distance 0x2
	s_or_b32 exec_lo, exec_lo, s7
.LBB166_13:
	s_delay_alu instid0(SALU_CYCLE_1) | instskip(SKIP_1) | instid1(VALU_DEP_1)
	s_or_b32 exec_lo, exec_lo, s5
	v_mbcnt_lo_u32_b32 v3, -1, 0
	v_xor_b32_e32 v4, 16, v3
	v_xor_b32_e32 v6, 8, v3
	;; [unrolled: 1-line block ×3, first 2 shown]
	s_delay_alu instid0(VALU_DEP_3) | instskip(SKIP_1) | instid1(VALU_DEP_4)
	v_cmp_gt_i32_e32 vcc_lo, 32, v4
	v_cndmask_b32_e32 v4, v3, v4, vcc_lo
	v_cmp_gt_i32_e32 vcc_lo, 32, v6
	s_delay_alu instid0(VALU_DEP_2)
	v_lshlrev_b32_e32 v4, 2, v4
	v_cndmask_b32_e32 v6, v3, v6, vcc_lo
	v_cmp_gt_i32_e32 vcc_lo, 32, v8
	ds_bpermute_b32 v5, v4, v16
	v_lshlrev_b32_e32 v6, 2, v6
	v_cndmask_b32_e32 v8, v3, v8, vcc_lo
	s_waitcnt lgkmcnt(0)
	s_delay_alu instid0(VALU_DEP_1)
	v_dual_add_f32 v5, v16, v5 :: v_dual_lshlrev_b32 v8, 2, v8
	ds_bpermute_b32 v7, v6, v5
	s_waitcnt lgkmcnt(0)
	v_add_f32_e32 v5, v5, v7
	ds_bpermute_b32 v4, v4, v15
	s_waitcnt lgkmcnt(0)
	v_add_f32_e32 v4, v15, v4
	;; [unrolled: 3-line block ×3, first 2 shown]
	ds_bpermute_b32 v6, v8, v5
	ds_bpermute_b32 v7, v8, v4
	v_xor_b32_e32 v8, 2, v3
	s_delay_alu instid0(VALU_DEP_1) | instskip(SKIP_2) | instid1(VALU_DEP_1)
	v_cmp_gt_i32_e32 vcc_lo, 32, v8
	s_waitcnt lgkmcnt(1)
	v_dual_cndmask_b32 v8, v3, v8 :: v_dual_add_f32 v5, v5, v6
	v_lshlrev_b32_e32 v8, 2, v8
	s_waitcnt lgkmcnt(0)
	v_add_f32_e32 v4, v4, v7
	ds_bpermute_b32 v6, v8, v5
	ds_bpermute_b32 v7, v8, v4
	v_xor_b32_e32 v8, 1, v3
	s_delay_alu instid0(VALU_DEP_1) | instskip(SKIP_3) | instid1(VALU_DEP_2)
	v_cmp_gt_i32_e32 vcc_lo, 32, v8
	v_cndmask_b32_e32 v3, v3, v8, vcc_lo
	v_cmp_eq_u32_e32 vcc_lo, 31, v0
	s_waitcnt lgkmcnt(1)
	v_dual_add_f32 v3, v5, v6 :: v_dual_lshlrev_b32 v8, 2, v3
	s_waitcnt lgkmcnt(0)
	v_add_f32_e32 v4, v4, v7
	ds_bpermute_b32 v5, v8, v3
	ds_bpermute_b32 v6, v8, v4
	s_and_b32 exec_lo, exec_lo, vcc_lo
	s_cbranch_execz .LBB166_17
; %bb.14:
	v_cmp_neq_f32_e32 vcc_lo, 0, v11
	v_cmp_neq_f32_e64 s0, 0, v12
	s_waitcnt lgkmcnt(0)
	v_dual_add_f32 v3, v3, v5 :: v_dual_add_f32 v4, v4, v6
	s_delay_alu instid0(VALU_DEP_2) | instskip(NEXT) | instid1(SALU_CYCLE_1)
	s_or_b32 s1, vcc_lo, s0
	s_and_saveexec_b32 s0, s1
	s_cbranch_execz .LBB166_16
; %bb.15:
	v_add_co_u32 v5, vcc_lo, s2, v1
	v_add_co_ci_u32_e32 v6, vcc_lo, s3, v2, vcc_lo
	global_load_b64 v[5:6], v[5:6], off
	s_waitcnt vmcnt(0)
	v_fmac_f32_e32 v3, v11, v5
	v_fmac_f32_e32 v4, v12, v5
	s_delay_alu instid0(VALU_DEP_2) | instskip(NEXT) | instid1(VALU_DEP_2)
	v_fma_f32 v3, -v12, v6, v3
	v_fmac_f32_e32 v4, v11, v6
.LBB166_16:
	s_or_b32 exec_lo, exec_lo, s0
	v_add_co_u32 v0, vcc_lo, s2, v1
	v_add_co_ci_u32_e32 v1, vcc_lo, s3, v2, vcc_lo
	global_store_b64 v[0:1], v[3:4], off
.LBB166_17:
	s_nop 0
	s_sendmsg sendmsg(MSG_DEALLOC_VGPRS)
	s_endpgm
.LBB166_18:
	v_dual_mov_b32 v1, s6 :: v_dual_mov_b32 v2, s7
	flat_load_b32 v13, v[1:2]
	v_cndmask_b32_e64 v1, 0, 1, s5
	v_mov_b32_e32 v14, s7
	s_and_not1_b32 vcc_lo, exec_lo, s5
	s_cbranch_vccnz .LBB166_2
.LBB166_19:
	v_dual_mov_b32 v2, s6 :: v_dual_mov_b32 v3, s7
	flat_load_b32 v14, v[2:3] offset:4
	v_cmp_ne_u32_e32 vcc_lo, 1, v1
	v_mov_b32_e32 v11, s2
	s_cbranch_vccnz .LBB166_3
.LBB166_20:
	v_dual_mov_b32 v2, s2 :: v_dual_mov_b32 v3, s3
	flat_load_b32 v11, v[2:3]
	v_cmp_ne_u32_e32 vcc_lo, 1, v1
	v_mov_b32_e32 v12, s3
	s_cbranch_vccz .LBB166_4
	s_branch .LBB166_5
	.section	.rodata,"a",@progbits
	.p2align	6, 0x0
	.amdhsa_kernel _ZN9rocsparseL41csrmvn_lrb_medium_rows_warp_reduce_kernelILj256ELj32Ellf21rocsparse_complex_numIfES2_S2_EEvbT1_lPT2_S5_jNS_24const_host_device_scalarIT6_EEPKS3_PKS4_PKT3_PKT4_S8_PT5_21rocsparse_index_base_b
		.amdhsa_group_segment_fixed_size 0
		.amdhsa_private_segment_fixed_size 0
		.amdhsa_kernarg_size 112
		.amdhsa_user_sgpr_count 15
		.amdhsa_user_sgpr_dispatch_ptr 0
		.amdhsa_user_sgpr_queue_ptr 0
		.amdhsa_user_sgpr_kernarg_segment_ptr 1
		.amdhsa_user_sgpr_dispatch_id 0
		.amdhsa_user_sgpr_private_segment_size 0
		.amdhsa_wavefront_size32 1
		.amdhsa_uses_dynamic_stack 0
		.amdhsa_enable_private_segment 0
		.amdhsa_system_sgpr_workgroup_id_x 1
		.amdhsa_system_sgpr_workgroup_id_y 0
		.amdhsa_system_sgpr_workgroup_id_z 0
		.amdhsa_system_sgpr_workgroup_info 0
		.amdhsa_system_vgpr_workitem_id 0
		.amdhsa_next_free_vgpr 23
		.amdhsa_next_free_sgpr 16
		.amdhsa_reserve_vcc 1
		.amdhsa_float_round_mode_32 0
		.amdhsa_float_round_mode_16_64 0
		.amdhsa_float_denorm_mode_32 3
		.amdhsa_float_denorm_mode_16_64 3
		.amdhsa_dx10_clamp 1
		.amdhsa_ieee_mode 1
		.amdhsa_fp16_overflow 0
		.amdhsa_workgroup_processor_mode 1
		.amdhsa_memory_ordered 1
		.amdhsa_forward_progress 0
		.amdhsa_shared_vgpr_count 0
		.amdhsa_exception_fp_ieee_invalid_op 0
		.amdhsa_exception_fp_denorm_src 0
		.amdhsa_exception_fp_ieee_div_zero 0
		.amdhsa_exception_fp_ieee_overflow 0
		.amdhsa_exception_fp_ieee_underflow 0
		.amdhsa_exception_fp_ieee_inexact 0
		.amdhsa_exception_int_div_zero 0
	.end_amdhsa_kernel
	.section	.text._ZN9rocsparseL41csrmvn_lrb_medium_rows_warp_reduce_kernelILj256ELj32Ellf21rocsparse_complex_numIfES2_S2_EEvbT1_lPT2_S5_jNS_24const_host_device_scalarIT6_EEPKS3_PKS4_PKT3_PKT4_S8_PT5_21rocsparse_index_base_b,"axG",@progbits,_ZN9rocsparseL41csrmvn_lrb_medium_rows_warp_reduce_kernelILj256ELj32Ellf21rocsparse_complex_numIfES2_S2_EEvbT1_lPT2_S5_jNS_24const_host_device_scalarIT6_EEPKS3_PKS4_PKT3_PKT4_S8_PT5_21rocsparse_index_base_b,comdat
.Lfunc_end166:
	.size	_ZN9rocsparseL41csrmvn_lrb_medium_rows_warp_reduce_kernelILj256ELj32Ellf21rocsparse_complex_numIfES2_S2_EEvbT1_lPT2_S5_jNS_24const_host_device_scalarIT6_EEPKS3_PKS4_PKT3_PKT4_S8_PT5_21rocsparse_index_base_b, .Lfunc_end166-_ZN9rocsparseL41csrmvn_lrb_medium_rows_warp_reduce_kernelILj256ELj32Ellf21rocsparse_complex_numIfES2_S2_EEvbT1_lPT2_S5_jNS_24const_host_device_scalarIT6_EEPKS3_PKS4_PKT3_PKT4_S8_PT5_21rocsparse_index_base_b
                                        ; -- End function
	.section	.AMDGPU.csdata,"",@progbits
; Kernel info:
; codeLenInByte = 1248
; NumSgprs: 18
; NumVgprs: 23
; ScratchSize: 0
; MemoryBound: 0
; FloatMode: 240
; IeeeMode: 1
; LDSByteSize: 0 bytes/workgroup (compile time only)
; SGPRBlocks: 2
; VGPRBlocks: 2
; NumSGPRsForWavesPerEU: 18
; NumVGPRsForWavesPerEU: 23
; Occupancy: 16
; WaveLimiterHint : 1
; COMPUTE_PGM_RSRC2:SCRATCH_EN: 0
; COMPUTE_PGM_RSRC2:USER_SGPR: 15
; COMPUTE_PGM_RSRC2:TRAP_HANDLER: 0
; COMPUTE_PGM_RSRC2:TGID_X_EN: 1
; COMPUTE_PGM_RSRC2:TGID_Y_EN: 0
; COMPUTE_PGM_RSRC2:TGID_Z_EN: 0
; COMPUTE_PGM_RSRC2:TIDIG_COMP_CNT: 0
	.section	.text._ZN9rocsparseL41csrmvn_lrb_medium_rows_warp_reduce_kernelILj256ELj64Ellf21rocsparse_complex_numIfES2_S2_EEvbT1_lPT2_S5_jNS_24const_host_device_scalarIT6_EEPKS3_PKS4_PKT3_PKT4_S8_PT5_21rocsparse_index_base_b,"axG",@progbits,_ZN9rocsparseL41csrmvn_lrb_medium_rows_warp_reduce_kernelILj256ELj64Ellf21rocsparse_complex_numIfES2_S2_EEvbT1_lPT2_S5_jNS_24const_host_device_scalarIT6_EEPKS3_PKS4_PKT3_PKT4_S8_PT5_21rocsparse_index_base_b,comdat
	.globl	_ZN9rocsparseL41csrmvn_lrb_medium_rows_warp_reduce_kernelILj256ELj64Ellf21rocsparse_complex_numIfES2_S2_EEvbT1_lPT2_S5_jNS_24const_host_device_scalarIT6_EEPKS3_PKS4_PKT3_PKT4_S8_PT5_21rocsparse_index_base_b ; -- Begin function _ZN9rocsparseL41csrmvn_lrb_medium_rows_warp_reduce_kernelILj256ELj64Ellf21rocsparse_complex_numIfES2_S2_EEvbT1_lPT2_S5_jNS_24const_host_device_scalarIT6_EEPKS3_PKS4_PKT3_PKT4_S8_PT5_21rocsparse_index_base_b
	.p2align	8
	.type	_ZN9rocsparseL41csrmvn_lrb_medium_rows_warp_reduce_kernelILj256ELj64Ellf21rocsparse_complex_numIfES2_S2_EEvbT1_lPT2_S5_jNS_24const_host_device_scalarIT6_EEPKS3_PKS4_PKT3_PKT4_S8_PT5_21rocsparse_index_base_b,@function
_ZN9rocsparseL41csrmvn_lrb_medium_rows_warp_reduce_kernelILj256ELj64Ellf21rocsparse_complex_numIfES2_S2_EEvbT1_lPT2_S5_jNS_24const_host_device_scalarIT6_EEPKS3_PKS4_PKT3_PKT4_S8_PT5_21rocsparse_index_base_b: ; @_ZN9rocsparseL41csrmvn_lrb_medium_rows_warp_reduce_kernelILj256ELj64Ellf21rocsparse_complex_numIfES2_S2_EEvbT1_lPT2_S5_jNS_24const_host_device_scalarIT6_EEPKS3_PKS4_PKT3_PKT4_S8_PT5_21rocsparse_index_base_b
; %bb.0:
	s_clause 0x2
	s_load_b64 s[4:5], s[0:1], 0x68
	s_load_b64 s[6:7], s[0:1], 0x30
	;; [unrolled: 1-line block ×3, first 2 shown]
	s_waitcnt lgkmcnt(0)
	s_bitcmp1_b32 s5, 0
	v_mov_b32_e32 v13, s6
	s_cselect_b32 s5, -1, 0
	s_delay_alu instid0(SALU_CYCLE_1)
	s_and_b32 vcc_lo, exec_lo, s5
	s_xor_b32 s5, s5, -1
	s_cbranch_vccz .LBB167_18
; %bb.1:
	v_cndmask_b32_e64 v1, 0, 1, s5
	v_mov_b32_e32 v14, s7
	s_and_not1_b32 vcc_lo, exec_lo, s5
	s_cbranch_vccz .LBB167_19
.LBB167_2:
	s_delay_alu instid0(VALU_DEP_2)
	v_cmp_ne_u32_e32 vcc_lo, 1, v1
	v_mov_b32_e32 v11, s2
	s_cbranch_vccz .LBB167_20
.LBB167_3:
	v_cmp_ne_u32_e32 vcc_lo, 1, v1
	v_mov_b32_e32 v12, s3
	s_cbranch_vccnz .LBB167_5
.LBB167_4:
	v_dual_mov_b32 v1, s2 :: v_dual_mov_b32 v2, s3
	flat_load_b32 v12, v[1:2] offset:4
.LBB167_5:
	s_waitcnt vmcnt(0) lgkmcnt(0)
	v_cmp_eq_f32_e32 vcc_lo, 0, v13
	v_cmp_eq_f32_e64 s2, 0, v14
	s_delay_alu instid0(VALU_DEP_1)
	s_and_b32 s5, vcc_lo, s2
	s_mov_b32 s2, -1
	s_and_saveexec_b32 s3, s5
; %bb.6:
	v_cmp_neq_f32_e32 vcc_lo, 1.0, v11
	v_cmp_neq_f32_e64 s2, 0, v12
	s_delay_alu instid0(VALU_DEP_1) | instskip(NEXT) | instid1(SALU_CYCLE_1)
	s_or_b32 s2, vcc_lo, s2
	s_or_not1_b32 s2, s2, exec_lo
; %bb.7:
	s_or_b32 exec_lo, exec_lo, s3
	s_and_saveexec_b32 s3, s2
	s_cbranch_execz .LBB167_17
; %bb.8:
	s_load_b64 s[2:3], s[0:1], 0x10
	v_lshrrev_b32_e32 v1, 6, v0
	s_delay_alu instid0(VALU_DEP_1) | instskip(NEXT) | instid1(VALU_DEP_1)
	v_lshl_or_b32 v1, s15, 2, v1
	v_ashrrev_i32_e32 v2, 31, v1
	s_waitcnt lgkmcnt(0)
	s_delay_alu instid0(VALU_DEP_1)
	v_cmp_gt_i64_e32 vcc_lo, s[2:3], v[1:2]
	s_and_b32 exec_lo, exec_lo, vcc_lo
	s_cbranch_execz .LBB167_17
; %bb.9:
	s_clause 0x1
	s_load_b32 s6, s[0:1], 0x28
	s_load_b128 s[8:11], s[0:1], 0x18
	s_mov_b32 s7, 0
	v_lshlrev_b64 v[1:2], 3, v[1:2]
	v_dual_mov_b32 v15, 0 :: v_dual_and_b32 v0, 63, v0
	v_mov_b32_e32 v16, 0
	s_delay_alu instid0(VALU_DEP_2) | instskip(NEXT) | instid1(VALU_DEP_1)
	v_sub_co_u32 v9, s5, v0, s4
	v_sub_co_ci_u32_e64 v10, null, 0, 0, s5
	s_mov_b32 s5, exec_lo
	s_waitcnt lgkmcnt(0)
	s_lshl_b64 s[2:3], s[6:7], 3
	s_delay_alu instid0(SALU_CYCLE_1) | instskip(SKIP_4) | instid1(SALU_CYCLE_1)
	s_add_u32 s2, s10, s2
	s_addc_u32 s3, s11, s3
	s_load_b64 s[2:3], s[2:3], 0x0
	s_waitcnt lgkmcnt(0)
	s_lshl_b64 s[2:3], s[2:3], 3
	s_add_u32 s2, s8, s2
	s_addc_u32 s3, s9, s3
	v_add_co_u32 v1, vcc_lo, s2, v1
	v_add_co_ci_u32_e32 v2, vcc_lo, s3, v2, vcc_lo
	s_load_b64 s[2:3], s[0:1], 0x38
	global_load_b64 v[1:2], v[1:2], off
	s_waitcnt vmcnt(0)
	v_lshlrev_b64 v[1:2], 3, v[1:2]
	s_waitcnt lgkmcnt(0)
	s_delay_alu instid0(VALU_DEP_1) | instskip(NEXT) | instid1(VALU_DEP_2)
	v_add_co_u32 v3, vcc_lo, s2, v1
	v_add_co_ci_u32_e32 v4, vcc_lo, s3, v2, vcc_lo
	s_load_b64 s[2:3], s[0:1], 0x60
	global_load_b128 v[5:8], v[3:4], off
	s_waitcnt vmcnt(0)
	v_sub_co_u32 v3, vcc_lo, v7, s4
	v_subrev_co_ci_u32_e32 v4, vcc_lo, 0, v8, vcc_lo
	v_add_co_u32 v5, vcc_lo, v5, v9
	v_add_co_ci_u32_e32 v6, vcc_lo, v6, v10, vcc_lo
	s_delay_alu instid0(VALU_DEP_1)
	v_cmpx_lt_i64_e64 v[5:6], v[3:4]
	s_cbranch_execz .LBB167_13
; %bb.10:
	s_clause 0x1
	s_load_b128 s[12:15], s[0:1], 0x40
	s_load_b64 s[8:9], s[0:1], 0x50
	v_lshlrev_b64 v[7:8], 2, v[5:6]
	v_lshlrev_b64 v[9:10], 3, v[5:6]
	v_dual_mul_f32 v17, 0x80000000, v14 :: v_dual_mul_f32 v18, 0, v13
	v_dual_mov_b32 v15, 0 :: v_dual_mov_b32 v16, 0
	s_waitcnt lgkmcnt(0)
	s_delay_alu instid0(VALU_DEP_4)
	v_add_co_u32 v7, vcc_lo, s14, v7
	v_add_co_ci_u32_e32 v8, vcc_lo, s15, v8, vcc_lo
	v_add_co_u32 v9, vcc_lo, s12, v9
	v_add_co_ci_u32_e32 v10, vcc_lo, s13, v10, vcc_lo
	s_set_inst_prefetch_distance 0x1
	.p2align	6
.LBB167_11:                             ; =>This Inner Loop Header: Depth=1
	global_load_b64 v[19:20], v[9:10], off
	global_load_b32 v21, v[7:8], off
	s_waitcnt vmcnt(1)
	v_sub_co_u32 v19, vcc_lo, v19, s4
	v_subrev_co_ci_u32_e32 v20, vcc_lo, 0, v20, vcc_lo
	s_waitcnt vmcnt(0)
	v_fma_f32 v22, v13, v21, v17
	v_fma_f32 v21, v14, v21, v18
	s_delay_alu instid0(VALU_DEP_3) | instskip(NEXT) | instid1(VALU_DEP_1)
	v_lshlrev_b64 v[19:20], 3, v[19:20]
	v_add_co_u32 v19, vcc_lo, s8, v19
	s_delay_alu instid0(VALU_DEP_2)
	v_add_co_ci_u32_e32 v20, vcc_lo, s9, v20, vcc_lo
	v_add_co_u32 v5, vcc_lo, v5, 64
	v_add_co_ci_u32_e32 v6, vcc_lo, 0, v6, vcc_lo
	global_load_b64 v[19:20], v[19:20], off
	v_add_co_u32 v7, vcc_lo, 0x100, v7
	v_add_co_ci_u32_e32 v8, vcc_lo, 0, v8, vcc_lo
	v_cmp_ge_i64_e64 s0, v[5:6], v[3:4]
	v_add_co_u32 v9, vcc_lo, 0x200, v9
	v_add_co_ci_u32_e32 v10, vcc_lo, 0, v10, vcc_lo
	s_delay_alu instid0(VALU_DEP_3) | instskip(SKIP_3) | instid1(VALU_DEP_2)
	s_or_b32 s7, s0, s7
	s_waitcnt vmcnt(0)
	v_fmac_f32_e32 v16, v22, v19
	v_fmac_f32_e32 v15, v21, v19
	v_fma_f32 v16, -v21, v20, v16
	s_delay_alu instid0(VALU_DEP_2)
	v_fmac_f32_e32 v15, v22, v20
	s_and_not1_b32 exec_lo, exec_lo, s7
	s_cbranch_execnz .LBB167_11
; %bb.12:
	s_set_inst_prefetch_distance 0x2
	s_or_b32 exec_lo, exec_lo, s7
.LBB167_13:
	s_delay_alu instid0(SALU_CYCLE_1) | instskip(SKIP_1) | instid1(VALU_DEP_1)
	s_or_b32 exec_lo, exec_lo, s5
	v_mbcnt_lo_u32_b32 v3, -1, 0
	v_or_b32_e32 v4, 32, v3
	v_xor_b32_e32 v6, 16, v3
	v_xor_b32_e32 v8, 8, v3
	s_delay_alu instid0(VALU_DEP_3) | instskip(SKIP_1) | instid1(VALU_DEP_4)
	v_cmp_gt_i32_e32 vcc_lo, 32, v4
	v_cndmask_b32_e32 v4, v3, v4, vcc_lo
	v_cmp_gt_i32_e32 vcc_lo, 32, v6
	s_delay_alu instid0(VALU_DEP_2)
	v_lshlrev_b32_e32 v4, 2, v4
	v_cndmask_b32_e32 v6, v3, v6, vcc_lo
	v_cmp_gt_i32_e32 vcc_lo, 32, v8
	ds_bpermute_b32 v5, v4, v16
	v_lshlrev_b32_e32 v6, 2, v6
	v_cndmask_b32_e32 v8, v3, v8, vcc_lo
	s_waitcnt lgkmcnt(0)
	s_delay_alu instid0(VALU_DEP_1)
	v_dual_add_f32 v5, v16, v5 :: v_dual_lshlrev_b32 v8, 2, v8
	ds_bpermute_b32 v7, v6, v5
	s_waitcnt lgkmcnt(0)
	v_add_f32_e32 v5, v5, v7
	ds_bpermute_b32 v4, v4, v15
	s_waitcnt lgkmcnt(0)
	v_add_f32_e32 v4, v15, v4
	;; [unrolled: 3-line block ×3, first 2 shown]
	ds_bpermute_b32 v6, v8, v5
	ds_bpermute_b32 v7, v8, v4
	v_xor_b32_e32 v8, 4, v3
	s_delay_alu instid0(VALU_DEP_1) | instskip(SKIP_2) | instid1(VALU_DEP_1)
	v_cmp_gt_i32_e32 vcc_lo, 32, v8
	s_waitcnt lgkmcnt(1)
	v_dual_cndmask_b32 v8, v3, v8 :: v_dual_add_f32 v5, v5, v6
	v_lshlrev_b32_e32 v8, 2, v8
	s_waitcnt lgkmcnt(0)
	v_add_f32_e32 v4, v4, v7
	ds_bpermute_b32 v6, v8, v5
	ds_bpermute_b32 v7, v8, v4
	v_xor_b32_e32 v8, 2, v3
	s_delay_alu instid0(VALU_DEP_1) | instskip(SKIP_2) | instid1(VALU_DEP_1)
	v_cmp_gt_i32_e32 vcc_lo, 32, v8
	v_cndmask_b32_e32 v8, v3, v8, vcc_lo
	s_waitcnt lgkmcnt(1)
	v_dual_add_f32 v5, v5, v6 :: v_dual_lshlrev_b32 v8, 2, v8
	s_waitcnt lgkmcnt(0)
	v_add_f32_e32 v4, v4, v7
	ds_bpermute_b32 v6, v8, v5
	ds_bpermute_b32 v7, v8, v4
	v_xor_b32_e32 v8, 1, v3
	s_delay_alu instid0(VALU_DEP_1) | instskip(SKIP_3) | instid1(VALU_DEP_2)
	v_cmp_gt_i32_e32 vcc_lo, 32, v8
	v_cndmask_b32_e32 v3, v3, v8, vcc_lo
	v_cmp_eq_u32_e32 vcc_lo, 63, v0
	s_waitcnt lgkmcnt(1)
	v_dual_add_f32 v3, v5, v6 :: v_dual_lshlrev_b32 v8, 2, v3
	s_waitcnt lgkmcnt(0)
	v_add_f32_e32 v4, v4, v7
	ds_bpermute_b32 v5, v8, v3
	ds_bpermute_b32 v6, v8, v4
	s_and_b32 exec_lo, exec_lo, vcc_lo
	s_cbranch_execz .LBB167_17
; %bb.14:
	v_cmp_neq_f32_e32 vcc_lo, 0, v11
	v_cmp_neq_f32_e64 s0, 0, v12
	s_waitcnt lgkmcnt(0)
	v_dual_add_f32 v3, v3, v5 :: v_dual_add_f32 v4, v4, v6
	s_delay_alu instid0(VALU_DEP_2) | instskip(NEXT) | instid1(SALU_CYCLE_1)
	s_or_b32 s1, vcc_lo, s0
	s_and_saveexec_b32 s0, s1
	s_cbranch_execz .LBB167_16
; %bb.15:
	v_add_co_u32 v5, vcc_lo, s2, v1
	v_add_co_ci_u32_e32 v6, vcc_lo, s3, v2, vcc_lo
	global_load_b64 v[5:6], v[5:6], off
	s_waitcnt vmcnt(0)
	v_fmac_f32_e32 v3, v11, v5
	v_fmac_f32_e32 v4, v12, v5
	s_delay_alu instid0(VALU_DEP_2) | instskip(NEXT) | instid1(VALU_DEP_2)
	v_fma_f32 v3, -v12, v6, v3
	v_fmac_f32_e32 v4, v11, v6
.LBB167_16:
	s_or_b32 exec_lo, exec_lo, s0
	v_add_co_u32 v0, vcc_lo, s2, v1
	v_add_co_ci_u32_e32 v1, vcc_lo, s3, v2, vcc_lo
	global_store_b64 v[0:1], v[3:4], off
.LBB167_17:
	s_nop 0
	s_sendmsg sendmsg(MSG_DEALLOC_VGPRS)
	s_endpgm
.LBB167_18:
	v_dual_mov_b32 v1, s6 :: v_dual_mov_b32 v2, s7
	flat_load_b32 v13, v[1:2]
	v_cndmask_b32_e64 v1, 0, 1, s5
	v_mov_b32_e32 v14, s7
	s_and_not1_b32 vcc_lo, exec_lo, s5
	s_cbranch_vccnz .LBB167_2
.LBB167_19:
	v_dual_mov_b32 v2, s6 :: v_dual_mov_b32 v3, s7
	flat_load_b32 v14, v[2:3] offset:4
	v_cmp_ne_u32_e32 vcc_lo, 1, v1
	v_mov_b32_e32 v11, s2
	s_cbranch_vccnz .LBB167_3
.LBB167_20:
	v_dual_mov_b32 v2, s2 :: v_dual_mov_b32 v3, s3
	flat_load_b32 v11, v[2:3]
	v_cmp_ne_u32_e32 vcc_lo, 1, v1
	v_mov_b32_e32 v12, s3
	s_cbranch_vccz .LBB167_4
	s_branch .LBB167_5
	.section	.rodata,"a",@progbits
	.p2align	6, 0x0
	.amdhsa_kernel _ZN9rocsparseL41csrmvn_lrb_medium_rows_warp_reduce_kernelILj256ELj64Ellf21rocsparse_complex_numIfES2_S2_EEvbT1_lPT2_S5_jNS_24const_host_device_scalarIT6_EEPKS3_PKS4_PKT3_PKT4_S8_PT5_21rocsparse_index_base_b
		.amdhsa_group_segment_fixed_size 0
		.amdhsa_private_segment_fixed_size 0
		.amdhsa_kernarg_size 112
		.amdhsa_user_sgpr_count 15
		.amdhsa_user_sgpr_dispatch_ptr 0
		.amdhsa_user_sgpr_queue_ptr 0
		.amdhsa_user_sgpr_kernarg_segment_ptr 1
		.amdhsa_user_sgpr_dispatch_id 0
		.amdhsa_user_sgpr_private_segment_size 0
		.amdhsa_wavefront_size32 1
		.amdhsa_uses_dynamic_stack 0
		.amdhsa_enable_private_segment 0
		.amdhsa_system_sgpr_workgroup_id_x 1
		.amdhsa_system_sgpr_workgroup_id_y 0
		.amdhsa_system_sgpr_workgroup_id_z 0
		.amdhsa_system_sgpr_workgroup_info 0
		.amdhsa_system_vgpr_workitem_id 0
		.amdhsa_next_free_vgpr 23
		.amdhsa_next_free_sgpr 16
		.amdhsa_reserve_vcc 1
		.amdhsa_float_round_mode_32 0
		.amdhsa_float_round_mode_16_64 0
		.amdhsa_float_denorm_mode_32 3
		.amdhsa_float_denorm_mode_16_64 3
		.amdhsa_dx10_clamp 1
		.amdhsa_ieee_mode 1
		.amdhsa_fp16_overflow 0
		.amdhsa_workgroup_processor_mode 1
		.amdhsa_memory_ordered 1
		.amdhsa_forward_progress 0
		.amdhsa_shared_vgpr_count 0
		.amdhsa_exception_fp_ieee_invalid_op 0
		.amdhsa_exception_fp_denorm_src 0
		.amdhsa_exception_fp_ieee_div_zero 0
		.amdhsa_exception_fp_ieee_overflow 0
		.amdhsa_exception_fp_ieee_underflow 0
		.amdhsa_exception_fp_ieee_inexact 0
		.amdhsa_exception_int_div_zero 0
	.end_amdhsa_kernel
	.section	.text._ZN9rocsparseL41csrmvn_lrb_medium_rows_warp_reduce_kernelILj256ELj64Ellf21rocsparse_complex_numIfES2_S2_EEvbT1_lPT2_S5_jNS_24const_host_device_scalarIT6_EEPKS3_PKS4_PKT3_PKT4_S8_PT5_21rocsparse_index_base_b,"axG",@progbits,_ZN9rocsparseL41csrmvn_lrb_medium_rows_warp_reduce_kernelILj256ELj64Ellf21rocsparse_complex_numIfES2_S2_EEvbT1_lPT2_S5_jNS_24const_host_device_scalarIT6_EEPKS3_PKS4_PKT3_PKT4_S8_PT5_21rocsparse_index_base_b,comdat
.Lfunc_end167:
	.size	_ZN9rocsparseL41csrmvn_lrb_medium_rows_warp_reduce_kernelILj256ELj64Ellf21rocsparse_complex_numIfES2_S2_EEvbT1_lPT2_S5_jNS_24const_host_device_scalarIT6_EEPKS3_PKS4_PKT3_PKT4_S8_PT5_21rocsparse_index_base_b, .Lfunc_end167-_ZN9rocsparseL41csrmvn_lrb_medium_rows_warp_reduce_kernelILj256ELj64Ellf21rocsparse_complex_numIfES2_S2_EEvbT1_lPT2_S5_jNS_24const_host_device_scalarIT6_EEPKS3_PKS4_PKT3_PKT4_S8_PT5_21rocsparse_index_base_b
                                        ; -- End function
	.section	.AMDGPU.csdata,"",@progbits
; Kernel info:
; codeLenInByte = 1300
; NumSgprs: 18
; NumVgprs: 23
; ScratchSize: 0
; MemoryBound: 0
; FloatMode: 240
; IeeeMode: 1
; LDSByteSize: 0 bytes/workgroup (compile time only)
; SGPRBlocks: 2
; VGPRBlocks: 2
; NumSGPRsForWavesPerEU: 18
; NumVGPRsForWavesPerEU: 23
; Occupancy: 16
; WaveLimiterHint : 1
; COMPUTE_PGM_RSRC2:SCRATCH_EN: 0
; COMPUTE_PGM_RSRC2:USER_SGPR: 15
; COMPUTE_PGM_RSRC2:TRAP_HANDLER: 0
; COMPUTE_PGM_RSRC2:TGID_X_EN: 1
; COMPUTE_PGM_RSRC2:TGID_Y_EN: 0
; COMPUTE_PGM_RSRC2:TGID_Z_EN: 0
; COMPUTE_PGM_RSRC2:TIDIG_COMP_CNT: 0
	.section	.text._ZN9rocsparseL29csrmvn_lrb_medium_rows_kernelILj256Ellf21rocsparse_complex_numIfES2_S2_EEvbT0_PT1_S5_jNS_24const_host_device_scalarIT5_EEPKS3_PKS4_PKT2_PKT3_S8_PT4_21rocsparse_index_base_b,"axG",@progbits,_ZN9rocsparseL29csrmvn_lrb_medium_rows_kernelILj256Ellf21rocsparse_complex_numIfES2_S2_EEvbT0_PT1_S5_jNS_24const_host_device_scalarIT5_EEPKS3_PKS4_PKT2_PKT3_S8_PT4_21rocsparse_index_base_b,comdat
	.globl	_ZN9rocsparseL29csrmvn_lrb_medium_rows_kernelILj256Ellf21rocsparse_complex_numIfES2_S2_EEvbT0_PT1_S5_jNS_24const_host_device_scalarIT5_EEPKS3_PKS4_PKT2_PKT3_S8_PT4_21rocsparse_index_base_b ; -- Begin function _ZN9rocsparseL29csrmvn_lrb_medium_rows_kernelILj256Ellf21rocsparse_complex_numIfES2_S2_EEvbT0_PT1_S5_jNS_24const_host_device_scalarIT5_EEPKS3_PKS4_PKT2_PKT3_S8_PT4_21rocsparse_index_base_b
	.p2align	8
	.type	_ZN9rocsparseL29csrmvn_lrb_medium_rows_kernelILj256Ellf21rocsparse_complex_numIfES2_S2_EEvbT0_PT1_S5_jNS_24const_host_device_scalarIT5_EEPKS3_PKS4_PKT2_PKT3_S8_PT4_21rocsparse_index_base_b,@function
_ZN9rocsparseL29csrmvn_lrb_medium_rows_kernelILj256Ellf21rocsparse_complex_numIfES2_S2_EEvbT0_PT1_S5_jNS_24const_host_device_scalarIT5_EEPKS3_PKS4_PKT2_PKT3_S8_PT4_21rocsparse_index_base_b: ; @_ZN9rocsparseL29csrmvn_lrb_medium_rows_kernelILj256Ellf21rocsparse_complex_numIfES2_S2_EEvbT0_PT1_S5_jNS_24const_host_device_scalarIT5_EEPKS3_PKS4_PKT2_PKT3_S8_PT4_21rocsparse_index_base_b
; %bb.0:
	s_clause 0x2
	s_load_b64 s[6:7], s[0:1], 0x60
	s_load_b64 s[8:9], s[0:1], 0x28
	;; [unrolled: 1-line block ×3, first 2 shown]
	s_mov_b32 s4, s15
	s_waitcnt lgkmcnt(0)
	s_bitcmp1_b32 s7, 0
	v_mov_b32_e32 v11, s8
	s_cselect_b32 s5, -1, 0
	s_delay_alu instid0(SALU_CYCLE_1)
	s_and_b32 vcc_lo, exec_lo, s5
	s_xor_b32 s5, s5, -1
	s_cbranch_vccz .LBB168_33
; %bb.1:
	v_cndmask_b32_e64 v1, 0, 1, s5
	v_mov_b32_e32 v12, s9
	s_and_not1_b32 vcc_lo, exec_lo, s5
	s_cbranch_vccz .LBB168_34
.LBB168_2:
	s_delay_alu instid0(VALU_DEP_2)
	v_cmp_ne_u32_e32 vcc_lo, 1, v1
	v_mov_b32_e32 v9, s2
	s_cbranch_vccz .LBB168_35
.LBB168_3:
	v_cmp_ne_u32_e32 vcc_lo, 1, v1
	v_mov_b32_e32 v10, s3
	s_cbranch_vccnz .LBB168_5
.LBB168_4:
	v_dual_mov_b32 v1, s2 :: v_dual_mov_b32 v2, s3
	flat_load_b32 v10, v[1:2] offset:4
.LBB168_5:
	s_waitcnt vmcnt(0) lgkmcnt(0)
	v_cmp_eq_f32_e32 vcc_lo, 0, v11
	v_cmp_eq_f32_e64 s2, 0, v12
	s_delay_alu instid0(VALU_DEP_1)
	s_and_b32 s5, vcc_lo, s2
	s_mov_b32 s2, -1
	s_and_saveexec_b32 s3, s5
; %bb.6:
	v_cmp_neq_f32_e32 vcc_lo, 1.0, v9
	v_cmp_neq_f32_e64 s2, 0, v10
	s_delay_alu instid0(VALU_DEP_1) | instskip(NEXT) | instid1(SALU_CYCLE_1)
	s_or_b32 s2, vcc_lo, s2
	s_or_not1_b32 s2, s2, exec_lo
; %bb.7:
	s_or_b32 exec_lo, exec_lo, s3
	s_and_saveexec_b32 s3, s2
	s_cbranch_execz .LBB168_32
; %bb.8:
	s_clause 0x1
	s_load_b32 s8, s[0:1], 0x20
	s_load_b128 s[12:15], s[0:1], 0x10
	s_mov_b32 s9, 0
	v_dual_mov_b32 v4, 0 :: v_dual_mov_b32 v3, 0
	s_waitcnt lgkmcnt(0)
	s_lshl_b64 s[2:3], s[8:9], 3
	s_delay_alu instid0(SALU_CYCLE_1)
	s_add_u32 s2, s14, s2
	s_addc_u32 s3, s15, s3
	s_ashr_i32 s5, s4, 31
	s_load_b64 s[2:3], s[2:3], 0x0
	s_waitcnt lgkmcnt(0)
	s_lshl_b64 s[2:3], s[2:3], 3
	s_delay_alu instid0(SALU_CYCLE_1) | instskip(SKIP_2) | instid1(SALU_CYCLE_1)
	s_add_u32 s7, s12, s2
	s_addc_u32 s8, s13, s3
	s_lshl_b64 s[2:3], s[4:5], 3
	s_add_u32 s2, s7, s2
	s_addc_u32 s3, s8, s3
	s_load_b64 s[2:3], s[2:3], 0x0
	s_load_b64 s[4:5], s[0:1], 0x30
	v_sub_co_u32 v1, s7, v0, s6
	s_delay_alu instid0(VALU_DEP_1) | instskip(SKIP_3) | instid1(SALU_CYCLE_1)
	v_sub_co_ci_u32_e64 v2, null, 0, 0, s7
	s_mov_b32 s7, exec_lo
	s_waitcnt lgkmcnt(0)
	s_lshl_b64 s[2:3], s[2:3], 3
	s_add_u32 s4, s4, s2
	s_addc_u32 s5, s5, s3
	s_load_b128 s[12:15], s[4:5], 0x0
	s_load_b64 s[4:5], s[0:1], 0x58
	s_waitcnt lgkmcnt(0)
	v_add_co_u32 v1, vcc_lo, s12, v1
	v_add_co_ci_u32_e32 v2, vcc_lo, s13, v2, vcc_lo
	s_sub_u32 s10, s14, s6
	s_subb_u32 s11, s15, 0
	s_delay_alu instid0(VALU_DEP_1) | instid1(SALU_CYCLE_1)
	v_cmpx_gt_i64_e64 s[10:11], v[1:2]
	s_cbranch_execz .LBB168_12
; %bb.9:
	s_clause 0x1
	s_load_b128 s[16:19], s[0:1], 0x38
	s_load_b64 s[12:13], s[0:1], 0x48
	v_lshlrev_b64 v[5:6], 2, v[1:2]
	v_lshlrev_b64 v[7:8], 3, v[1:2]
	v_dual_mov_b32 v4, 0 :: v_dual_mul_f32 v13, 0x80000000, v12
	s_delay_alu instid0(VALU_DEP_1) | instskip(SKIP_1) | instid1(VALU_DEP_4)
	v_dual_mul_f32 v14, 0, v11 :: v_dual_mov_b32 v3, v4
	s_waitcnt lgkmcnt(0)
	v_add_co_u32 v5, vcc_lo, s18, v5
	v_add_co_ci_u32_e32 v6, vcc_lo, s19, v6, vcc_lo
	v_add_co_u32 v7, vcc_lo, s16, v7
	v_add_co_ci_u32_e32 v8, vcc_lo, s17, v8, vcc_lo
	s_set_inst_prefetch_distance 0x1
	.p2align	6
.LBB168_10:                             ; =>This Inner Loop Header: Depth=1
	global_load_b64 v[15:16], v[7:8], off
	global_load_b32 v17, v[5:6], off
	s_waitcnt vmcnt(1)
	v_sub_co_u32 v15, vcc_lo, v15, s6
	v_subrev_co_ci_u32_e32 v16, vcc_lo, 0, v16, vcc_lo
	s_waitcnt vmcnt(0)
	v_fma_f32 v18, v11, v17, v13
	v_fma_f32 v17, v12, v17, v14
	s_delay_alu instid0(VALU_DEP_3) | instskip(NEXT) | instid1(VALU_DEP_1)
	v_lshlrev_b64 v[15:16], 3, v[15:16]
	v_add_co_u32 v15, vcc_lo, s12, v15
	s_delay_alu instid0(VALU_DEP_2)
	v_add_co_ci_u32_e32 v16, vcc_lo, s13, v16, vcc_lo
	v_add_co_u32 v1, vcc_lo, 0x100, v1
	v_add_co_ci_u32_e32 v2, vcc_lo, 0, v2, vcc_lo
	global_load_b64 v[15:16], v[15:16], off
	v_add_co_u32 v5, vcc_lo, 0x400, v5
	v_add_co_ci_u32_e32 v6, vcc_lo, 0, v6, vcc_lo
	v_cmp_le_i64_e64 s0, s[10:11], v[1:2]
	v_add_co_u32 v7, vcc_lo, 0x800, v7
	v_add_co_ci_u32_e32 v8, vcc_lo, 0, v8, vcc_lo
	s_delay_alu instid0(VALU_DEP_3) | instskip(SKIP_3) | instid1(VALU_DEP_2)
	s_or_b32 s9, s0, s9
	s_waitcnt vmcnt(0)
	v_fmac_f32_e32 v3, v18, v15
	v_fmac_f32_e32 v4, v17, v15
	v_fma_f32 v3, -v17, v16, v3
	s_delay_alu instid0(VALU_DEP_2)
	v_fmac_f32_e32 v4, v18, v16
	s_and_not1_b32 exec_lo, exec_lo, s9
	s_cbranch_execnz .LBB168_10
; %bb.11:
	s_set_inst_prefetch_distance 0x2
	s_or_b32 exec_lo, exec_lo, s9
.LBB168_12:
	s_delay_alu instid0(SALU_CYCLE_1)
	s_or_b32 exec_lo, exec_lo, s7
	v_lshlrev_b32_e32 v1, 3, v0
	s_mov_b32 s0, exec_lo
	ds_store_b64 v1, v[3:4]
	s_waitcnt lgkmcnt(0)
	s_barrier
	buffer_gl0_inv
	v_cmpx_gt_u32_e32 0x80, v0
	s_cbranch_execz .LBB168_14
; %bb.13:
	ds_load_2addr_stride64_b64 v[2:5], v1 offset1:2
	s_waitcnt lgkmcnt(0)
	v_dual_add_f32 v2, v4, v2 :: v_dual_add_f32 v3, v5, v3
	ds_store_b64 v1, v[2:3]
.LBB168_14:
	s_or_b32 exec_lo, exec_lo, s0
	s_delay_alu instid0(SALU_CYCLE_1)
	s_mov_b32 s0, exec_lo
	s_waitcnt lgkmcnt(0)
	s_barrier
	buffer_gl0_inv
	v_cmpx_gt_u32_e32 64, v0
	s_cbranch_execz .LBB168_16
; %bb.15:
	ds_load_2addr_stride64_b64 v[2:5], v1 offset1:1
	s_waitcnt lgkmcnt(0)
	v_dual_add_f32 v2, v4, v2 :: v_dual_add_f32 v3, v5, v3
	ds_store_b64 v1, v[2:3]
.LBB168_16:
	s_or_b32 exec_lo, exec_lo, s0
	s_delay_alu instid0(SALU_CYCLE_1)
	s_mov_b32 s0, exec_lo
	s_waitcnt lgkmcnt(0)
	s_barrier
	buffer_gl0_inv
	v_cmpx_gt_u32_e32 32, v0
	s_cbranch_execz .LBB168_18
; %bb.17:
	ds_load_2addr_b64 v[2:5], v1 offset1:32
	s_waitcnt lgkmcnt(0)
	v_dual_add_f32 v2, v4, v2 :: v_dual_add_f32 v3, v5, v3
	ds_store_b64 v1, v[2:3]
.LBB168_18:
	s_or_b32 exec_lo, exec_lo, s0
	s_delay_alu instid0(SALU_CYCLE_1)
	s_mov_b32 s0, exec_lo
	s_waitcnt lgkmcnt(0)
	s_barrier
	buffer_gl0_inv
	v_cmpx_gt_u32_e32 16, v0
	s_cbranch_execz .LBB168_20
; %bb.19:
	ds_load_2addr_b64 v[2:5], v1 offset1:16
	s_waitcnt lgkmcnt(0)
	v_dual_add_f32 v2, v4, v2 :: v_dual_add_f32 v3, v5, v3
	ds_store_b64 v1, v[2:3]
.LBB168_20:
	;; [unrolled: 14-line block ×5, first 2 shown]
	s_or_b32 exec_lo, exec_lo, s0
	v_cmp_eq_u32_e32 vcc_lo, 0, v0
	s_waitcnt lgkmcnt(0)
	s_barrier
	buffer_gl0_inv
	s_and_saveexec_b32 s0, vcc_lo
	s_cbranch_execz .LBB168_28
; %bb.27:
	v_mov_b32_e32 v4, 0
	ds_load_2addr_b64 v[0:3], v4 offset1:1
	s_waitcnt lgkmcnt(0)
	v_dual_add_f32 v1, v3, v1 :: v_dual_add_f32 v0, v2, v0
	ds_store_b64 v4, v[0:1]
.LBB168_28:
	s_or_b32 exec_lo, exec_lo, s0
	s_waitcnt lgkmcnt(0)
	s_barrier
	buffer_gl0_inv
	s_and_b32 exec_lo, exec_lo, vcc_lo
	s_cbranch_execz .LBB168_32
; %bb.29:
	v_mov_b32_e32 v2, 0
	v_cmp_neq_f32_e32 vcc_lo, 0, v9
	v_cmp_neq_f32_e64 s0, 0, v10
	ds_load_b64 v[0:1], v2
	s_or_b32 s1, vcc_lo, s0
	s_delay_alu instid0(SALU_CYCLE_1)
	s_and_saveexec_b32 s0, s1
	s_cbranch_execz .LBB168_31
; %bb.30:
	s_add_u32 s6, s4, s2
	s_addc_u32 s7, s5, s3
	s_load_b64 s[6:7], s[6:7], 0x0
	s_waitcnt lgkmcnt(0)
	v_fma_f32 v0, s6, v9, v0
	v_fmac_f32_e32 v1, s6, v10
	s_delay_alu instid0(VALU_DEP_2) | instskip(NEXT) | instid1(VALU_DEP_2)
	v_fma_f32 v0, -v10, s7, v0
	v_fmac_f32_e32 v1, s7, v9
.LBB168_31:
	s_or_b32 exec_lo, exec_lo, s0
	s_add_u32 s0, s4, s2
	s_addc_u32 s1, s5, s3
	s_waitcnt lgkmcnt(0)
	global_store_b64 v2, v[0:1], s[0:1]
.LBB168_32:
	s_nop 0
	s_sendmsg sendmsg(MSG_DEALLOC_VGPRS)
	s_endpgm
.LBB168_33:
	v_dual_mov_b32 v1, s8 :: v_dual_mov_b32 v2, s9
	flat_load_b32 v11, v[1:2]
	v_cndmask_b32_e64 v1, 0, 1, s5
	v_mov_b32_e32 v12, s9
	s_and_not1_b32 vcc_lo, exec_lo, s5
	s_cbranch_vccnz .LBB168_2
.LBB168_34:
	v_dual_mov_b32 v2, s8 :: v_dual_mov_b32 v3, s9
	flat_load_b32 v12, v[2:3] offset:4
	v_cmp_ne_u32_e32 vcc_lo, 1, v1
	v_mov_b32_e32 v9, s2
	s_cbranch_vccnz .LBB168_3
.LBB168_35:
	v_dual_mov_b32 v2, s2 :: v_dual_mov_b32 v3, s3
	flat_load_b32 v9, v[2:3]
	v_cmp_ne_u32_e32 vcc_lo, 1, v1
	v_mov_b32_e32 v10, s3
	s_cbranch_vccz .LBB168_4
	s_branch .LBB168_5
	.section	.rodata,"a",@progbits
	.p2align	6, 0x0
	.amdhsa_kernel _ZN9rocsparseL29csrmvn_lrb_medium_rows_kernelILj256Ellf21rocsparse_complex_numIfES2_S2_EEvbT0_PT1_S5_jNS_24const_host_device_scalarIT5_EEPKS3_PKS4_PKT2_PKT3_S8_PT4_21rocsparse_index_base_b
		.amdhsa_group_segment_fixed_size 2048
		.amdhsa_private_segment_fixed_size 0
		.amdhsa_kernarg_size 104
		.amdhsa_user_sgpr_count 15
		.amdhsa_user_sgpr_dispatch_ptr 0
		.amdhsa_user_sgpr_queue_ptr 0
		.amdhsa_user_sgpr_kernarg_segment_ptr 1
		.amdhsa_user_sgpr_dispatch_id 0
		.amdhsa_user_sgpr_private_segment_size 0
		.amdhsa_wavefront_size32 1
		.amdhsa_uses_dynamic_stack 0
		.amdhsa_enable_private_segment 0
		.amdhsa_system_sgpr_workgroup_id_x 1
		.amdhsa_system_sgpr_workgroup_id_y 0
		.amdhsa_system_sgpr_workgroup_id_z 0
		.amdhsa_system_sgpr_workgroup_info 0
		.amdhsa_system_vgpr_workitem_id 0
		.amdhsa_next_free_vgpr 19
		.amdhsa_next_free_sgpr 20
		.amdhsa_reserve_vcc 1
		.amdhsa_float_round_mode_32 0
		.amdhsa_float_round_mode_16_64 0
		.amdhsa_float_denorm_mode_32 3
		.amdhsa_float_denorm_mode_16_64 3
		.amdhsa_dx10_clamp 1
		.amdhsa_ieee_mode 1
		.amdhsa_fp16_overflow 0
		.amdhsa_workgroup_processor_mode 1
		.amdhsa_memory_ordered 1
		.amdhsa_forward_progress 0
		.amdhsa_shared_vgpr_count 0
		.amdhsa_exception_fp_ieee_invalid_op 0
		.amdhsa_exception_fp_denorm_src 0
		.amdhsa_exception_fp_ieee_div_zero 0
		.amdhsa_exception_fp_ieee_overflow 0
		.amdhsa_exception_fp_ieee_underflow 0
		.amdhsa_exception_fp_ieee_inexact 0
		.amdhsa_exception_int_div_zero 0
	.end_amdhsa_kernel
	.section	.text._ZN9rocsparseL29csrmvn_lrb_medium_rows_kernelILj256Ellf21rocsparse_complex_numIfES2_S2_EEvbT0_PT1_S5_jNS_24const_host_device_scalarIT5_EEPKS3_PKS4_PKT2_PKT3_S8_PT4_21rocsparse_index_base_b,"axG",@progbits,_ZN9rocsparseL29csrmvn_lrb_medium_rows_kernelILj256Ellf21rocsparse_complex_numIfES2_S2_EEvbT0_PT1_S5_jNS_24const_host_device_scalarIT5_EEPKS3_PKS4_PKT2_PKT3_S8_PT4_21rocsparse_index_base_b,comdat
.Lfunc_end168:
	.size	_ZN9rocsparseL29csrmvn_lrb_medium_rows_kernelILj256Ellf21rocsparse_complex_numIfES2_S2_EEvbT0_PT1_S5_jNS_24const_host_device_scalarIT5_EEPKS3_PKS4_PKT2_PKT3_S8_PT4_21rocsparse_index_base_b, .Lfunc_end168-_ZN9rocsparseL29csrmvn_lrb_medium_rows_kernelILj256Ellf21rocsparse_complex_numIfES2_S2_EEvbT0_PT1_S5_jNS_24const_host_device_scalarIT5_EEPKS3_PKS4_PKT2_PKT3_S8_PT4_21rocsparse_index_base_b
                                        ; -- End function
	.section	.AMDGPU.csdata,"",@progbits
; Kernel info:
; codeLenInByte = 1468
; NumSgprs: 22
; NumVgprs: 19
; ScratchSize: 0
; MemoryBound: 0
; FloatMode: 240
; IeeeMode: 1
; LDSByteSize: 2048 bytes/workgroup (compile time only)
; SGPRBlocks: 2
; VGPRBlocks: 2
; NumSGPRsForWavesPerEU: 22
; NumVGPRsForWavesPerEU: 19
; Occupancy: 16
; WaveLimiterHint : 1
; COMPUTE_PGM_RSRC2:SCRATCH_EN: 0
; COMPUTE_PGM_RSRC2:USER_SGPR: 15
; COMPUTE_PGM_RSRC2:TRAP_HANDLER: 0
; COMPUTE_PGM_RSRC2:TGID_X_EN: 1
; COMPUTE_PGM_RSRC2:TGID_Y_EN: 0
; COMPUTE_PGM_RSRC2:TGID_Z_EN: 0
; COMPUTE_PGM_RSRC2:TIDIG_COMP_CNT: 0
	.section	.text._ZN9rocsparseL27csrmvn_lrb_long_rows_kernelIllf21rocsparse_complex_numIfES2_S2_EEvbT_PjPT0_S6_jNS_24const_host_device_scalarIT4_EEPKS3_PKS5_PKT1_PKT2_S9_PT3_21rocsparse_index_base_b,"axG",@progbits,_ZN9rocsparseL27csrmvn_lrb_long_rows_kernelIllf21rocsparse_complex_numIfES2_S2_EEvbT_PjPT0_S6_jNS_24const_host_device_scalarIT4_EEPKS3_PKS5_PKT1_PKT2_S9_PT3_21rocsparse_index_base_b,comdat
	.globl	_ZN9rocsparseL27csrmvn_lrb_long_rows_kernelIllf21rocsparse_complex_numIfES2_S2_EEvbT_PjPT0_S6_jNS_24const_host_device_scalarIT4_EEPKS3_PKS5_PKT1_PKT2_S9_PT3_21rocsparse_index_base_b ; -- Begin function _ZN9rocsparseL27csrmvn_lrb_long_rows_kernelIllf21rocsparse_complex_numIfES2_S2_EEvbT_PjPT0_S6_jNS_24const_host_device_scalarIT4_EEPKS3_PKS5_PKT1_PKT2_S9_PT3_21rocsparse_index_base_b
	.p2align	8
	.type	_ZN9rocsparseL27csrmvn_lrb_long_rows_kernelIllf21rocsparse_complex_numIfES2_S2_EEvbT_PjPT0_S6_jNS_24const_host_device_scalarIT4_EEPKS3_PKS5_PKT1_PKT2_S9_PT3_21rocsparse_index_base_b,@function
_ZN9rocsparseL27csrmvn_lrb_long_rows_kernelIllf21rocsparse_complex_numIfES2_S2_EEvbT_PjPT0_S6_jNS_24const_host_device_scalarIT4_EEPKS3_PKS5_PKT1_PKT2_S9_PT3_21rocsparse_index_base_b: ; @_ZN9rocsparseL27csrmvn_lrb_long_rows_kernelIllf21rocsparse_complex_numIfES2_S2_EEvbT_PjPT0_S6_jNS_24const_host_device_scalarIT4_EEPKS3_PKS5_PKT1_PKT2_S9_PT3_21rocsparse_index_base_b
; %bb.0:
	s_clause 0x2
	s_load_b64 s[16:17], s[0:1], 0x68
	s_load_b64 s[4:5], s[0:1], 0x30
	;; [unrolled: 1-line block ×3, first 2 shown]
	s_mov_b32 s8, s15
	s_waitcnt lgkmcnt(0)
	s_bitcmp1_b32 s17, 0
	v_mov_b32_e32 v9, s4
	s_cselect_b32 s6, -1, 0
	s_delay_alu instid0(SALU_CYCLE_1)
	s_and_b32 vcc_lo, exec_lo, s6
	s_xor_b32 s6, s6, -1
	s_cbranch_vccz .LBB169_38
; %bb.1:
	v_cndmask_b32_e64 v1, 0, 1, s6
	v_mov_b32_e32 v10, s5
	s_and_not1_b32 vcc_lo, exec_lo, s6
	s_cbranch_vccz .LBB169_39
.LBB169_2:
	s_delay_alu instid0(VALU_DEP_2)
	v_cmp_ne_u32_e32 vcc_lo, 1, v1
	v_mov_b32_e32 v4, s2
	s_cbranch_vccz .LBB169_40
.LBB169_3:
	v_cmp_ne_u32_e32 vcc_lo, 1, v1
	v_mov_b32_e32 v3, s3
	s_cbranch_vccnz .LBB169_5
.LBB169_4:
	v_dual_mov_b32 v1, s2 :: v_dual_mov_b32 v2, s3
	flat_load_b32 v3, v[1:2] offset:4
.LBB169_5:
	s_waitcnt vmcnt(0) lgkmcnt(0)
	v_cmp_eq_f32_e32 vcc_lo, 0, v9
	v_cmp_eq_f32_e64 s2, 0, v10
	s_delay_alu instid0(VALU_DEP_1)
	s_and_b32 s4, vcc_lo, s2
	s_mov_b32 s2, -1
	s_and_saveexec_b32 s3, s4
; %bb.6:
	v_cmp_neq_f32_e32 vcc_lo, 1.0, v4
	v_cmp_neq_f32_e64 s2, 0, v3
	s_delay_alu instid0(VALU_DEP_1) | instskip(NEXT) | instid1(SALU_CYCLE_1)
	s_or_b32 s2, vcc_lo, s2
	s_or_not1_b32 s2, s2, exec_lo
; %bb.7:
	s_or_b32 exec_lo, exec_lo, s3
	s_and_saveexec_b32 s3, s2
	s_cbranch_execz .LBB169_48
; %bb.8:
	s_clause 0x1
	s_load_b32 s2, s[0:1], 0x28
	s_load_b64 s[4:5], s[0:1], 0x20
	s_mov_b32 s3, 0
	v_mov_b32_e32 v2, 0
	s_waitcnt lgkmcnt(0)
	s_lshl_b64 s[6:7], s[2:3], 3
	s_delay_alu instid0(SALU_CYCLE_1) | instskip(SKIP_4) | instid1(SALU_CYCLE_1)
	s_add_u32 s4, s4, s6
	s_addc_u32 s5, s5, s7
	s_lshl_b32 s2, -1, s2
	s_load_b64 s[10:11], s[4:5], 0x0
	s_not_b32 s2, s2
	s_mul_hi_u32 s2, s2, 0x2aaaaaab
	s_delay_alu instid0(SALU_CYCLE_1) | instskip(NEXT) | instid1(SALU_CYCLE_1)
	s_lshr_b32 s2, s2, 7
	s_add_i32 s9, s2, 1
	s_not_b32 s2, s2
	v_cvt_f32_u32_e32 v1, s9
	s_delay_alu instid0(VALU_DEP_1) | instskip(SKIP_2) | instid1(VALU_DEP_1)
	v_rcp_iflag_f32_e32 v1, v1
	s_waitcnt_depctr 0xfff
	v_mul_f32_e32 v1, 0x4f7ffffe, v1
	v_cvt_u32_f32_e32 v1, v1
	s_delay_alu instid0(VALU_DEP_1) | instskip(NEXT) | instid1(VALU_DEP_1)
	v_readfirstlane_b32 s6, v1
	s_mul_i32 s2, s2, s6
	s_delay_alu instid0(SALU_CYCLE_1) | instskip(NEXT) | instid1(SALU_CYCLE_1)
	s_mul_hi_u32 s2, s6, s2
	s_add_i32 s2, s6, s2
	s_load_b128 s[4:7], s[0:1], 0x10
	s_mul_hi_u32 s2, s8, s2
	s_delay_alu instid0(SALU_CYCLE_1) | instskip(SKIP_2) | instid1(SALU_CYCLE_1)
	s_mul_i32 s12, s2, s9
	s_add_i32 s13, s2, 1
	s_sub_i32 s12, s8, s12
	s_sub_i32 s14, s12, s9
	s_cmp_ge_u32 s12, s9
	s_cselect_b32 s2, s13, s2
	s_cselect_b32 s12, s14, s12
	s_add_i32 s13, s2, 1
	s_cmp_ge_u32 s12, s9
	s_cselect_b32 s2, s13, s2
	s_waitcnt lgkmcnt(0)
	s_lshl_b64 s[10:11], s[10:11], 3
	s_mul_i32 s9, s2, s9
	s_delay_alu instid0(SALU_CYCLE_1)
	s_sub_i32 s20, s8, s9
	s_add_u32 s6, s6, s10
	s_addc_u32 s7, s7, s11
	s_lshl_b64 s[2:3], s[2:3], 3
	v_or_b32_e32 v1, s20, v0
	s_add_u32 s2, s6, s2
	s_addc_u32 s3, s7, s3
	s_load_b64 s[2:3], s[2:3], 0x0
	s_load_b64 s[6:7], s[0:1], 0x38
	v_cmp_eq_u32_e32 vcc_lo, 0, v1
	v_mov_b32_e32 v1, 0
	s_waitcnt lgkmcnt(0)
	s_lshl_b64 s[2:3], s[2:3], 3
	s_delay_alu instid0(SALU_CYCLE_1)
	s_add_u32 s10, s6, s2
	s_addc_u32 s11, s7, s3
	s_ashr_i32 s9, s8, 31
	s_sub_u32 s14, s8, s20
	s_subb_u32 s15, s9, 0
	s_lshl_b64 s[8:9], s[8:9], 2
	s_load_b64 s[6:7], s[0:1], 0x60
	s_add_u32 s12, s4, s8
	s_addc_u32 s13, s5, s9
	s_load_b128 s[8:11], s[10:11], 0x0
	s_load_b32 s17, s[12:13], 0x0
	s_and_saveexec_b32 s21, vcc_lo
	s_cbranch_execz .LBB169_12
; %bb.9:
	s_waitcnt lgkmcnt(0)
	s_add_u32 s18, s6, s2
	s_addc_u32 s19, s7, s3
	v_add_f32_e32 v4, -1.0, v4
	s_load_b64 s[18:19], s[18:19], 0x0
	s_mov_b32 s22, exec_lo
	s_waitcnt lgkmcnt(0)
	v_mbcnt_lo_u32_b32 v5, s22, 0
	s_waitcnt vmcnt(0) expcnt(0) lgkmcnt(0)
	v_mul_f32_e64 v1, s19, -v3
	v_mul_f32_e32 v2, s19, v4
	s_mov_b32 s19, exec_lo
	v_cmpx_eq_u32_e32 0, v5
	s_cbranch_execz .LBB169_11
; %bb.10:
	s_lshl_b64 s[24:25], s[14:15], 2
	s_delay_alu instid0(SALU_CYCLE_1) | instskip(SKIP_2) | instid1(SALU_CYCLE_1)
	s_add_u32 s24, s4, s24
	s_addc_u32 s25, s5, s25
	s_bcnt1_i32_b32 s22, s22
	s_and_b32 s22, s22, 1
	s_delay_alu instid0(SALU_CYCLE_1)
	v_dual_mov_b32 v5, 0 :: v_dual_mov_b32 v6, s22
	global_atomic_xor_b32 v5, v6, s[24:25]
.LBB169_11:
	s_or_b32 exec_lo, exec_lo, s19
	v_dual_fmac_f32 v1, s18, v4 :: v_dual_fmac_f32 v2, s18, v3
.LBB169_12:
	s_or_b32 exec_lo, exec_lo, s21
	s_mul_i32 s19, s20, 0x300
	s_waitcnt lgkmcnt(0)
	s_sub_u32 s8, s8, s16
	s_mul_hi_u32 s18, s20, 0x300
	s_subb_u32 s9, s9, 0
	s_add_u32 s19, s8, s19
	s_addc_u32 s18, s9, s18
	s_sub_u32 s8, s10, s16
	s_subb_u32 s9, s11, 0
	s_add_u32 s10, s19, 0x300
	s_addc_u32 s11, s18, 0
	v_add_co_u32 v3, s19, s19, v0
	v_cmp_lt_i64_e64 s21, s[10:11], s[8:9]
	v_add_co_ci_u32_e64 v4, null, s18, 0, s19
	s_delay_alu instid0(VALU_DEP_2)
	s_and_b32 s18, s21, exec_lo
	s_cselect_b32 s9, s11, s9
	s_cselect_b32 s8, s10, s8
	s_mov_b32 s18, exec_lo
	v_cmpx_gt_i64_e64 s[8:9], v[3:4]
	s_cbranch_execz .LBB169_16
; %bb.13:
	s_clause 0x1
	s_load_b128 s[24:27], s[0:1], 0x40
	s_load_b64 s[10:11], s[0:1], 0x50
	v_lshlrev_b64 v[5:6], 2, v[3:4]
	v_lshlrev_b64 v[7:8], 3, v[3:4]
	v_dual_mul_f32 v11, 0x80000000, v10 :: v_dual_mul_f32 v12, 0, v9
	s_mov_b32 s1, 0
	s_waitcnt lgkmcnt(0)
	s_delay_alu instid0(VALU_DEP_3)
	v_add_co_u32 v5, vcc_lo, s26, v5
	v_add_co_ci_u32_e32 v6, vcc_lo, s27, v6, vcc_lo
	v_add_co_u32 v7, vcc_lo, s24, v7
	v_add_co_ci_u32_e32 v8, vcc_lo, s25, v8, vcc_lo
	s_set_inst_prefetch_distance 0x1
	.p2align	6
.LBB169_14:                             ; =>This Inner Loop Header: Depth=1
	global_load_b64 v[13:14], v[7:8], off
	global_load_b32 v15, v[5:6], off
	s_waitcnt vmcnt(1)
	v_sub_co_u32 v13, vcc_lo, v13, s16
	v_subrev_co_ci_u32_e32 v14, vcc_lo, 0, v14, vcc_lo
	s_waitcnt vmcnt(0)
	v_fma_f32 v16, v9, v15, v11
	v_fma_f32 v15, v10, v15, v12
	s_delay_alu instid0(VALU_DEP_3) | instskip(NEXT) | instid1(VALU_DEP_1)
	v_lshlrev_b64 v[13:14], 3, v[13:14]
	v_add_co_u32 v13, vcc_lo, s10, v13
	s_delay_alu instid0(VALU_DEP_2)
	v_add_co_ci_u32_e32 v14, vcc_lo, s11, v14, vcc_lo
	v_add_co_u32 v3, vcc_lo, 0x100, v3
	v_add_co_ci_u32_e32 v4, vcc_lo, 0, v4, vcc_lo
	global_load_b64 v[13:14], v[13:14], off
	v_add_co_u32 v5, vcc_lo, 0x400, v5
	v_add_co_ci_u32_e32 v6, vcc_lo, 0, v6, vcc_lo
	v_cmp_le_i64_e64 s0, s[8:9], v[3:4]
	v_add_co_u32 v7, vcc_lo, 0x800, v7
	v_add_co_ci_u32_e32 v8, vcc_lo, 0, v8, vcc_lo
	s_delay_alu instid0(VALU_DEP_3) | instskip(SKIP_3) | instid1(VALU_DEP_2)
	s_or_b32 s1, s0, s1
	s_waitcnt vmcnt(0)
	v_fmac_f32_e32 v1, v16, v13
	v_fmac_f32_e32 v2, v15, v13
	v_fma_f32 v1, -v15, v14, v1
	s_delay_alu instid0(VALU_DEP_2)
	v_fmac_f32_e32 v2, v16, v14
	s_and_not1_b32 exec_lo, exec_lo, s1
	s_cbranch_execnz .LBB169_14
; %bb.15:
	s_set_inst_prefetch_distance 0x2
	s_or_b32 exec_lo, exec_lo, s1
.LBB169_16:
	s_delay_alu instid0(SALU_CYCLE_1)
	s_or_b32 exec_lo, exec_lo, s18
	v_lshlrev_b32_e32 v3, 3, v0
	s_mov_b32 s0, exec_lo
	ds_store_b64 v3, v[1:2]
	s_waitcnt lgkmcnt(0)
	s_waitcnt_vscnt null, 0x0
	s_barrier
	buffer_gl0_inv
	v_cmpx_gt_u32_e32 0x80, v0
	s_cbranch_execz .LBB169_18
; %bb.17:
	ds_load_2addr_stride64_b64 v[4:7], v3 offset1:2
	s_waitcnt lgkmcnt(0)
	v_dual_add_f32 v1, v6, v4 :: v_dual_add_f32 v2, v7, v5
	ds_store_b64 v3, v[1:2]
.LBB169_18:
	s_or_b32 exec_lo, exec_lo, s0
	s_delay_alu instid0(SALU_CYCLE_1)
	s_mov_b32 s0, exec_lo
	s_waitcnt lgkmcnt(0)
	s_barrier
	buffer_gl0_inv
	v_cmpx_gt_u32_e32 64, v0
	s_cbranch_execz .LBB169_20
; %bb.19:
	ds_load_2addr_stride64_b64 v[4:7], v3 offset1:1
	s_waitcnt lgkmcnt(0)
	v_dual_add_f32 v1, v6, v4 :: v_dual_add_f32 v2, v7, v5
	ds_store_b64 v3, v[1:2]
.LBB169_20:
	s_or_b32 exec_lo, exec_lo, s0
	s_delay_alu instid0(SALU_CYCLE_1)
	s_mov_b32 s0, exec_lo
	s_waitcnt lgkmcnt(0)
	s_barrier
	buffer_gl0_inv
	v_cmpx_gt_u32_e32 32, v0
	s_cbranch_execz .LBB169_22
; %bb.21:
	ds_load_2addr_b64 v[4:7], v3 offset1:32
	s_waitcnt lgkmcnt(0)
	v_dual_add_f32 v1, v6, v4 :: v_dual_add_f32 v2, v7, v5
	ds_store_b64 v3, v[1:2]
.LBB169_22:
	s_or_b32 exec_lo, exec_lo, s0
	s_delay_alu instid0(SALU_CYCLE_1)
	s_mov_b32 s0, exec_lo
	s_waitcnt lgkmcnt(0)
	s_barrier
	buffer_gl0_inv
	v_cmpx_gt_u32_e32 16, v0
	s_cbranch_execz .LBB169_24
; %bb.23:
	ds_load_2addr_b64 v[4:7], v3 offset1:16
	s_waitcnt lgkmcnt(0)
	v_dual_add_f32 v1, v6, v4 :: v_dual_add_f32 v2, v7, v5
	ds_store_b64 v3, v[1:2]
.LBB169_24:
	;; [unrolled: 14-line block ×5, first 2 shown]
	s_or_b32 exec_lo, exec_lo, s0
	v_cmp_eq_u32_e32 vcc_lo, 0, v0
	s_waitcnt lgkmcnt(0)
	s_barrier
	buffer_gl0_inv
	s_and_saveexec_b32 s0, vcc_lo
	s_cbranch_execz .LBB169_32
; %bb.31:
	v_mov_b32_e32 v4, 0
	ds_load_2addr_b64 v[0:3], v4 offset1:1
	s_waitcnt lgkmcnt(0)
	v_dual_add_f32 v1, v3, v1 :: v_dual_add_f32 v0, v2, v0
	ds_store_b64 v4, v[0:1]
.LBB169_32:
	s_or_b32 exec_lo, exec_lo, s0
	s_waitcnt lgkmcnt(0)
	s_barrier
	buffer_gl0_inv
	s_and_b32 exec_lo, exec_lo, vcc_lo
	s_cbranch_execz .LBB169_48
; %bb.33:
	s_cmp_eq_u32 s20, 0
	s_cbranch_scc1 .LBB169_42
; %bb.34:
	s_lshl_b64 s[0:1], s[14:15], 2
	v_mov_b32_e32 v0, 0
	s_add_u32 s0, s4, s0
	s_addc_u32 s1, s5, s1
	s_branch .LBB169_36
.LBB169_35:                             ;   in Loop: Header=BB169_36 Depth=1
	s_or_b32 exec_lo, exec_lo, s4
	s_waitcnt vmcnt(0)
	v_readfirstlane_b32 s4, v1
	s_delay_alu instid0(VALU_DEP_1)
	s_cmp_eq_u32 s4, s17
	s_cbranch_scc0 .LBB169_41
.LBB169_36:                             ; =>This Inner Loop Header: Depth=1
	v_mbcnt_lo_u32_b32 v1, exec_lo, 0
	s_delay_alu instid0(VALU_DEP_1)
	v_cmp_eq_u32_e32 vcc_lo, 0, v1
                                        ; implicit-def: $vgpr1
	s_and_saveexec_b32 s4, vcc_lo
	s_cbranch_execz .LBB169_35
; %bb.37:                               ;   in Loop: Header=BB169_36 Depth=1
	global_load_b32 v1, v0, s[0:1] glc
	s_branch .LBB169_35
.LBB169_38:
	v_dual_mov_b32 v1, s4 :: v_dual_mov_b32 v2, s5
	flat_load_b32 v9, v[1:2]
	v_cndmask_b32_e64 v1, 0, 1, s6
	v_mov_b32_e32 v10, s5
	s_and_not1_b32 vcc_lo, exec_lo, s6
	s_cbranch_vccnz .LBB169_2
.LBB169_39:
	v_dual_mov_b32 v2, s4 :: v_dual_mov_b32 v3, s5
	flat_load_b32 v10, v[2:3] offset:4
	v_cmp_ne_u32_e32 vcc_lo, 1, v1
	v_mov_b32_e32 v4, s2
	s_cbranch_vccnz .LBB169_3
.LBB169_40:
	v_dual_mov_b32 v2, s2 :: v_dual_mov_b32 v3, s3
	flat_load_b32 v4, v[2:3]
	v_cmp_ne_u32_e32 vcc_lo, 1, v1
	v_mov_b32_e32 v3, s3
	s_cbranch_vccz .LBB169_4
	s_branch .LBB169_5
.LBB169_41:
	v_mov_b32_e32 v0, 0
	global_load_b32 v1, v0, s[12:13]
	s_waitcnt vmcnt(0)
	v_xor_b32_e32 v1, 1, v1
	global_store_b32 v0, v1, s[12:13]
.LBB169_42:
	v_mov_b32_e32 v4, 0
	s_mov_b32 s4, exec_lo
	s_add_u32 s0, s6, s2
	v_mbcnt_lo_u32_b32 v2, s4, 0
	s_addc_u32 s1, s7, s3
	ds_load_b64 v[0:1], v4
	s_mov_b32 s2, exec_lo
	v_cmpx_eq_u32_e32 0, v2
	s_cbranch_execz .LBB169_45
; %bb.43:
	global_load_b32 v3, v4, s[0:1]
	s_bcnt1_i32_b32 s3, s4
	s_delay_alu instid0(SALU_CYCLE_1) | instskip(SKIP_2) | instid1(VALU_DEP_1)
	v_cvt_f32_ubyte0_e32 v2, s3
	s_mov_b32 s3, 0
	s_waitcnt lgkmcnt(0)
	v_mul_f32_e32 v0, v0, v2
.LBB169_44:                             ; =>This Inner Loop Header: Depth=1
	s_waitcnt vmcnt(0)
	s_delay_alu instid0(VALU_DEP_1)
	v_add_f32_e32 v2, v3, v0
	global_atomic_cmpswap_b32 v2, v4, v[2:3], s[0:1] glc
	s_waitcnt vmcnt(0)
	v_cmp_eq_u32_e32 vcc_lo, v2, v3
	v_mov_b32_e32 v3, v2
	s_or_b32 s3, vcc_lo, s3
	s_delay_alu instid0(SALU_CYCLE_1)
	s_and_not1_b32 exec_lo, exec_lo, s3
	s_cbranch_execnz .LBB169_44
.LBB169_45:
	s_or_b32 exec_lo, exec_lo, s2
	s_delay_alu instid0(SALU_CYCLE_1) | instskip(SKIP_3) | instid1(VALU_DEP_1)
	s_mov_b32 s3, exec_lo
	s_mov_b32 s2, 0
	s_waitcnt lgkmcnt(0)
	v_mbcnt_lo_u32_b32 v0, s3, 0
	v_cmp_eq_u32_e32 vcc_lo, 0, v0
	s_and_b32 s4, exec_lo, vcc_lo
	s_delay_alu instid0(SALU_CYCLE_1)
	s_mov_b32 exec_lo, s4
	s_cbranch_execz .LBB169_48
; %bb.46:
	s_bcnt1_i32_b32 s3, s3
	s_delay_alu instid0(SALU_CYCLE_1) | instskip(NEXT) | instid1(VALU_DEP_1)
	v_cvt_f32_ubyte0_e32 v3, s3
	v_dual_mov_b32 v0, 0 :: v_dual_mul_f32 v3, v1, v3
	global_load_b32 v2, v0, s[0:1] offset:4
.LBB169_47:                             ; =>This Inner Loop Header: Depth=1
	s_waitcnt vmcnt(0)
	v_add_f32_e32 v1, v2, v3
	global_atomic_cmpswap_b32 v1, v0, v[1:2], s[0:1] offset:4 glc
	s_waitcnt vmcnt(0)
	v_cmp_eq_u32_e32 vcc_lo, v1, v2
	v_mov_b32_e32 v2, v1
	s_or_b32 s2, vcc_lo, s2
	s_delay_alu instid0(SALU_CYCLE_1)
	s_and_not1_b32 exec_lo, exec_lo, s2
	s_cbranch_execnz .LBB169_47
.LBB169_48:
	s_nop 0
	s_sendmsg sendmsg(MSG_DEALLOC_VGPRS)
	s_endpgm
	.section	.rodata,"a",@progbits
	.p2align	6, 0x0
	.amdhsa_kernel _ZN9rocsparseL27csrmvn_lrb_long_rows_kernelIllf21rocsparse_complex_numIfES2_S2_EEvbT_PjPT0_S6_jNS_24const_host_device_scalarIT4_EEPKS3_PKS5_PKT1_PKT2_S9_PT3_21rocsparse_index_base_b
		.amdhsa_group_segment_fixed_size 2048
		.amdhsa_private_segment_fixed_size 0
		.amdhsa_kernarg_size 112
		.amdhsa_user_sgpr_count 15
		.amdhsa_user_sgpr_dispatch_ptr 0
		.amdhsa_user_sgpr_queue_ptr 0
		.amdhsa_user_sgpr_kernarg_segment_ptr 1
		.amdhsa_user_sgpr_dispatch_id 0
		.amdhsa_user_sgpr_private_segment_size 0
		.amdhsa_wavefront_size32 1
		.amdhsa_uses_dynamic_stack 0
		.amdhsa_enable_private_segment 0
		.amdhsa_system_sgpr_workgroup_id_x 1
		.amdhsa_system_sgpr_workgroup_id_y 0
		.amdhsa_system_sgpr_workgroup_id_z 0
		.amdhsa_system_sgpr_workgroup_info 0
		.amdhsa_system_vgpr_workitem_id 0
		.amdhsa_next_free_vgpr 17
		.amdhsa_next_free_sgpr 28
		.amdhsa_reserve_vcc 1
		.amdhsa_float_round_mode_32 0
		.amdhsa_float_round_mode_16_64 0
		.amdhsa_float_denorm_mode_32 3
		.amdhsa_float_denorm_mode_16_64 3
		.amdhsa_dx10_clamp 1
		.amdhsa_ieee_mode 1
		.amdhsa_fp16_overflow 0
		.amdhsa_workgroup_processor_mode 1
		.amdhsa_memory_ordered 1
		.amdhsa_forward_progress 0
		.amdhsa_shared_vgpr_count 0
		.amdhsa_exception_fp_ieee_invalid_op 0
		.amdhsa_exception_fp_denorm_src 0
		.amdhsa_exception_fp_ieee_div_zero 0
		.amdhsa_exception_fp_ieee_overflow 0
		.amdhsa_exception_fp_ieee_underflow 0
		.amdhsa_exception_fp_ieee_inexact 0
		.amdhsa_exception_int_div_zero 0
	.end_amdhsa_kernel
	.section	.text._ZN9rocsparseL27csrmvn_lrb_long_rows_kernelIllf21rocsparse_complex_numIfES2_S2_EEvbT_PjPT0_S6_jNS_24const_host_device_scalarIT4_EEPKS3_PKS5_PKT1_PKT2_S9_PT3_21rocsparse_index_base_b,"axG",@progbits,_ZN9rocsparseL27csrmvn_lrb_long_rows_kernelIllf21rocsparse_complex_numIfES2_S2_EEvbT_PjPT0_S6_jNS_24const_host_device_scalarIT4_EEPKS3_PKS5_PKT1_PKT2_S9_PT3_21rocsparse_index_base_b,comdat
.Lfunc_end169:
	.size	_ZN9rocsparseL27csrmvn_lrb_long_rows_kernelIllf21rocsparse_complex_numIfES2_S2_EEvbT_PjPT0_S6_jNS_24const_host_device_scalarIT4_EEPKS3_PKS5_PKT1_PKT2_S9_PT3_21rocsparse_index_base_b, .Lfunc_end169-_ZN9rocsparseL27csrmvn_lrb_long_rows_kernelIllf21rocsparse_complex_numIfES2_S2_EEvbT_PjPT0_S6_jNS_24const_host_device_scalarIT4_EEPKS3_PKS5_PKT1_PKT2_S9_PT3_21rocsparse_index_base_b
                                        ; -- End function
	.section	.AMDGPU.csdata,"",@progbits
; Kernel info:
; codeLenInByte = 2088
; NumSgprs: 30
; NumVgprs: 17
; ScratchSize: 0
; MemoryBound: 0
; FloatMode: 240
; IeeeMode: 1
; LDSByteSize: 2048 bytes/workgroup (compile time only)
; SGPRBlocks: 3
; VGPRBlocks: 2
; NumSGPRsForWavesPerEU: 30
; NumVGPRsForWavesPerEU: 17
; Occupancy: 16
; WaveLimiterHint : 1
; COMPUTE_PGM_RSRC2:SCRATCH_EN: 0
; COMPUTE_PGM_RSRC2:USER_SGPR: 15
; COMPUTE_PGM_RSRC2:TRAP_HANDLER: 0
; COMPUTE_PGM_RSRC2:TGID_X_EN: 1
; COMPUTE_PGM_RSRC2:TGID_Y_EN: 0
; COMPUTE_PGM_RSRC2:TGID_Z_EN: 0
; COMPUTE_PGM_RSRC2:TIDIG_COMP_CNT: 0
	.section	.text._ZN9rocsparseL28csrmvn_lrb_short_rows_kernelIiifdddEEvbT_PT0_S3_jNS_24const_host_device_scalarIT4_EEPKS1_PKS2_PKT1_PKT2_S6_PT3_21rocsparse_index_base_b,"axG",@progbits,_ZN9rocsparseL28csrmvn_lrb_short_rows_kernelIiifdddEEvbT_PT0_S3_jNS_24const_host_device_scalarIT4_EEPKS1_PKS2_PKT1_PKT2_S6_PT3_21rocsparse_index_base_b,comdat
	.globl	_ZN9rocsparseL28csrmvn_lrb_short_rows_kernelIiifdddEEvbT_PT0_S3_jNS_24const_host_device_scalarIT4_EEPKS1_PKS2_PKT1_PKT2_S6_PT3_21rocsparse_index_base_b ; -- Begin function _ZN9rocsparseL28csrmvn_lrb_short_rows_kernelIiifdddEEvbT_PT0_S3_jNS_24const_host_device_scalarIT4_EEPKS1_PKS2_PKT1_PKT2_S6_PT3_21rocsparse_index_base_b
	.p2align	8
	.type	_ZN9rocsparseL28csrmvn_lrb_short_rows_kernelIiifdddEEvbT_PT0_S3_jNS_24const_host_device_scalarIT4_EEPKS1_PKS2_PKT1_PKT2_S6_PT3_21rocsparse_index_base_b,@function
_ZN9rocsparseL28csrmvn_lrb_short_rows_kernelIiifdddEEvbT_PT0_S3_jNS_24const_host_device_scalarIT4_EEPKS1_PKS2_PKT1_PKT2_S6_PT3_21rocsparse_index_base_b: ; @_ZN9rocsparseL28csrmvn_lrb_short_rows_kernelIiifdddEEvbT_PT0_S3_jNS_24const_host_device_scalarIT4_EEPKS1_PKS2_PKT1_PKT2_S6_PT3_21rocsparse_index_base_b
; %bb.0:
	s_clause 0x2
	s_load_b64 s[12:13], s[0:1], 0x58
	s_load_b64 s[4:5], s[0:1], 0x20
	;; [unrolled: 1-line block ×3, first 2 shown]
	s_waitcnt lgkmcnt(0)
	s_bitcmp1_b32 s13, 0
	v_dual_mov_b32 v3, s4 :: v_dual_mov_b32 v4, s5
	s_cselect_b32 s6, -1, 0
	s_delay_alu instid0(SALU_CYCLE_1)
	s_and_b32 vcc_lo, exec_lo, s6
	s_xor_b32 s6, s6, -1
	s_cbranch_vccnz .LBB170_2
; %bb.1:
	v_dual_mov_b32 v1, s4 :: v_dual_mov_b32 v2, s5
	flat_load_b64 v[3:4], v[1:2]
.LBB170_2:
	v_dual_mov_b32 v1, s2 :: v_dual_mov_b32 v2, s3
	s_and_not1_b32 vcc_lo, exec_lo, s6
	s_cbranch_vccnz .LBB170_4
; %bb.3:
	v_dual_mov_b32 v1, s2 :: v_dual_mov_b32 v2, s3
	flat_load_b64 v[1:2], v[1:2]
.LBB170_4:
	s_waitcnt vmcnt(0) lgkmcnt(0)
	v_cmp_neq_f64_e32 vcc_lo, 0, v[3:4]
	v_cmp_neq_f64_e64 s2, 1.0, v[1:2]
	s_delay_alu instid0(VALU_DEP_1) | instskip(NEXT) | instid1(SALU_CYCLE_1)
	s_or_b32 s2, vcc_lo, s2
	s_and_saveexec_b32 s3, s2
	s_cbranch_execz .LBB170_18
; %bb.5:
	s_clause 0x1
	s_load_b32 s2, s[0:1], 0x18
	s_load_b128 s[16:19], s[0:1], 0x8
	s_mov_b32 s3, 0
	s_delay_alu instid0(SALU_CYCLE_1) | instskip(SKIP_2) | instid1(SALU_CYCLE_1)
	s_mov_b32 s7, s3
	s_waitcnt lgkmcnt(0)
	s_lshl_b64 s[4:5], s[2:3], 2
	s_add_u32 s4, s18, s4
	s_addc_u32 s5, s19, s5
	s_add_i32 s6, s2, 1
	s_delay_alu instid0(SALU_CYCLE_1) | instskip(NEXT) | instid1(SALU_CYCLE_1)
	s_lshl_b64 s[6:7], s[6:7], 2
	s_add_u32 s6, s18, s6
	s_addc_u32 s7, s19, s7
	s_clause 0x1
	s_load_b32 s13, s[4:5], 0x0
	s_load_b32 s4, s[6:7], 0x0
	s_lshl_b32 s14, s15, 8
	s_delay_alu instid0(SALU_CYCLE_1) | instskip(SKIP_2) | instid1(SALU_CYCLE_1)
	s_add_i32 s5, s14, 0x100
	s_waitcnt lgkmcnt(0)
	s_sub_i32 s4, s4, s13
	s_min_u32 s15, s4, s5
	s_cmp_gt_u32 s2, 23
	s_cbranch_scc1 .LBB170_12
; %bb.6:
	s_load_b256 s[4:11], s[0:1], 0x28
	v_bfe_u32 v11, v0, 0, s2
	v_lshl_add_u32 v13, v0, 3, 0
	v_mov_b32_e32 v6, 0
	s_lshl_b32 s18, 0x100, s2
	s_delay_alu instid0(VALU_DEP_3)
	v_subrev_nc_u32_e32 v12, s12, v11
	s_branch .LBB170_9
.LBB170_7:                              ;   in Loop: Header=BB170_9 Depth=1
	s_or_b32 exec_lo, exec_lo, s20
	ds_store_b64 v13, v[7:8]
.LBB170_8:                              ;   in Loop: Header=BB170_9 Depth=1
	s_or_b32 exec_lo, exec_lo, s19
	v_add_nc_u32_e32 v13, 0x800, v13
	s_addk_i32 s3, 0x100
	s_delay_alu instid0(SALU_CYCLE_1)
	s_cmp_ge_u32 s3, s18
	s_cbranch_scc1 .LBB170_12
.LBB170_9:                              ; =>This Inner Loop Header: Depth=1
	v_add_nc_u32_e32 v5, s3, v0
	s_mov_b32 s19, exec_lo
	s_delay_alu instid0(VALU_DEP_1) | instskip(NEXT) | instid1(VALU_DEP_1)
	v_lshrrev_b32_e32 v5, s2, v5
	v_add_nc_u32_e32 v5, s14, v5
	s_delay_alu instid0(VALU_DEP_1)
	v_cmpx_gt_u32_e64 s15, v5
	s_cbranch_execz .LBB170_8
; %bb.10:                               ;   in Loop: Header=BB170_9 Depth=1
	v_add_nc_u32_e32 v5, s13, v5
	s_mov_b32 s20, exec_lo
	s_delay_alu instid0(VALU_DEP_1) | instskip(NEXT) | instid1(VALU_DEP_1)
	v_lshlrev_b64 v[7:8], 2, v[5:6]
	v_add_co_u32 v7, vcc_lo, s16, v7
	s_delay_alu instid0(VALU_DEP_2) | instskip(SKIP_3) | instid1(VALU_DEP_1)
	v_add_co_ci_u32_e32 v8, vcc_lo, s17, v8, vcc_lo
	global_load_b32 v7, v[7:8], off
	s_waitcnt vmcnt(0)
	v_ashrrev_i32_e32 v8, 31, v7
	v_lshlrev_b64 v[7:8], 2, v[7:8]
	s_waitcnt lgkmcnt(0)
	s_delay_alu instid0(VALU_DEP_1) | instskip(NEXT) | instid1(VALU_DEP_2)
	v_add_co_u32 v7, vcc_lo, s4, v7
	v_add_co_ci_u32_e32 v8, vcc_lo, s5, v8, vcc_lo
	global_load_b64 v[9:10], v[7:8], off
	v_mov_b32_e32 v7, 0
	v_mov_b32_e32 v8, 0
	s_waitcnt vmcnt(0)
	v_sub_nc_u32_e32 v5, v10, v9
	s_delay_alu instid0(VALU_DEP_1)
	v_cmpx_lt_u32_e64 v11, v5
	s_cbranch_execz .LBB170_7
; %bb.11:                               ;   in Loop: Header=BB170_9 Depth=1
	v_add_nc_u32_e32 v5, v12, v9
	s_delay_alu instid0(VALU_DEP_1) | instskip(NEXT) | instid1(VALU_DEP_1)
	v_lshlrev_b64 v[7:8], 2, v[5:6]
	v_add_co_u32 v9, vcc_lo, s6, v7
	s_delay_alu instid0(VALU_DEP_2)
	v_add_co_ci_u32_e32 v10, vcc_lo, s7, v8, vcc_lo
	v_add_co_u32 v7, vcc_lo, s8, v7
	v_add_co_ci_u32_e32 v8, vcc_lo, s9, v8, vcc_lo
	global_load_b32 v5, v[9:10], off
	global_load_b32 v9, v[7:8], off
	s_waitcnt vmcnt(1)
	v_subrev_nc_u32_e32 v7, s12, v5
	s_waitcnt vmcnt(0)
	v_cvt_f64_f32_e32 v[9:10], v9
	s_delay_alu instid0(VALU_DEP_2) | instskip(NEXT) | instid1(VALU_DEP_1)
	v_ashrrev_i32_e32 v8, 31, v7
	v_lshlrev_b64 v[7:8], 3, v[7:8]
	s_delay_alu instid0(VALU_DEP_1) | instskip(NEXT) | instid1(VALU_DEP_2)
	v_add_co_u32 v7, vcc_lo, s10, v7
	v_add_co_ci_u32_e32 v8, vcc_lo, s11, v8, vcc_lo
	global_load_b64 v[7:8], v[7:8], off
	v_mul_f64 v[9:10], v[3:4], v[9:10]
	s_waitcnt vmcnt(0)
	s_delay_alu instid0(VALU_DEP_1)
	v_mul_f64 v[7:8], v[9:10], v[7:8]
	s_branch .LBB170_7
.LBB170_12:
	s_sub_i32 s3, s15, s14
	s_waitcnt lgkmcnt(0)
	v_cmp_gt_u32_e32 vcc_lo, s3, v0
	s_barrier
	buffer_gl0_inv
	s_and_b32 exec_lo, exec_lo, vcc_lo
	s_cbranch_execz .LBB170_18
; %bb.13:
	v_add3_u32 v3, s13, s14, v0
	v_mov_b32_e32 v4, 0
	s_load_b64 s[0:1], s[0:1], 0x50
	v_lshlrev_b32_e32 v0, s2, v0
	s_mov_b32 s3, 1
	s_delay_alu instid0(VALU_DEP_2) | instskip(NEXT) | instid1(VALU_DEP_1)
	v_lshlrev_b64 v[3:4], 2, v[3:4]
	v_add_co_u32 v3, vcc_lo, s16, v3
	s_delay_alu instid0(VALU_DEP_2)
	v_add_co_ci_u32_e32 v4, vcc_lo, s17, v4, vcc_lo
	global_load_b32 v5, v[3:4], off
	v_mov_b32_e32 v3, 0
	v_mov_b32_e32 v4, 0
	v_lshl_add_u32 v0, v0, 3, 0
.LBB170_14:                             ; =>This Inner Loop Header: Depth=1
	ds_load_b64 v[6:7], v0
	v_add_nc_u32_e32 v0, 8, v0
	s_lshr_b32 s4, s3, s2
	s_add_i32 s3, s3, 1
	s_cmp_lg_u32 s4, 0
	s_waitcnt lgkmcnt(0)
	v_add_f64 v[3:4], v[3:4], v[6:7]
	s_cbranch_scc0 .LBB170_14
; %bb.15:
	s_waitcnt vmcnt(0)
	v_ashrrev_i32_e32 v6, 31, v5
	s_mov_b32 s2, exec_lo
	s_delay_alu instid0(VALU_DEP_1)
	v_lshlrev_b64 v[5:6], 3, v[5:6]
	v_cmpx_neq_f64_e32 0, v[1:2]
	s_cbranch_execz .LBB170_17
; %bb.16:
	s_delay_alu instid0(VALU_DEP_2) | instskip(NEXT) | instid1(VALU_DEP_3)
	v_add_co_u32 v7, vcc_lo, s0, v5
	v_add_co_ci_u32_e32 v8, vcc_lo, s1, v6, vcc_lo
	global_load_b64 v[7:8], v[7:8], off
	s_waitcnt vmcnt(0)
	v_fma_f64 v[3:4], v[1:2], v[7:8], v[3:4]
.LBB170_17:
	s_or_b32 exec_lo, exec_lo, s2
	s_delay_alu instid0(VALU_DEP_2) | instskip(NEXT) | instid1(VALU_DEP_3)
	v_add_co_u32 v0, vcc_lo, s0, v5
	v_add_co_ci_u32_e32 v1, vcc_lo, s1, v6, vcc_lo
	global_store_b64 v[0:1], v[3:4], off
.LBB170_18:
	s_nop 0
	s_sendmsg sendmsg(MSG_DEALLOC_VGPRS)
	s_endpgm
	.section	.rodata,"a",@progbits
	.p2align	6, 0x0
	.amdhsa_kernel _ZN9rocsparseL28csrmvn_lrb_short_rows_kernelIiifdddEEvbT_PT0_S3_jNS_24const_host_device_scalarIT4_EEPKS1_PKS2_PKT1_PKT2_S6_PT3_21rocsparse_index_base_b
		.amdhsa_group_segment_fixed_size 0
		.amdhsa_private_segment_fixed_size 0
		.amdhsa_kernarg_size 96
		.amdhsa_user_sgpr_count 15
		.amdhsa_user_sgpr_dispatch_ptr 0
		.amdhsa_user_sgpr_queue_ptr 0
		.amdhsa_user_sgpr_kernarg_segment_ptr 1
		.amdhsa_user_sgpr_dispatch_id 0
		.amdhsa_user_sgpr_private_segment_size 0
		.amdhsa_wavefront_size32 1
		.amdhsa_uses_dynamic_stack 0
		.amdhsa_enable_private_segment 0
		.amdhsa_system_sgpr_workgroup_id_x 1
		.amdhsa_system_sgpr_workgroup_id_y 0
		.amdhsa_system_sgpr_workgroup_id_z 0
		.amdhsa_system_sgpr_workgroup_info 0
		.amdhsa_system_vgpr_workitem_id 0
		.amdhsa_next_free_vgpr 14
		.amdhsa_next_free_sgpr 21
		.amdhsa_reserve_vcc 1
		.amdhsa_float_round_mode_32 0
		.amdhsa_float_round_mode_16_64 0
		.amdhsa_float_denorm_mode_32 3
		.amdhsa_float_denorm_mode_16_64 3
		.amdhsa_dx10_clamp 1
		.amdhsa_ieee_mode 1
		.amdhsa_fp16_overflow 0
		.amdhsa_workgroup_processor_mode 1
		.amdhsa_memory_ordered 1
		.amdhsa_forward_progress 0
		.amdhsa_shared_vgpr_count 0
		.amdhsa_exception_fp_ieee_invalid_op 0
		.amdhsa_exception_fp_denorm_src 0
		.amdhsa_exception_fp_ieee_div_zero 0
		.amdhsa_exception_fp_ieee_overflow 0
		.amdhsa_exception_fp_ieee_underflow 0
		.amdhsa_exception_fp_ieee_inexact 0
		.amdhsa_exception_int_div_zero 0
	.end_amdhsa_kernel
	.section	.text._ZN9rocsparseL28csrmvn_lrb_short_rows_kernelIiifdddEEvbT_PT0_S3_jNS_24const_host_device_scalarIT4_EEPKS1_PKS2_PKT1_PKT2_S6_PT3_21rocsparse_index_base_b,"axG",@progbits,_ZN9rocsparseL28csrmvn_lrb_short_rows_kernelIiifdddEEvbT_PT0_S3_jNS_24const_host_device_scalarIT4_EEPKS1_PKS2_PKT1_PKT2_S6_PT3_21rocsparse_index_base_b,comdat
.Lfunc_end170:
	.size	_ZN9rocsparseL28csrmvn_lrb_short_rows_kernelIiifdddEEvbT_PT0_S3_jNS_24const_host_device_scalarIT4_EEPKS1_PKS2_PKT1_PKT2_S6_PT3_21rocsparse_index_base_b, .Lfunc_end170-_ZN9rocsparseL28csrmvn_lrb_short_rows_kernelIiifdddEEvbT_PT0_S3_jNS_24const_host_device_scalarIT4_EEPKS1_PKS2_PKT1_PKT2_S6_PT3_21rocsparse_index_base_b
                                        ; -- End function
	.section	.AMDGPU.csdata,"",@progbits
; Kernel info:
; codeLenInByte = 916
; NumSgprs: 23
; NumVgprs: 14
; ScratchSize: 0
; MemoryBound: 0
; FloatMode: 240
; IeeeMode: 1
; LDSByteSize: 0 bytes/workgroup (compile time only)
; SGPRBlocks: 2
; VGPRBlocks: 1
; NumSGPRsForWavesPerEU: 23
; NumVGPRsForWavesPerEU: 14
; Occupancy: 16
; WaveLimiterHint : 1
; COMPUTE_PGM_RSRC2:SCRATCH_EN: 0
; COMPUTE_PGM_RSRC2:USER_SGPR: 15
; COMPUTE_PGM_RSRC2:TRAP_HANDLER: 0
; COMPUTE_PGM_RSRC2:TGID_X_EN: 1
; COMPUTE_PGM_RSRC2:TGID_Y_EN: 0
; COMPUTE_PGM_RSRC2:TGID_Z_EN: 0
; COMPUTE_PGM_RSRC2:TIDIG_COMP_CNT: 0
	.section	.text._ZN9rocsparseL30csrmvn_lrb_short_rows_2_kernelIiifdddEEvbT_PT0_S3_jNS_24const_host_device_scalarIT4_EEPKS1_PKS2_PKT1_PKT2_S6_PT3_21rocsparse_index_base_b,"axG",@progbits,_ZN9rocsparseL30csrmvn_lrb_short_rows_2_kernelIiifdddEEvbT_PT0_S3_jNS_24const_host_device_scalarIT4_EEPKS1_PKS2_PKT1_PKT2_S6_PT3_21rocsparse_index_base_b,comdat
	.globl	_ZN9rocsparseL30csrmvn_lrb_short_rows_2_kernelIiifdddEEvbT_PT0_S3_jNS_24const_host_device_scalarIT4_EEPKS1_PKS2_PKT1_PKT2_S6_PT3_21rocsparse_index_base_b ; -- Begin function _ZN9rocsparseL30csrmvn_lrb_short_rows_2_kernelIiifdddEEvbT_PT0_S3_jNS_24const_host_device_scalarIT4_EEPKS1_PKS2_PKT1_PKT2_S6_PT3_21rocsparse_index_base_b
	.p2align	8
	.type	_ZN9rocsparseL30csrmvn_lrb_short_rows_2_kernelIiifdddEEvbT_PT0_S3_jNS_24const_host_device_scalarIT4_EEPKS1_PKS2_PKT1_PKT2_S6_PT3_21rocsparse_index_base_b,@function
_ZN9rocsparseL30csrmvn_lrb_short_rows_2_kernelIiifdddEEvbT_PT0_S3_jNS_24const_host_device_scalarIT4_EEPKS1_PKS2_PKT1_PKT2_S6_PT3_21rocsparse_index_base_b: ; @_ZN9rocsparseL30csrmvn_lrb_short_rows_2_kernelIiifdddEEvbT_PT0_S3_jNS_24const_host_device_scalarIT4_EEPKS1_PKS2_PKT1_PKT2_S6_PT3_21rocsparse_index_base_b
; %bb.0:
	s_clause 0x2
	s_load_b64 s[16:17], s[0:1], 0x58
	s_load_b64 s[4:5], s[0:1], 0x20
	;; [unrolled: 1-line block ×3, first 2 shown]
	s_waitcnt lgkmcnt(0)
	s_bitcmp1_b32 s17, 0
	v_dual_mov_b32 v3, s4 :: v_dual_mov_b32 v4, s5
	s_cselect_b32 s6, -1, 0
	s_delay_alu instid0(SALU_CYCLE_1)
	s_and_b32 vcc_lo, exec_lo, s6
	s_xor_b32 s6, s6, -1
	s_cbranch_vccnz .LBB171_2
; %bb.1:
	v_dual_mov_b32 v1, s4 :: v_dual_mov_b32 v2, s5
	flat_load_b64 v[3:4], v[1:2]
.LBB171_2:
	v_dual_mov_b32 v1, s2 :: v_dual_mov_b32 v2, s3
	s_and_not1_b32 vcc_lo, exec_lo, s6
	s_cbranch_vccnz .LBB171_4
; %bb.3:
	v_dual_mov_b32 v1, s2 :: v_dual_mov_b32 v2, s3
	flat_load_b64 v[1:2], v[1:2]
.LBB171_4:
	s_waitcnt vmcnt(0) lgkmcnt(0)
	v_cmp_neq_f64_e32 vcc_lo, 0, v[3:4]
	v_cmp_neq_f64_e64 s2, 1.0, v[1:2]
	s_delay_alu instid0(VALU_DEP_1) | instskip(NEXT) | instid1(SALU_CYCLE_1)
	s_or_b32 s2, vcc_lo, s2
	s_and_saveexec_b32 s3, s2
	s_cbranch_execz .LBB171_30
; %bb.5:
	s_clause 0x1
	s_load_b32 s12, s[0:1], 0x18
	s_load_b128 s[8:11], s[0:1], 0x8
	s_mov_b32 s13, 0
	s_delay_alu instid0(SALU_CYCLE_1)
	s_mov_b32 s5, s13
	s_waitcnt lgkmcnt(0)
	s_lshl_b64 s[2:3], s[12:13], 2
	v_lshrrev_b32_e32 v5, s12, v0
	s_add_u32 s2, s10, s2
	s_addc_u32 s3, s11, s3
	s_add_i32 s4, s12, 1
	v_bfe_u32 v12, v0, 0, s12
	s_lshl_b64 s[4:5], s[4:5], 2
	s_delay_alu instid0(SALU_CYCLE_1)
	s_add_u32 s4, s10, s4
	s_addc_u32 s5, s11, s5
	s_clause 0x1
	s_load_b32 s14, s[2:3], 0x0
	s_load_b32 s17, s[4:5], 0x0
	s_clause 0x1
	s_load_b64 s[10:11], s[0:1], 0x50
	s_load_b256 s[0:7], s[0:1], 0x28
	s_lshr_b32 s13, 0x400, s12
	v_subrev_nc_u32_e32 v11, s16, v12
	s_mul_i32 s15, s13, s15
	s_delay_alu instid0(SALU_CYCLE_1) | instskip(SKIP_3) | instid1(SALU_CYCLE_1)
	v_add_nc_u32_e32 v5, s15, v5
	s_add_i32 s18, s15, s13
	s_waitcnt lgkmcnt(0)
	s_sub_i32 s17, s17, s14
	s_min_u32 s17, s17, s18
	s_mov_b32 s18, exec_lo
	v_cmpx_gt_u32_e64 s17, v5
	s_cbranch_execz .LBB171_9
; %bb.6:
	v_dual_mov_b32 v6, 0 :: v_dual_add_nc_u32 v5, s14, v5
	s_mov_b32 s19, exec_lo
	s_delay_alu instid0(VALU_DEP_1) | instskip(NEXT) | instid1(VALU_DEP_1)
	v_lshlrev_b64 v[7:8], 2, v[5:6]
	v_add_co_u32 v7, vcc_lo, s8, v7
	s_delay_alu instid0(VALU_DEP_2) | instskip(SKIP_3) | instid1(VALU_DEP_1)
	v_add_co_ci_u32_e32 v8, vcc_lo, s9, v8, vcc_lo
	global_load_b32 v7, v[7:8], off
	s_waitcnt vmcnt(0)
	v_ashrrev_i32_e32 v8, 31, v7
	v_lshlrev_b64 v[7:8], 2, v[7:8]
	s_delay_alu instid0(VALU_DEP_1) | instskip(NEXT) | instid1(VALU_DEP_2)
	v_add_co_u32 v7, vcc_lo, s0, v7
	v_add_co_ci_u32_e32 v8, vcc_lo, s1, v8, vcc_lo
	global_load_b64 v[9:10], v[7:8], off
	v_mov_b32_e32 v7, 0
	v_mov_b32_e32 v8, 0
	s_waitcnt vmcnt(0)
	v_sub_nc_u32_e32 v5, v10, v9
	s_delay_alu instid0(VALU_DEP_1)
	v_cmpx_lt_u32_e64 v12, v5
	s_cbranch_execz .LBB171_8
; %bb.7:
	v_add_nc_u32_e32 v5, v9, v11
	s_delay_alu instid0(VALU_DEP_1) | instskip(NEXT) | instid1(VALU_DEP_1)
	v_lshlrev_b64 v[5:6], 2, v[5:6]
	v_add_co_u32 v7, vcc_lo, s2, v5
	s_delay_alu instid0(VALU_DEP_2)
	v_add_co_ci_u32_e32 v8, vcc_lo, s3, v6, vcc_lo
	v_add_co_u32 v5, vcc_lo, s4, v5
	v_add_co_ci_u32_e32 v6, vcc_lo, s5, v6, vcc_lo
	global_load_b32 v7, v[7:8], off
	global_load_b32 v8, v[5:6], off
	s_waitcnt vmcnt(1)
	v_subrev_nc_u32_e32 v5, s16, v7
	s_waitcnt vmcnt(0)
	v_cvt_f64_f32_e32 v[7:8], v8
	s_delay_alu instid0(VALU_DEP_2) | instskip(NEXT) | instid1(VALU_DEP_1)
	v_ashrrev_i32_e32 v6, 31, v5
	v_lshlrev_b64 v[5:6], 3, v[5:6]
	s_delay_alu instid0(VALU_DEP_1) | instskip(NEXT) | instid1(VALU_DEP_2)
	v_add_co_u32 v5, vcc_lo, s6, v5
	v_add_co_ci_u32_e32 v6, vcc_lo, s7, v6, vcc_lo
	global_load_b64 v[5:6], v[5:6], off
	v_mul_f64 v[7:8], v[3:4], v[7:8]
	s_waitcnt vmcnt(0)
	s_delay_alu instid0(VALU_DEP_1)
	v_mul_f64 v[7:8], v[7:8], v[5:6]
.LBB171_8:
	s_or_b32 exec_lo, exec_lo, s19
	v_lshlrev_b32_e32 v5, 3, v0
	ds_store_b64 v5, v[7:8]
.LBB171_9:
	s_or_b32 exec_lo, exec_lo, s18
	v_or_b32_e32 v5, 0x100, v0
	s_mov_b32 s18, exec_lo
	s_delay_alu instid0(VALU_DEP_1) | instskip(NEXT) | instid1(VALU_DEP_1)
	v_lshrrev_b32_e32 v5, s12, v5
	v_add_nc_u32_e32 v5, s15, v5
	s_delay_alu instid0(VALU_DEP_1)
	v_cmpx_gt_u32_e64 s17, v5
	s_cbranch_execz .LBB171_13
; %bb.10:
	v_dual_mov_b32 v6, 0 :: v_dual_add_nc_u32 v5, s14, v5
	s_mov_b32 s19, exec_lo
	s_delay_alu instid0(VALU_DEP_1) | instskip(NEXT) | instid1(VALU_DEP_1)
	v_lshlrev_b64 v[7:8], 2, v[5:6]
	v_add_co_u32 v7, vcc_lo, s8, v7
	s_delay_alu instid0(VALU_DEP_2) | instskip(SKIP_3) | instid1(VALU_DEP_1)
	v_add_co_ci_u32_e32 v8, vcc_lo, s9, v8, vcc_lo
	global_load_b32 v7, v[7:8], off
	s_waitcnt vmcnt(0)
	v_ashrrev_i32_e32 v8, 31, v7
	v_lshlrev_b64 v[7:8], 2, v[7:8]
	s_delay_alu instid0(VALU_DEP_1) | instskip(NEXT) | instid1(VALU_DEP_2)
	v_add_co_u32 v7, vcc_lo, s0, v7
	v_add_co_ci_u32_e32 v8, vcc_lo, s1, v8, vcc_lo
	global_load_b64 v[9:10], v[7:8], off
	v_mov_b32_e32 v7, 0
	v_mov_b32_e32 v8, 0
	s_waitcnt vmcnt(0)
	v_sub_nc_u32_e32 v5, v10, v9
	s_delay_alu instid0(VALU_DEP_1)
	v_cmpx_lt_u32_e64 v12, v5
	s_cbranch_execz .LBB171_12
; %bb.11:
	v_add_nc_u32_e32 v5, v9, v11
	s_delay_alu instid0(VALU_DEP_1) | instskip(NEXT) | instid1(VALU_DEP_1)
	v_lshlrev_b64 v[5:6], 2, v[5:6]
	v_add_co_u32 v7, vcc_lo, s2, v5
	s_delay_alu instid0(VALU_DEP_2)
	v_add_co_ci_u32_e32 v8, vcc_lo, s3, v6, vcc_lo
	v_add_co_u32 v5, vcc_lo, s4, v5
	v_add_co_ci_u32_e32 v6, vcc_lo, s5, v6, vcc_lo
	global_load_b32 v7, v[7:8], off
	global_load_b32 v8, v[5:6], off
	s_waitcnt vmcnt(1)
	v_subrev_nc_u32_e32 v5, s16, v7
	s_waitcnt vmcnt(0)
	v_cvt_f64_f32_e32 v[7:8], v8
	s_delay_alu instid0(VALU_DEP_2) | instskip(NEXT) | instid1(VALU_DEP_1)
	v_ashrrev_i32_e32 v6, 31, v5
	v_lshlrev_b64 v[5:6], 3, v[5:6]
	s_delay_alu instid0(VALU_DEP_1) | instskip(NEXT) | instid1(VALU_DEP_2)
	v_add_co_u32 v5, vcc_lo, s6, v5
	v_add_co_ci_u32_e32 v6, vcc_lo, s7, v6, vcc_lo
	global_load_b64 v[5:6], v[5:6], off
	v_mul_f64 v[7:8], v[3:4], v[7:8]
	s_waitcnt vmcnt(0)
	s_delay_alu instid0(VALU_DEP_1)
	v_mul_f64 v[7:8], v[7:8], v[5:6]
.LBB171_12:
	s_or_b32 exec_lo, exec_lo, s19
	v_lshlrev_b32_e32 v5, 3, v0
	ds_store_b64 v5, v[7:8] offset:2048
.LBB171_13:
	s_or_b32 exec_lo, exec_lo, s18
	v_or_b32_e32 v5, 0x200, v0
	s_mov_b32 s18, exec_lo
	s_delay_alu instid0(VALU_DEP_1) | instskip(NEXT) | instid1(VALU_DEP_1)
	v_lshrrev_b32_e32 v5, s12, v5
	v_add_nc_u32_e32 v5, s15, v5
	s_delay_alu instid0(VALU_DEP_1)
	v_cmpx_gt_u32_e64 s17, v5
	s_cbranch_execz .LBB171_17
; %bb.14:
	v_dual_mov_b32 v6, 0 :: v_dual_add_nc_u32 v5, s14, v5
	s_mov_b32 s19, exec_lo
	s_delay_alu instid0(VALU_DEP_1) | instskip(NEXT) | instid1(VALU_DEP_1)
	v_lshlrev_b64 v[7:8], 2, v[5:6]
	v_add_co_u32 v7, vcc_lo, s8, v7
	s_delay_alu instid0(VALU_DEP_2) | instskip(SKIP_3) | instid1(VALU_DEP_1)
	v_add_co_ci_u32_e32 v8, vcc_lo, s9, v8, vcc_lo
	global_load_b32 v7, v[7:8], off
	s_waitcnt vmcnt(0)
	v_ashrrev_i32_e32 v8, 31, v7
	v_lshlrev_b64 v[7:8], 2, v[7:8]
	s_delay_alu instid0(VALU_DEP_1) | instskip(NEXT) | instid1(VALU_DEP_2)
	v_add_co_u32 v7, vcc_lo, s0, v7
	v_add_co_ci_u32_e32 v8, vcc_lo, s1, v8, vcc_lo
	global_load_b64 v[9:10], v[7:8], off
	v_mov_b32_e32 v7, 0
	v_mov_b32_e32 v8, 0
	s_waitcnt vmcnt(0)
	v_sub_nc_u32_e32 v5, v10, v9
	s_delay_alu instid0(VALU_DEP_1)
	v_cmpx_lt_u32_e64 v12, v5
	s_cbranch_execz .LBB171_16
; %bb.15:
	v_add_nc_u32_e32 v5, v9, v11
	s_delay_alu instid0(VALU_DEP_1) | instskip(NEXT) | instid1(VALU_DEP_1)
	v_lshlrev_b64 v[5:6], 2, v[5:6]
	v_add_co_u32 v7, vcc_lo, s2, v5
	s_delay_alu instid0(VALU_DEP_2)
	v_add_co_ci_u32_e32 v8, vcc_lo, s3, v6, vcc_lo
	v_add_co_u32 v5, vcc_lo, s4, v5
	v_add_co_ci_u32_e32 v6, vcc_lo, s5, v6, vcc_lo
	global_load_b32 v7, v[7:8], off
	global_load_b32 v8, v[5:6], off
	s_waitcnt vmcnt(1)
	v_subrev_nc_u32_e32 v5, s16, v7
	s_waitcnt vmcnt(0)
	v_cvt_f64_f32_e32 v[7:8], v8
	s_delay_alu instid0(VALU_DEP_2) | instskip(NEXT) | instid1(VALU_DEP_1)
	v_ashrrev_i32_e32 v6, 31, v5
	v_lshlrev_b64 v[5:6], 3, v[5:6]
	s_delay_alu instid0(VALU_DEP_1) | instskip(NEXT) | instid1(VALU_DEP_2)
	v_add_co_u32 v5, vcc_lo, s6, v5
	v_add_co_ci_u32_e32 v6, vcc_lo, s7, v6, vcc_lo
	global_load_b64 v[5:6], v[5:6], off
	v_mul_f64 v[7:8], v[3:4], v[7:8]
	s_waitcnt vmcnt(0)
	s_delay_alu instid0(VALU_DEP_1)
	v_mul_f64 v[7:8], v[7:8], v[5:6]
.LBB171_16:
	s_or_b32 exec_lo, exec_lo, s19
	v_lshlrev_b32_e32 v5, 3, v0
	ds_store_b64 v5, v[7:8] offset:4096
.LBB171_17:
	s_or_b32 exec_lo, exec_lo, s18
	v_or_b32_e32 v5, 0x300, v0
	s_mov_b32 s18, exec_lo
	s_delay_alu instid0(VALU_DEP_1) | instskip(NEXT) | instid1(VALU_DEP_1)
	v_lshrrev_b32_e32 v5, s12, v5
	v_add_nc_u32_e32 v5, s15, v5
	s_delay_alu instid0(VALU_DEP_1)
	v_cmpx_gt_u32_e64 s17, v5
	s_cbranch_execz .LBB171_21
; %bb.18:
	v_dual_mov_b32 v6, 0 :: v_dual_add_nc_u32 v5, s14, v5
	s_delay_alu instid0(VALU_DEP_1) | instskip(NEXT) | instid1(VALU_DEP_1)
	v_lshlrev_b64 v[7:8], 2, v[5:6]
	v_add_co_u32 v7, vcc_lo, s8, v7
	s_delay_alu instid0(VALU_DEP_2) | instskip(SKIP_3) | instid1(VALU_DEP_1)
	v_add_co_ci_u32_e32 v8, vcc_lo, s9, v8, vcc_lo
	global_load_b32 v7, v[7:8], off
	s_waitcnt vmcnt(0)
	v_ashrrev_i32_e32 v8, 31, v7
	v_lshlrev_b64 v[7:8], 2, v[7:8]
	s_delay_alu instid0(VALU_DEP_1) | instskip(NEXT) | instid1(VALU_DEP_2)
	v_add_co_u32 v7, vcc_lo, s0, v7
	v_add_co_ci_u32_e32 v8, vcc_lo, s1, v8, vcc_lo
	s_mov_b32 s0, exec_lo
	global_load_b64 v[9:10], v[7:8], off
	v_mov_b32_e32 v7, 0
	v_mov_b32_e32 v8, 0
	s_waitcnt vmcnt(0)
	v_sub_nc_u32_e32 v5, v10, v9
	s_delay_alu instid0(VALU_DEP_1)
	v_cmpx_lt_u32_e64 v12, v5
	s_cbranch_execz .LBB171_20
; %bb.19:
	v_add_nc_u32_e32 v5, v9, v11
	s_delay_alu instid0(VALU_DEP_1) | instskip(NEXT) | instid1(VALU_DEP_1)
	v_lshlrev_b64 v[5:6], 2, v[5:6]
	v_add_co_u32 v7, vcc_lo, s2, v5
	s_delay_alu instid0(VALU_DEP_2)
	v_add_co_ci_u32_e32 v8, vcc_lo, s3, v6, vcc_lo
	v_add_co_u32 v5, vcc_lo, s4, v5
	v_add_co_ci_u32_e32 v6, vcc_lo, s5, v6, vcc_lo
	global_load_b32 v7, v[7:8], off
	global_load_b32 v8, v[5:6], off
	s_waitcnt vmcnt(1)
	v_subrev_nc_u32_e32 v5, s16, v7
	s_waitcnt vmcnt(0)
	v_cvt_f64_f32_e32 v[7:8], v8
	s_delay_alu instid0(VALU_DEP_2) | instskip(NEXT) | instid1(VALU_DEP_1)
	v_ashrrev_i32_e32 v6, 31, v5
	v_lshlrev_b64 v[5:6], 3, v[5:6]
	s_delay_alu instid0(VALU_DEP_1) | instskip(NEXT) | instid1(VALU_DEP_2)
	v_add_co_u32 v5, vcc_lo, s6, v5
	v_add_co_ci_u32_e32 v6, vcc_lo, s7, v6, vcc_lo
	global_load_b64 v[5:6], v[5:6], off
	v_mul_f64 v[3:4], v[3:4], v[7:8]
	s_waitcnt vmcnt(0)
	s_delay_alu instid0(VALU_DEP_1)
	v_mul_f64 v[7:8], v[3:4], v[5:6]
.LBB171_20:
	s_or_b32 exec_lo, exec_lo, s0
	v_lshlrev_b32_e32 v3, 3, v0
	ds_store_b64 v3, v[7:8] offset:6144
.LBB171_21:
	s_or_b32 exec_lo, exec_lo, s18
	s_cmp_lt_u32 s12, 11
	s_waitcnt lgkmcnt(0)
	s_barrier
	buffer_gl0_inv
	s_cbranch_scc0 .LBB171_30
; %bb.22:
	v_cmp_neq_f64_e32 vcc_lo, 0, v[1:2]
	v_mov_b32_e32 v4, 0
	s_sub_i32 s1, s17, s15
	s_add_i32 s14, s14, s15
	s_mov_b32 s2, 0
	s_branch .LBB171_25
.LBB171_23:                             ;   in Loop: Header=BB171_25 Depth=1
	s_or_b32 exec_lo, exec_lo, s4
	s_delay_alu instid0(VALU_DEP_1) | instskip(NEXT) | instid1(VALU_DEP_1)
	v_add_co_u32 v7, s0, s10, v7
	v_add_co_ci_u32_e64 v8, s0, s11, v8, s0
	global_store_b64 v[7:8], v[5:6], off
.LBB171_24:                             ;   in Loop: Header=BB171_25 Depth=1
	s_or_b32 exec_lo, exec_lo, s3
	s_addk_i32 s2, 0x100
	s_delay_alu instid0(SALU_CYCLE_1)
	s_cmp_lt_u32 s2, s13
	s_cbranch_scc0 .LBB171_30
.LBB171_25:                             ; =>This Loop Header: Depth=1
                                        ;     Child Loop BB171_27 Depth 2
	v_add_nc_u32_e32 v5, s2, v0
	s_mov_b32 s3, exec_lo
	s_delay_alu instid0(VALU_DEP_1)
	v_cmpx_gt_u32_e64 s1, v5
	s_cbranch_execz .LBB171_24
; %bb.26:                               ;   in Loop: Header=BB171_25 Depth=1
	v_add_nc_u32_e32 v3, s14, v5
	s_delay_alu instid0(VALU_DEP_1) | instskip(SKIP_1) | instid1(VALU_DEP_1)
	v_lshlrev_b64 v[6:7], 2, v[3:4]
	v_lshlrev_b32_e32 v3, s12, v5
	v_lshlrev_b32_e32 v3, 3, v3
	s_delay_alu instid0(VALU_DEP_3) | instskip(NEXT) | instid1(VALU_DEP_1)
	v_add_co_u32 v6, s0, s8, v6
	v_add_co_ci_u32_e64 v7, s0, s9, v7, s0
	s_mov_b32 s0, 1
	global_load_b32 v7, v[6:7], off
	v_mov_b32_e32 v5, 0
	v_mov_b32_e32 v6, 0
.LBB171_27:                             ;   Parent Loop BB171_25 Depth=1
                                        ; =>  This Inner Loop Header: Depth=2
	ds_load_b64 v[8:9], v3
	v_add_nc_u32_e32 v3, 8, v3
	s_lshr_b32 s4, s0, s12
	s_add_i32 s0, s0, 1
	s_cmp_lg_u32 s4, 0
	s_waitcnt lgkmcnt(0)
	v_add_f64 v[5:6], v[5:6], v[8:9]
	s_cbranch_scc0 .LBB171_27
; %bb.28:                               ;   in Loop: Header=BB171_25 Depth=1
	s_waitcnt vmcnt(0)
	v_ashrrev_i32_e32 v8, 31, v7
	s_delay_alu instid0(VALU_DEP_1)
	v_lshlrev_b64 v[7:8], 3, v[7:8]
	s_and_saveexec_b32 s4, vcc_lo
	s_cbranch_execz .LBB171_23
; %bb.29:                               ;   in Loop: Header=BB171_25 Depth=1
	s_delay_alu instid0(VALU_DEP_1) | instskip(NEXT) | instid1(VALU_DEP_1)
	v_add_co_u32 v9, s0, s10, v7
	v_add_co_ci_u32_e64 v10, s0, s11, v8, s0
	global_load_b64 v[9:10], v[9:10], off
	s_waitcnt vmcnt(0)
	v_fma_f64 v[5:6], v[1:2], v[9:10], v[5:6]
	s_branch .LBB171_23
.LBB171_30:
	s_nop 0
	s_sendmsg sendmsg(MSG_DEALLOC_VGPRS)
	s_endpgm
	.section	.rodata,"a",@progbits
	.p2align	6, 0x0
	.amdhsa_kernel _ZN9rocsparseL30csrmvn_lrb_short_rows_2_kernelIiifdddEEvbT_PT0_S3_jNS_24const_host_device_scalarIT4_EEPKS1_PKS2_PKT1_PKT2_S6_PT3_21rocsparse_index_base_b
		.amdhsa_group_segment_fixed_size 8192
		.amdhsa_private_segment_fixed_size 0
		.amdhsa_kernarg_size 96
		.amdhsa_user_sgpr_count 15
		.amdhsa_user_sgpr_dispatch_ptr 0
		.amdhsa_user_sgpr_queue_ptr 0
		.amdhsa_user_sgpr_kernarg_segment_ptr 1
		.amdhsa_user_sgpr_dispatch_id 0
		.amdhsa_user_sgpr_private_segment_size 0
		.amdhsa_wavefront_size32 1
		.amdhsa_uses_dynamic_stack 0
		.amdhsa_enable_private_segment 0
		.amdhsa_system_sgpr_workgroup_id_x 1
		.amdhsa_system_sgpr_workgroup_id_y 0
		.amdhsa_system_sgpr_workgroup_id_z 0
		.amdhsa_system_sgpr_workgroup_info 0
		.amdhsa_system_vgpr_workitem_id 0
		.amdhsa_next_free_vgpr 13
		.amdhsa_next_free_sgpr 20
		.amdhsa_reserve_vcc 1
		.amdhsa_float_round_mode_32 0
		.amdhsa_float_round_mode_16_64 0
		.amdhsa_float_denorm_mode_32 3
		.amdhsa_float_denorm_mode_16_64 3
		.amdhsa_dx10_clamp 1
		.amdhsa_ieee_mode 1
		.amdhsa_fp16_overflow 0
		.amdhsa_workgroup_processor_mode 1
		.amdhsa_memory_ordered 1
		.amdhsa_forward_progress 0
		.amdhsa_shared_vgpr_count 0
		.amdhsa_exception_fp_ieee_invalid_op 0
		.amdhsa_exception_fp_denorm_src 0
		.amdhsa_exception_fp_ieee_div_zero 0
		.amdhsa_exception_fp_ieee_overflow 0
		.amdhsa_exception_fp_ieee_underflow 0
		.amdhsa_exception_fp_ieee_inexact 0
		.amdhsa_exception_int_div_zero 0
	.end_amdhsa_kernel
	.section	.text._ZN9rocsparseL30csrmvn_lrb_short_rows_2_kernelIiifdddEEvbT_PT0_S3_jNS_24const_host_device_scalarIT4_EEPKS1_PKS2_PKT1_PKT2_S6_PT3_21rocsparse_index_base_b,"axG",@progbits,_ZN9rocsparseL30csrmvn_lrb_short_rows_2_kernelIiifdddEEvbT_PT0_S3_jNS_24const_host_device_scalarIT4_EEPKS1_PKS2_PKT1_PKT2_S6_PT3_21rocsparse_index_base_b,comdat
.Lfunc_end171:
	.size	_ZN9rocsparseL30csrmvn_lrb_short_rows_2_kernelIiifdddEEvbT_PT0_S3_jNS_24const_host_device_scalarIT4_EEPKS1_PKS2_PKT1_PKT2_S6_PT3_21rocsparse_index_base_b, .Lfunc_end171-_ZN9rocsparseL30csrmvn_lrb_short_rows_2_kernelIiifdddEEvbT_PT0_S3_jNS_24const_host_device_scalarIT4_EEPKS1_PKS2_PKT1_PKT2_S6_PT3_21rocsparse_index_base_b
                                        ; -- End function
	.section	.AMDGPU.csdata,"",@progbits
; Kernel info:
; codeLenInByte = 1872
; NumSgprs: 22
; NumVgprs: 13
; ScratchSize: 0
; MemoryBound: 0
; FloatMode: 240
; IeeeMode: 1
; LDSByteSize: 8192 bytes/workgroup (compile time only)
; SGPRBlocks: 2
; VGPRBlocks: 1
; NumSGPRsForWavesPerEU: 22
; NumVGPRsForWavesPerEU: 13
; Occupancy: 16
; WaveLimiterHint : 1
; COMPUTE_PGM_RSRC2:SCRATCH_EN: 0
; COMPUTE_PGM_RSRC2:USER_SGPR: 15
; COMPUTE_PGM_RSRC2:TRAP_HANDLER: 0
; COMPUTE_PGM_RSRC2:TGID_X_EN: 1
; COMPUTE_PGM_RSRC2:TGID_Y_EN: 0
; COMPUTE_PGM_RSRC2:TGID_Z_EN: 0
; COMPUTE_PGM_RSRC2:TIDIG_COMP_CNT: 0
	.section	.text._ZN9rocsparseL41csrmvn_lrb_medium_rows_warp_reduce_kernelILj256ELj32EiifdddEEvbT1_lPT2_S3_jNS_24const_host_device_scalarIT6_EEPKS1_PKS2_PKT3_PKT4_S6_PT5_21rocsparse_index_base_b,"axG",@progbits,_ZN9rocsparseL41csrmvn_lrb_medium_rows_warp_reduce_kernelILj256ELj32EiifdddEEvbT1_lPT2_S3_jNS_24const_host_device_scalarIT6_EEPKS1_PKS2_PKT3_PKT4_S6_PT5_21rocsparse_index_base_b,comdat
	.globl	_ZN9rocsparseL41csrmvn_lrb_medium_rows_warp_reduce_kernelILj256ELj32EiifdddEEvbT1_lPT2_S3_jNS_24const_host_device_scalarIT6_EEPKS1_PKS2_PKT3_PKT4_S6_PT5_21rocsparse_index_base_b ; -- Begin function _ZN9rocsparseL41csrmvn_lrb_medium_rows_warp_reduce_kernelILj256ELj32EiifdddEEvbT1_lPT2_S3_jNS_24const_host_device_scalarIT6_EEPKS1_PKS2_PKT3_PKT4_S6_PT5_21rocsparse_index_base_b
	.p2align	8
	.type	_ZN9rocsparseL41csrmvn_lrb_medium_rows_warp_reduce_kernelILj256ELj32EiifdddEEvbT1_lPT2_S3_jNS_24const_host_device_scalarIT6_EEPKS1_PKS2_PKT3_PKT4_S6_PT5_21rocsparse_index_base_b,@function
_ZN9rocsparseL41csrmvn_lrb_medium_rows_warp_reduce_kernelILj256ELj32EiifdddEEvbT1_lPT2_S3_jNS_24const_host_device_scalarIT6_EEPKS1_PKS2_PKT3_PKT4_S6_PT5_21rocsparse_index_base_b: ; @_ZN9rocsparseL41csrmvn_lrb_medium_rows_warp_reduce_kernelILj256ELj32EiifdddEEvbT1_lPT2_S3_jNS_24const_host_device_scalarIT6_EEPKS1_PKS2_PKT3_PKT4_S6_PT5_21rocsparse_index_base_b
; %bb.0:
	s_clause 0x2
	s_load_b64 s[8:9], s[0:1], 0x60
	s_load_b64 s[4:5], s[0:1], 0x28
	;; [unrolled: 1-line block ×3, first 2 shown]
	s_waitcnt lgkmcnt(0)
	s_bitcmp1_b32 s9, 0
	v_dual_mov_b32 v3, s4 :: v_dual_mov_b32 v4, s5
	s_cselect_b32 s6, -1, 0
	s_delay_alu instid0(SALU_CYCLE_1)
	s_and_b32 vcc_lo, exec_lo, s6
	s_xor_b32 s6, s6, -1
	s_cbranch_vccnz .LBB172_2
; %bb.1:
	v_dual_mov_b32 v1, s4 :: v_dual_mov_b32 v2, s5
	flat_load_b64 v[3:4], v[1:2]
.LBB172_2:
	v_dual_mov_b32 v1, s2 :: v_dual_mov_b32 v2, s3
	s_and_not1_b32 vcc_lo, exec_lo, s6
	s_cbranch_vccnz .LBB172_4
; %bb.3:
	v_dual_mov_b32 v1, s2 :: v_dual_mov_b32 v2, s3
	flat_load_b64 v[1:2], v[1:2]
.LBB172_4:
	s_waitcnt vmcnt(0) lgkmcnt(0)
	v_cmp_neq_f64_e32 vcc_lo, 0, v[3:4]
	v_cmp_neq_f64_e64 s2, 1.0, v[1:2]
	s_delay_alu instid0(VALU_DEP_1) | instskip(NEXT) | instid1(SALU_CYCLE_1)
	s_or_b32 s2, vcc_lo, s2
	s_and_saveexec_b32 s3, s2
	s_cbranch_execz .LBB172_14
; %bb.5:
	s_load_b64 s[2:3], s[0:1], 0x8
	v_lshrrev_b32_e32 v5, 5, v0
	s_delay_alu instid0(VALU_DEP_1) | instskip(NEXT) | instid1(VALU_DEP_1)
	v_lshl_or_b32 v5, s15, 3, v5
	v_ashrrev_i32_e32 v6, 31, v5
	s_waitcnt lgkmcnt(0)
	s_delay_alu instid0(VALU_DEP_1)
	v_cmp_gt_i64_e32 vcc_lo, s[2:3], v[5:6]
	s_and_b32 exec_lo, exec_lo, vcc_lo
	s_cbranch_execz .LBB172_14
; %bb.6:
	s_clause 0x1
	s_load_b32 s10, s[0:1], 0x20
	s_load_b128 s[4:7], s[0:1], 0x10
	s_mov_b32 s11, 0
	v_and_b32_e32 v0, 31, v0
	s_mov_b32 s9, exec_lo
	s_delay_alu instid0(VALU_DEP_1) | instskip(SKIP_2) | instid1(SALU_CYCLE_1)
	v_subrev_nc_u32_e32 v9, s8, v0
	s_waitcnt lgkmcnt(0)
	s_lshl_b64 s[2:3], s[10:11], 2
	s_add_u32 s2, s6, s2
	s_addc_u32 s3, s7, s3
	s_load_b32 s2, s[2:3], 0x0
	s_waitcnt lgkmcnt(0)
	v_add_nc_u32_e32 v5, s2, v5
	s_load_b64 s[2:3], s[0:1], 0x30
	s_delay_alu instid0(VALU_DEP_1) | instskip(NEXT) | instid1(VALU_DEP_1)
	v_ashrrev_i32_e32 v6, 31, v5
	v_lshlrev_b64 v[5:6], 2, v[5:6]
	s_delay_alu instid0(VALU_DEP_1) | instskip(NEXT) | instid1(VALU_DEP_2)
	v_add_co_u32 v5, vcc_lo, s4, v5
	v_add_co_ci_u32_e32 v6, vcc_lo, s5, v6, vcc_lo
	global_load_b32 v5, v[5:6], off
	s_waitcnt vmcnt(0)
	v_ashrrev_i32_e32 v6, 31, v5
	s_delay_alu instid0(VALU_DEP_1) | instskip(SKIP_1) | instid1(VALU_DEP_1)
	v_lshlrev_b64 v[7:8], 2, v[5:6]
	s_waitcnt lgkmcnt(0)
	v_add_co_u32 v7, vcc_lo, s2, v7
	s_delay_alu instid0(VALU_DEP_2)
	v_add_co_ci_u32_e32 v8, vcc_lo, s3, v8, vcc_lo
	s_load_b64 s[2:3], s[0:1], 0x58
	global_load_b64 v[7:8], v[7:8], off
	s_waitcnt vmcnt(0)
	v_subrev_nc_u32_e32 v11, s8, v8
	v_add_nc_u32_e32 v9, v7, v9
	v_mov_b32_e32 v7, 0
	v_mov_b32_e32 v8, 0
	s_delay_alu instid0(VALU_DEP_3)
	v_cmpx_lt_i32_e64 v9, v11
	s_cbranch_execz .LBB172_10
; %bb.7:
	s_clause 0x1
	s_load_b128 s[4:7], s[0:1], 0x38
	s_load_b64 s[0:1], s[0:1], 0x48
	v_mov_b32_e32 v7, 0
	v_mov_b32_e32 v8, 0
	.p2align	6
.LBB172_8:                              ; =>This Inner Loop Header: Depth=1
	v_ashrrev_i32_e32 v10, 31, v9
	s_delay_alu instid0(VALU_DEP_1) | instskip(SKIP_2) | instid1(VALU_DEP_2)
	v_lshlrev_b64 v[12:13], 2, v[9:10]
	v_add_nc_u32_e32 v9, 32, v9
	s_waitcnt lgkmcnt(0)
	v_add_co_u32 v14, vcc_lo, s4, v12
	s_delay_alu instid0(VALU_DEP_3)
	v_add_co_ci_u32_e32 v15, vcc_lo, s5, v13, vcc_lo
	v_add_co_u32 v12, vcc_lo, s6, v12
	v_add_co_ci_u32_e32 v13, vcc_lo, s7, v13, vcc_lo
	global_load_b32 v10, v[14:15], off
	global_load_b32 v14, v[12:13], off
	s_waitcnt vmcnt(1)
	v_subrev_nc_u32_e32 v12, s8, v10
	s_waitcnt vmcnt(0)
	v_cvt_f64_f32_e32 v[14:15], v14
	s_delay_alu instid0(VALU_DEP_2) | instskip(NEXT) | instid1(VALU_DEP_1)
	v_ashrrev_i32_e32 v13, 31, v12
	v_lshlrev_b64 v[12:13], 3, v[12:13]
	s_delay_alu instid0(VALU_DEP_1) | instskip(NEXT) | instid1(VALU_DEP_2)
	v_add_co_u32 v12, vcc_lo, s0, v12
	v_add_co_ci_u32_e32 v13, vcc_lo, s1, v13, vcc_lo
	v_cmp_ge_i32_e32 vcc_lo, v9, v11
	global_load_b64 v[12:13], v[12:13], off
	s_or_b32 s11, vcc_lo, s11
	v_mul_f64 v[14:15], v[3:4], v[14:15]
	s_waitcnt vmcnt(0)
	s_delay_alu instid0(VALU_DEP_1)
	v_fma_f64 v[7:8], v[14:15], v[12:13], v[7:8]
	s_and_not1_b32 exec_lo, exec_lo, s11
	s_cbranch_execnz .LBB172_8
; %bb.9:
	s_or_b32 exec_lo, exec_lo, s11
.LBB172_10:
	s_delay_alu instid0(SALU_CYCLE_1) | instskip(SKIP_1) | instid1(VALU_DEP_1)
	s_or_b32 exec_lo, exec_lo, s9
	v_mbcnt_lo_u32_b32 v9, -1, 0
	v_xor_b32_e32 v3, 16, v9
	s_delay_alu instid0(VALU_DEP_1) | instskip(SKIP_1) | instid1(VALU_DEP_1)
	v_cmp_gt_i32_e32 vcc_lo, 32, v3
	v_cndmask_b32_e32 v3, v9, v3, vcc_lo
	v_lshlrev_b32_e32 v4, 2, v3
	ds_bpermute_b32 v3, v4, v7
	ds_bpermute_b32 v4, v4, v8
	s_waitcnt lgkmcnt(0)
	v_add_f64 v[3:4], v[7:8], v[3:4]
	v_xor_b32_e32 v7, 8, v9
	s_delay_alu instid0(VALU_DEP_1) | instskip(SKIP_1) | instid1(VALU_DEP_1)
	v_cmp_gt_i32_e32 vcc_lo, 32, v7
	v_cndmask_b32_e32 v7, v9, v7, vcc_lo
	v_lshlrev_b32_e32 v8, 2, v7
	ds_bpermute_b32 v7, v8, v3
	ds_bpermute_b32 v8, v8, v4
	s_waitcnt lgkmcnt(0)
	v_add_f64 v[3:4], v[3:4], v[7:8]
	;; [unrolled: 9-line block ×4, first 2 shown]
	v_xor_b32_e32 v7, 1, v9
	s_delay_alu instid0(VALU_DEP_1) | instskip(SKIP_2) | instid1(VALU_DEP_2)
	v_cmp_gt_i32_e32 vcc_lo, 32, v7
	v_cndmask_b32_e32 v7, v9, v7, vcc_lo
	v_cmp_eq_u32_e32 vcc_lo, 31, v0
	v_lshlrev_b32_e32 v8, 2, v7
	ds_bpermute_b32 v7, v8, v3
	ds_bpermute_b32 v8, v8, v4
	s_and_b32 exec_lo, exec_lo, vcc_lo
	s_cbranch_execz .LBB172_14
; %bb.11:
	s_waitcnt lgkmcnt(0)
	v_add_f64 v[3:4], v[3:4], v[7:8]
	v_lshlrev_b64 v[5:6], 3, v[5:6]
	s_mov_b32 s0, exec_lo
	v_cmpx_neq_f64_e32 0, v[1:2]
	s_cbranch_execz .LBB172_13
; %bb.12:
	s_delay_alu instid0(VALU_DEP_2) | instskip(NEXT) | instid1(VALU_DEP_3)
	v_add_co_u32 v7, vcc_lo, s2, v5
	v_add_co_ci_u32_e32 v8, vcc_lo, s3, v6, vcc_lo
	global_load_b64 v[7:8], v[7:8], off
	s_waitcnt vmcnt(0)
	v_fma_f64 v[3:4], v[1:2], v[7:8], v[3:4]
.LBB172_13:
	s_or_b32 exec_lo, exec_lo, s0
	s_delay_alu instid0(VALU_DEP_2)
	v_add_co_u32 v0, vcc_lo, s2, v5
	v_add_co_ci_u32_e32 v1, vcc_lo, s3, v6, vcc_lo
	global_store_b64 v[0:1], v[3:4], off
.LBB172_14:
	s_nop 0
	s_sendmsg sendmsg(MSG_DEALLOC_VGPRS)
	s_endpgm
	.section	.rodata,"a",@progbits
	.p2align	6, 0x0
	.amdhsa_kernel _ZN9rocsparseL41csrmvn_lrb_medium_rows_warp_reduce_kernelILj256ELj32EiifdddEEvbT1_lPT2_S3_jNS_24const_host_device_scalarIT6_EEPKS1_PKS2_PKT3_PKT4_S6_PT5_21rocsparse_index_base_b
		.amdhsa_group_segment_fixed_size 0
		.amdhsa_private_segment_fixed_size 0
		.amdhsa_kernarg_size 104
		.amdhsa_user_sgpr_count 15
		.amdhsa_user_sgpr_dispatch_ptr 0
		.amdhsa_user_sgpr_queue_ptr 0
		.amdhsa_user_sgpr_kernarg_segment_ptr 1
		.amdhsa_user_sgpr_dispatch_id 0
		.amdhsa_user_sgpr_private_segment_size 0
		.amdhsa_wavefront_size32 1
		.amdhsa_uses_dynamic_stack 0
		.amdhsa_enable_private_segment 0
		.amdhsa_system_sgpr_workgroup_id_x 1
		.amdhsa_system_sgpr_workgroup_id_y 0
		.amdhsa_system_sgpr_workgroup_id_z 0
		.amdhsa_system_sgpr_workgroup_info 0
		.amdhsa_system_vgpr_workitem_id 0
		.amdhsa_next_free_vgpr 16
		.amdhsa_next_free_sgpr 16
		.amdhsa_reserve_vcc 1
		.amdhsa_float_round_mode_32 0
		.amdhsa_float_round_mode_16_64 0
		.amdhsa_float_denorm_mode_32 3
		.amdhsa_float_denorm_mode_16_64 3
		.amdhsa_dx10_clamp 1
		.amdhsa_ieee_mode 1
		.amdhsa_fp16_overflow 0
		.amdhsa_workgroup_processor_mode 1
		.amdhsa_memory_ordered 1
		.amdhsa_forward_progress 0
		.amdhsa_shared_vgpr_count 0
		.amdhsa_exception_fp_ieee_invalid_op 0
		.amdhsa_exception_fp_denorm_src 0
		.amdhsa_exception_fp_ieee_div_zero 0
		.amdhsa_exception_fp_ieee_overflow 0
		.amdhsa_exception_fp_ieee_underflow 0
		.amdhsa_exception_fp_ieee_inexact 0
		.amdhsa_exception_int_div_zero 0
	.end_amdhsa_kernel
	.section	.text._ZN9rocsparseL41csrmvn_lrb_medium_rows_warp_reduce_kernelILj256ELj32EiifdddEEvbT1_lPT2_S3_jNS_24const_host_device_scalarIT6_EEPKS1_PKS2_PKT3_PKT4_S6_PT5_21rocsparse_index_base_b,"axG",@progbits,_ZN9rocsparseL41csrmvn_lrb_medium_rows_warp_reduce_kernelILj256ELj32EiifdddEEvbT1_lPT2_S3_jNS_24const_host_device_scalarIT6_EEPKS1_PKS2_PKT3_PKT4_S6_PT5_21rocsparse_index_base_b,comdat
.Lfunc_end172:
	.size	_ZN9rocsparseL41csrmvn_lrb_medium_rows_warp_reduce_kernelILj256ELj32EiifdddEEvbT1_lPT2_S3_jNS_24const_host_device_scalarIT6_EEPKS1_PKS2_PKT3_PKT4_S6_PT5_21rocsparse_index_base_b, .Lfunc_end172-_ZN9rocsparseL41csrmvn_lrb_medium_rows_warp_reduce_kernelILj256ELj32EiifdddEEvbT1_lPT2_S3_jNS_24const_host_device_scalarIT6_EEPKS1_PKS2_PKT3_PKT4_S6_PT5_21rocsparse_index_base_b
                                        ; -- End function
	.section	.AMDGPU.csdata,"",@progbits
; Kernel info:
; codeLenInByte = 964
; NumSgprs: 18
; NumVgprs: 16
; ScratchSize: 0
; MemoryBound: 0
; FloatMode: 240
; IeeeMode: 1
; LDSByteSize: 0 bytes/workgroup (compile time only)
; SGPRBlocks: 2
; VGPRBlocks: 1
; NumSGPRsForWavesPerEU: 18
; NumVGPRsForWavesPerEU: 16
; Occupancy: 16
; WaveLimiterHint : 1
; COMPUTE_PGM_RSRC2:SCRATCH_EN: 0
; COMPUTE_PGM_RSRC2:USER_SGPR: 15
; COMPUTE_PGM_RSRC2:TRAP_HANDLER: 0
; COMPUTE_PGM_RSRC2:TGID_X_EN: 1
; COMPUTE_PGM_RSRC2:TGID_Y_EN: 0
; COMPUTE_PGM_RSRC2:TGID_Z_EN: 0
; COMPUTE_PGM_RSRC2:TIDIG_COMP_CNT: 0
	.section	.text._ZN9rocsparseL41csrmvn_lrb_medium_rows_warp_reduce_kernelILj256ELj64EiifdddEEvbT1_lPT2_S3_jNS_24const_host_device_scalarIT6_EEPKS1_PKS2_PKT3_PKT4_S6_PT5_21rocsparse_index_base_b,"axG",@progbits,_ZN9rocsparseL41csrmvn_lrb_medium_rows_warp_reduce_kernelILj256ELj64EiifdddEEvbT1_lPT2_S3_jNS_24const_host_device_scalarIT6_EEPKS1_PKS2_PKT3_PKT4_S6_PT5_21rocsparse_index_base_b,comdat
	.globl	_ZN9rocsparseL41csrmvn_lrb_medium_rows_warp_reduce_kernelILj256ELj64EiifdddEEvbT1_lPT2_S3_jNS_24const_host_device_scalarIT6_EEPKS1_PKS2_PKT3_PKT4_S6_PT5_21rocsparse_index_base_b ; -- Begin function _ZN9rocsparseL41csrmvn_lrb_medium_rows_warp_reduce_kernelILj256ELj64EiifdddEEvbT1_lPT2_S3_jNS_24const_host_device_scalarIT6_EEPKS1_PKS2_PKT3_PKT4_S6_PT5_21rocsparse_index_base_b
	.p2align	8
	.type	_ZN9rocsparseL41csrmvn_lrb_medium_rows_warp_reduce_kernelILj256ELj64EiifdddEEvbT1_lPT2_S3_jNS_24const_host_device_scalarIT6_EEPKS1_PKS2_PKT3_PKT4_S6_PT5_21rocsparse_index_base_b,@function
_ZN9rocsparseL41csrmvn_lrb_medium_rows_warp_reduce_kernelILj256ELj64EiifdddEEvbT1_lPT2_S3_jNS_24const_host_device_scalarIT6_EEPKS1_PKS2_PKT3_PKT4_S6_PT5_21rocsparse_index_base_b: ; @_ZN9rocsparseL41csrmvn_lrb_medium_rows_warp_reduce_kernelILj256ELj64EiifdddEEvbT1_lPT2_S3_jNS_24const_host_device_scalarIT6_EEPKS1_PKS2_PKT3_PKT4_S6_PT5_21rocsparse_index_base_b
; %bb.0:
	s_clause 0x2
	s_load_b64 s[8:9], s[0:1], 0x60
	s_load_b64 s[4:5], s[0:1], 0x28
	;; [unrolled: 1-line block ×3, first 2 shown]
	s_waitcnt lgkmcnt(0)
	s_bitcmp1_b32 s9, 0
	v_dual_mov_b32 v6, s5 :: v_dual_mov_b32 v5, s4
	s_cselect_b32 s6, -1, 0
	s_delay_alu instid0(SALU_CYCLE_1)
	s_and_b32 vcc_lo, exec_lo, s6
	s_xor_b32 s6, s6, -1
	s_cbranch_vccnz .LBB173_2
; %bb.1:
	v_dual_mov_b32 v1, s4 :: v_dual_mov_b32 v2, s5
	flat_load_b64 v[5:6], v[1:2]
.LBB173_2:
	v_dual_mov_b32 v1, s2 :: v_dual_mov_b32 v2, s3
	s_and_not1_b32 vcc_lo, exec_lo, s6
	s_cbranch_vccnz .LBB173_4
; %bb.3:
	v_dual_mov_b32 v1, s2 :: v_dual_mov_b32 v2, s3
	flat_load_b64 v[1:2], v[1:2]
.LBB173_4:
	s_waitcnt vmcnt(0) lgkmcnt(0)
	v_cmp_neq_f64_e32 vcc_lo, 0, v[5:6]
	v_cmp_neq_f64_e64 s2, 1.0, v[1:2]
	s_delay_alu instid0(VALU_DEP_1) | instskip(NEXT) | instid1(SALU_CYCLE_1)
	s_or_b32 s2, vcc_lo, s2
	s_and_saveexec_b32 s3, s2
	s_cbranch_execz .LBB173_14
; %bb.5:
	s_load_b64 s[2:3], s[0:1], 0x8
	v_lshrrev_b32_e32 v3, 6, v0
	s_delay_alu instid0(VALU_DEP_1) | instskip(NEXT) | instid1(VALU_DEP_1)
	v_lshl_or_b32 v3, s15, 2, v3
	v_ashrrev_i32_e32 v4, 31, v3
	s_waitcnt lgkmcnt(0)
	s_delay_alu instid0(VALU_DEP_1)
	v_cmp_gt_i64_e32 vcc_lo, s[2:3], v[3:4]
	s_and_b32 exec_lo, exec_lo, vcc_lo
	s_cbranch_execz .LBB173_14
; %bb.6:
	s_clause 0x1
	s_load_b32 s10, s[0:1], 0x20
	s_load_b128 s[4:7], s[0:1], 0x10
	s_mov_b32 s11, 0
	v_and_b32_e32 v0, 63, v0
	s_mov_b32 s9, exec_lo
	s_delay_alu instid0(VALU_DEP_1) | instskip(SKIP_2) | instid1(SALU_CYCLE_1)
	v_subrev_nc_u32_e32 v9, s8, v0
	s_waitcnt lgkmcnt(0)
	s_lshl_b64 s[2:3], s[10:11], 2
	s_add_u32 s2, s6, s2
	s_addc_u32 s3, s7, s3
	s_load_b32 s2, s[2:3], 0x0
	s_waitcnt lgkmcnt(0)
	v_add_nc_u32_e32 v3, s2, v3
	s_load_b64 s[2:3], s[0:1], 0x30
	s_delay_alu instid0(VALU_DEP_1) | instskip(NEXT) | instid1(VALU_DEP_1)
	v_ashrrev_i32_e32 v4, 31, v3
	v_lshlrev_b64 v[3:4], 2, v[3:4]
	s_delay_alu instid0(VALU_DEP_1) | instskip(NEXT) | instid1(VALU_DEP_2)
	v_add_co_u32 v3, vcc_lo, s4, v3
	v_add_co_ci_u32_e32 v4, vcc_lo, s5, v4, vcc_lo
	global_load_b32 v3, v[3:4], off
	s_waitcnt vmcnt(0)
	v_ashrrev_i32_e32 v4, 31, v3
	s_delay_alu instid0(VALU_DEP_1) | instskip(SKIP_1) | instid1(VALU_DEP_1)
	v_lshlrev_b64 v[7:8], 2, v[3:4]
	s_waitcnt lgkmcnt(0)
	v_add_co_u32 v7, vcc_lo, s2, v7
	s_delay_alu instid0(VALU_DEP_2)
	v_add_co_ci_u32_e32 v8, vcc_lo, s3, v8, vcc_lo
	s_load_b64 s[2:3], s[0:1], 0x58
	global_load_b64 v[7:8], v[7:8], off
	s_waitcnt vmcnt(0)
	v_subrev_nc_u32_e32 v11, s8, v8
	v_add_nc_u32_e32 v9, v7, v9
	v_mov_b32_e32 v7, 0
	v_mov_b32_e32 v8, 0
	s_delay_alu instid0(VALU_DEP_3)
	v_cmpx_lt_i32_e64 v9, v11
	s_cbranch_execz .LBB173_10
; %bb.7:
	s_clause 0x1
	s_load_b128 s[4:7], s[0:1], 0x38
	s_load_b64 s[0:1], s[0:1], 0x48
	v_mov_b32_e32 v7, 0
	v_mov_b32_e32 v8, 0
	.p2align	6
.LBB173_8:                              ; =>This Inner Loop Header: Depth=1
	v_ashrrev_i32_e32 v10, 31, v9
	s_delay_alu instid0(VALU_DEP_1) | instskip(SKIP_2) | instid1(VALU_DEP_2)
	v_lshlrev_b64 v[12:13], 2, v[9:10]
	v_add_nc_u32_e32 v9, 64, v9
	s_waitcnt lgkmcnt(0)
	v_add_co_u32 v14, vcc_lo, s4, v12
	s_delay_alu instid0(VALU_DEP_3)
	v_add_co_ci_u32_e32 v15, vcc_lo, s5, v13, vcc_lo
	v_add_co_u32 v12, vcc_lo, s6, v12
	v_add_co_ci_u32_e32 v13, vcc_lo, s7, v13, vcc_lo
	global_load_b32 v10, v[14:15], off
	global_load_b32 v14, v[12:13], off
	s_waitcnt vmcnt(1)
	v_subrev_nc_u32_e32 v12, s8, v10
	s_waitcnt vmcnt(0)
	v_cvt_f64_f32_e32 v[14:15], v14
	s_delay_alu instid0(VALU_DEP_2) | instskip(NEXT) | instid1(VALU_DEP_1)
	v_ashrrev_i32_e32 v13, 31, v12
	v_lshlrev_b64 v[12:13], 3, v[12:13]
	s_delay_alu instid0(VALU_DEP_1) | instskip(NEXT) | instid1(VALU_DEP_2)
	v_add_co_u32 v12, vcc_lo, s0, v12
	v_add_co_ci_u32_e32 v13, vcc_lo, s1, v13, vcc_lo
	v_cmp_ge_i32_e32 vcc_lo, v9, v11
	global_load_b64 v[12:13], v[12:13], off
	s_or_b32 s11, vcc_lo, s11
	v_mul_f64 v[14:15], v[5:6], v[14:15]
	s_waitcnt vmcnt(0)
	s_delay_alu instid0(VALU_DEP_1)
	v_fma_f64 v[7:8], v[14:15], v[12:13], v[7:8]
	s_and_not1_b32 exec_lo, exec_lo, s11
	s_cbranch_execnz .LBB173_8
; %bb.9:
	s_or_b32 exec_lo, exec_lo, s11
.LBB173_10:
	s_delay_alu instid0(SALU_CYCLE_1) | instskip(SKIP_1) | instid1(VALU_DEP_1)
	s_or_b32 exec_lo, exec_lo, s9
	v_mbcnt_lo_u32_b32 v9, -1, 0
	v_or_b32_e32 v5, 32, v9
	s_delay_alu instid0(VALU_DEP_1) | instskip(SKIP_1) | instid1(VALU_DEP_1)
	v_cmp_gt_i32_e32 vcc_lo, 32, v5
	v_cndmask_b32_e32 v5, v9, v5, vcc_lo
	v_lshlrev_b32_e32 v6, 2, v5
	ds_bpermute_b32 v5, v6, v7
	ds_bpermute_b32 v6, v6, v8
	s_waitcnt lgkmcnt(0)
	v_add_f64 v[5:6], v[7:8], v[5:6]
	v_xor_b32_e32 v7, 16, v9
	s_delay_alu instid0(VALU_DEP_1) | instskip(SKIP_1) | instid1(VALU_DEP_1)
	v_cmp_gt_i32_e32 vcc_lo, 32, v7
	v_cndmask_b32_e32 v7, v9, v7, vcc_lo
	v_lshlrev_b32_e32 v8, 2, v7
	ds_bpermute_b32 v7, v8, v5
	ds_bpermute_b32 v8, v8, v6
	s_waitcnt lgkmcnt(0)
	v_add_f64 v[5:6], v[5:6], v[7:8]
	v_xor_b32_e32 v7, 8, v9
	;; [unrolled: 9-line block ×5, first 2 shown]
	s_delay_alu instid0(VALU_DEP_1) | instskip(SKIP_2) | instid1(VALU_DEP_2)
	v_cmp_gt_i32_e32 vcc_lo, 32, v7
	v_cndmask_b32_e32 v7, v9, v7, vcc_lo
	v_cmp_eq_u32_e32 vcc_lo, 63, v0
	v_lshlrev_b32_e32 v8, 2, v7
	ds_bpermute_b32 v7, v8, v5
	ds_bpermute_b32 v8, v8, v6
	s_and_b32 exec_lo, exec_lo, vcc_lo
	s_cbranch_execz .LBB173_14
; %bb.11:
	s_waitcnt lgkmcnt(0)
	v_add_f64 v[5:6], v[5:6], v[7:8]
	v_lshlrev_b64 v[3:4], 3, v[3:4]
	s_mov_b32 s0, exec_lo
	v_cmpx_neq_f64_e32 0, v[1:2]
	s_cbranch_execz .LBB173_13
; %bb.12:
	s_delay_alu instid0(VALU_DEP_2) | instskip(NEXT) | instid1(VALU_DEP_3)
	v_add_co_u32 v7, vcc_lo, s2, v3
	v_add_co_ci_u32_e32 v8, vcc_lo, s3, v4, vcc_lo
	global_load_b64 v[7:8], v[7:8], off
	s_waitcnt vmcnt(0)
	v_fma_f64 v[5:6], v[1:2], v[7:8], v[5:6]
.LBB173_13:
	s_or_b32 exec_lo, exec_lo, s0
	s_delay_alu instid0(VALU_DEP_2)
	v_add_co_u32 v0, vcc_lo, s2, v3
	v_add_co_ci_u32_e32 v1, vcc_lo, s3, v4, vcc_lo
	global_store_b64 v[0:1], v[5:6], off
.LBB173_14:
	s_nop 0
	s_sendmsg sendmsg(MSG_DEALLOC_VGPRS)
	s_endpgm
	.section	.rodata,"a",@progbits
	.p2align	6, 0x0
	.amdhsa_kernel _ZN9rocsparseL41csrmvn_lrb_medium_rows_warp_reduce_kernelILj256ELj64EiifdddEEvbT1_lPT2_S3_jNS_24const_host_device_scalarIT6_EEPKS1_PKS2_PKT3_PKT4_S6_PT5_21rocsparse_index_base_b
		.amdhsa_group_segment_fixed_size 0
		.amdhsa_private_segment_fixed_size 0
		.amdhsa_kernarg_size 104
		.amdhsa_user_sgpr_count 15
		.amdhsa_user_sgpr_dispatch_ptr 0
		.amdhsa_user_sgpr_queue_ptr 0
		.amdhsa_user_sgpr_kernarg_segment_ptr 1
		.amdhsa_user_sgpr_dispatch_id 0
		.amdhsa_user_sgpr_private_segment_size 0
		.amdhsa_wavefront_size32 1
		.amdhsa_uses_dynamic_stack 0
		.amdhsa_enable_private_segment 0
		.amdhsa_system_sgpr_workgroup_id_x 1
		.amdhsa_system_sgpr_workgroup_id_y 0
		.amdhsa_system_sgpr_workgroup_id_z 0
		.amdhsa_system_sgpr_workgroup_info 0
		.amdhsa_system_vgpr_workitem_id 0
		.amdhsa_next_free_vgpr 16
		.amdhsa_next_free_sgpr 16
		.amdhsa_reserve_vcc 1
		.amdhsa_float_round_mode_32 0
		.amdhsa_float_round_mode_16_64 0
		.amdhsa_float_denorm_mode_32 3
		.amdhsa_float_denorm_mode_16_64 3
		.amdhsa_dx10_clamp 1
		.amdhsa_ieee_mode 1
		.amdhsa_fp16_overflow 0
		.amdhsa_workgroup_processor_mode 1
		.amdhsa_memory_ordered 1
		.amdhsa_forward_progress 0
		.amdhsa_shared_vgpr_count 0
		.amdhsa_exception_fp_ieee_invalid_op 0
		.amdhsa_exception_fp_denorm_src 0
		.amdhsa_exception_fp_ieee_div_zero 0
		.amdhsa_exception_fp_ieee_overflow 0
		.amdhsa_exception_fp_ieee_underflow 0
		.amdhsa_exception_fp_ieee_inexact 0
		.amdhsa_exception_int_div_zero 0
	.end_amdhsa_kernel
	.section	.text._ZN9rocsparseL41csrmvn_lrb_medium_rows_warp_reduce_kernelILj256ELj64EiifdddEEvbT1_lPT2_S3_jNS_24const_host_device_scalarIT6_EEPKS1_PKS2_PKT3_PKT4_S6_PT5_21rocsparse_index_base_b,"axG",@progbits,_ZN9rocsparseL41csrmvn_lrb_medium_rows_warp_reduce_kernelILj256ELj64EiifdddEEvbT1_lPT2_S3_jNS_24const_host_device_scalarIT6_EEPKS1_PKS2_PKT3_PKT4_S6_PT5_21rocsparse_index_base_b,comdat
.Lfunc_end173:
	.size	_ZN9rocsparseL41csrmvn_lrb_medium_rows_warp_reduce_kernelILj256ELj64EiifdddEEvbT1_lPT2_S3_jNS_24const_host_device_scalarIT6_EEPKS1_PKS2_PKT3_PKT4_S6_PT5_21rocsparse_index_base_b, .Lfunc_end173-_ZN9rocsparseL41csrmvn_lrb_medium_rows_warp_reduce_kernelILj256ELj64EiifdddEEvbT1_lPT2_S3_jNS_24const_host_device_scalarIT6_EEPKS1_PKS2_PKT3_PKT4_S6_PT5_21rocsparse_index_base_b
                                        ; -- End function
	.section	.AMDGPU.csdata,"",@progbits
; Kernel info:
; codeLenInByte = 1012
; NumSgprs: 18
; NumVgprs: 16
; ScratchSize: 0
; MemoryBound: 0
; FloatMode: 240
; IeeeMode: 1
; LDSByteSize: 0 bytes/workgroup (compile time only)
; SGPRBlocks: 2
; VGPRBlocks: 1
; NumSGPRsForWavesPerEU: 18
; NumVGPRsForWavesPerEU: 16
; Occupancy: 16
; WaveLimiterHint : 1
; COMPUTE_PGM_RSRC2:SCRATCH_EN: 0
; COMPUTE_PGM_RSRC2:USER_SGPR: 15
; COMPUTE_PGM_RSRC2:TRAP_HANDLER: 0
; COMPUTE_PGM_RSRC2:TGID_X_EN: 1
; COMPUTE_PGM_RSRC2:TGID_Y_EN: 0
; COMPUTE_PGM_RSRC2:TGID_Z_EN: 0
; COMPUTE_PGM_RSRC2:TIDIG_COMP_CNT: 0
	.section	.text._ZN9rocsparseL29csrmvn_lrb_medium_rows_kernelILj256EiifdddEEvbT0_PT1_S3_jNS_24const_host_device_scalarIT5_EEPKS1_PKS2_PKT2_PKT3_S6_PT4_21rocsparse_index_base_b,"axG",@progbits,_ZN9rocsparseL29csrmvn_lrb_medium_rows_kernelILj256EiifdddEEvbT0_PT1_S3_jNS_24const_host_device_scalarIT5_EEPKS1_PKS2_PKT2_PKT3_S6_PT4_21rocsparse_index_base_b,comdat
	.globl	_ZN9rocsparseL29csrmvn_lrb_medium_rows_kernelILj256EiifdddEEvbT0_PT1_S3_jNS_24const_host_device_scalarIT5_EEPKS1_PKS2_PKT2_PKT3_S6_PT4_21rocsparse_index_base_b ; -- Begin function _ZN9rocsparseL29csrmvn_lrb_medium_rows_kernelILj256EiifdddEEvbT0_PT1_S3_jNS_24const_host_device_scalarIT5_EEPKS1_PKS2_PKT2_PKT3_S6_PT4_21rocsparse_index_base_b
	.p2align	8
	.type	_ZN9rocsparseL29csrmvn_lrb_medium_rows_kernelILj256EiifdddEEvbT0_PT1_S3_jNS_24const_host_device_scalarIT5_EEPKS1_PKS2_PKT2_PKT3_S6_PT4_21rocsparse_index_base_b,@function
_ZN9rocsparseL29csrmvn_lrb_medium_rows_kernelILj256EiifdddEEvbT0_PT1_S3_jNS_24const_host_device_scalarIT5_EEPKS1_PKS2_PKT2_PKT3_S6_PT4_21rocsparse_index_base_b: ; @_ZN9rocsparseL29csrmvn_lrb_medium_rows_kernelILj256EiifdddEEvbT0_PT1_S3_jNS_24const_host_device_scalarIT5_EEPKS1_PKS2_PKT2_PKT3_S6_PT4_21rocsparse_index_base_b
; %bb.0:
	s_clause 0x2
	s_load_b64 s[10:11], s[0:1], 0x58
	s_load_b64 s[4:5], s[0:1], 0x20
	;; [unrolled: 1-line block ×3, first 2 shown]
	s_waitcnt lgkmcnt(0)
	s_bitcmp1_b32 s11, 0
	v_dual_mov_b32 v3, s4 :: v_dual_mov_b32 v4, s5
	s_cselect_b32 s6, -1, 0
	s_delay_alu instid0(SALU_CYCLE_1)
	s_and_b32 vcc_lo, exec_lo, s6
	s_xor_b32 s6, s6, -1
	s_cbranch_vccnz .LBB174_2
; %bb.1:
	v_dual_mov_b32 v1, s4 :: v_dual_mov_b32 v2, s5
	flat_load_b64 v[3:4], v[1:2]
.LBB174_2:
	v_dual_mov_b32 v1, s2 :: v_dual_mov_b32 v2, s3
	s_and_not1_b32 vcc_lo, exec_lo, s6
	s_cbranch_vccnz .LBB174_4
; %bb.3:
	v_dual_mov_b32 v1, s2 :: v_dual_mov_b32 v2, s3
	flat_load_b64 v[1:2], v[1:2]
.LBB174_4:
	s_waitcnt vmcnt(0) lgkmcnt(0)
	v_cmp_neq_f64_e32 vcc_lo, 0, v[3:4]
	v_cmp_neq_f64_e64 s2, 1.0, v[1:2]
	s_delay_alu instid0(VALU_DEP_1) | instskip(NEXT) | instid1(SALU_CYCLE_1)
	s_or_b32 s2, vcc_lo, s2
	s_and_saveexec_b32 s3, s2
	s_cbranch_execz .LBB174_29
; %bb.5:
	s_clause 0x1
	s_load_b32 s12, s[0:1], 0x18
	s_load_b128 s[4:7], s[0:1], 0x8
	s_mov_b32 s13, 0
	v_subrev_nc_u32_e32 v5, s10, v0
	s_mov_b32 s11, exec_lo
	s_waitcnt lgkmcnt(0)
	s_lshl_b64 s[2:3], s[12:13], 2
	s_delay_alu instid0(SALU_CYCLE_1) | instskip(SKIP_4) | instid1(SALU_CYCLE_1)
	s_add_u32 s2, s6, s2
	s_addc_u32 s3, s7, s3
	s_load_b32 s2, s[2:3], 0x0
	s_waitcnt lgkmcnt(0)
	s_add_i32 s2, s2, s15
	s_ashr_i32 s3, s2, 31
	s_delay_alu instid0(SALU_CYCLE_1) | instskip(NEXT) | instid1(SALU_CYCLE_1)
	s_lshl_b64 s[2:3], s[2:3], 2
	s_add_u32 s2, s4, s2
	s_addc_u32 s3, s5, s3
	s_load_b32 s2, s[2:3], 0x0
	s_load_b64 s[4:5], s[0:1], 0x28
	s_waitcnt lgkmcnt(0)
	s_ashr_i32 s3, s2, 31
	s_delay_alu instid0(SALU_CYCLE_1) | instskip(NEXT) | instid1(SALU_CYCLE_1)
	s_lshl_b64 s[6:7], s[2:3], 2
	s_add_u32 s4, s4, s6
	s_addc_u32 s5, s5, s7
	s_load_b64 s[4:5], s[4:5], 0x0
	s_load_b64 s[8:9], s[0:1], 0x50
	s_waitcnt lgkmcnt(0)
	v_add_nc_u32_e32 v7, s4, v5
	v_mov_b32_e32 v5, 0
	v_mov_b32_e32 v6, 0
	s_sub_i32 s12, s5, s10
	s_delay_alu instid0(VALU_DEP_3) | instid1(SALU_CYCLE_1)
	v_cmpx_gt_i32_e64 s12, v7
	s_cbranch_execz .LBB174_9
; %bb.6:
	s_clause 0x1
	s_load_b128 s[4:7], s[0:1], 0x30
	s_load_b64 s[0:1], s[0:1], 0x40
	v_mov_b32_e32 v5, 0
	v_mov_b32_e32 v6, 0
	s_set_inst_prefetch_distance 0x1
	.p2align	6
.LBB174_7:                              ; =>This Inner Loop Header: Depth=1
	v_ashrrev_i32_e32 v8, 31, v7
	s_delay_alu instid0(VALU_DEP_1) | instskip(SKIP_2) | instid1(VALU_DEP_2)
	v_lshlrev_b64 v[8:9], 2, v[7:8]
	v_add_nc_u32_e32 v7, 0x100, v7
	s_waitcnt lgkmcnt(0)
	v_add_co_u32 v10, vcc_lo, s4, v8
	s_delay_alu instid0(VALU_DEP_3)
	v_add_co_ci_u32_e32 v11, vcc_lo, s5, v9, vcc_lo
	v_add_co_u32 v8, vcc_lo, s6, v8
	v_add_co_ci_u32_e32 v9, vcc_lo, s7, v9, vcc_lo
	global_load_b32 v10, v[10:11], off
	global_load_b32 v11, v[8:9], off
	s_waitcnt vmcnt(1)
	v_subrev_nc_u32_e32 v8, s10, v10
	s_waitcnt vmcnt(0)
	v_cvt_f64_f32_e32 v[10:11], v11
	s_delay_alu instid0(VALU_DEP_2) | instskip(NEXT) | instid1(VALU_DEP_1)
	v_ashrrev_i32_e32 v9, 31, v8
	v_lshlrev_b64 v[8:9], 3, v[8:9]
	s_delay_alu instid0(VALU_DEP_1) | instskip(NEXT) | instid1(VALU_DEP_2)
	v_add_co_u32 v8, vcc_lo, s0, v8
	v_add_co_ci_u32_e32 v9, vcc_lo, s1, v9, vcc_lo
	v_cmp_le_i32_e32 vcc_lo, s12, v7
	global_load_b64 v[8:9], v[8:9], off
	s_or_b32 s13, vcc_lo, s13
	v_mul_f64 v[10:11], v[3:4], v[10:11]
	s_waitcnt vmcnt(0)
	s_delay_alu instid0(VALU_DEP_1)
	v_fma_f64 v[5:6], v[10:11], v[8:9], v[5:6]
	s_and_not1_b32 exec_lo, exec_lo, s13
	s_cbranch_execnz .LBB174_7
; %bb.8:
	s_set_inst_prefetch_distance 0x2
	s_or_b32 exec_lo, exec_lo, s13
.LBB174_9:
	s_delay_alu instid0(SALU_CYCLE_1)
	s_or_b32 exec_lo, exec_lo, s11
	v_lshlrev_b32_e32 v3, 3, v0
	s_mov_b32 s0, exec_lo
	ds_store_b64 v3, v[5:6]
	s_waitcnt lgkmcnt(0)
	s_barrier
	buffer_gl0_inv
	v_cmpx_gt_u32_e32 0x80, v0
	s_cbranch_execz .LBB174_11
; %bb.10:
	ds_load_2addr_stride64_b64 v[4:7], v3 offset1:2
	s_waitcnt lgkmcnt(0)
	v_add_f64 v[4:5], v[4:5], v[6:7]
	ds_store_b64 v3, v[4:5]
.LBB174_11:
	s_or_b32 exec_lo, exec_lo, s0
	s_delay_alu instid0(SALU_CYCLE_1)
	s_mov_b32 s0, exec_lo
	s_waitcnt lgkmcnt(0)
	s_barrier
	buffer_gl0_inv
	v_cmpx_gt_u32_e32 64, v0
	s_cbranch_execz .LBB174_13
; %bb.12:
	ds_load_2addr_stride64_b64 v[4:7], v3 offset1:1
	s_waitcnt lgkmcnt(0)
	v_add_f64 v[4:5], v[4:5], v[6:7]
	ds_store_b64 v3, v[4:5]
.LBB174_13:
	s_or_b32 exec_lo, exec_lo, s0
	s_delay_alu instid0(SALU_CYCLE_1)
	s_mov_b32 s0, exec_lo
	s_waitcnt lgkmcnt(0)
	s_barrier
	buffer_gl0_inv
	v_cmpx_gt_u32_e32 32, v0
	s_cbranch_execz .LBB174_15
; %bb.14:
	ds_load_2addr_b64 v[4:7], v3 offset1:32
	s_waitcnt lgkmcnt(0)
	v_add_f64 v[4:5], v[4:5], v[6:7]
	ds_store_b64 v3, v[4:5]
.LBB174_15:
	s_or_b32 exec_lo, exec_lo, s0
	s_delay_alu instid0(SALU_CYCLE_1)
	s_mov_b32 s0, exec_lo
	s_waitcnt lgkmcnt(0)
	s_barrier
	buffer_gl0_inv
	v_cmpx_gt_u32_e32 16, v0
	s_cbranch_execz .LBB174_17
; %bb.16:
	ds_load_2addr_b64 v[4:7], v3 offset1:16
	s_waitcnt lgkmcnt(0)
	v_add_f64 v[4:5], v[4:5], v[6:7]
	ds_store_b64 v3, v[4:5]
.LBB174_17:
	;; [unrolled: 14-line block ×5, first 2 shown]
	s_or_b32 exec_lo, exec_lo, s0
	v_cmp_eq_u32_e32 vcc_lo, 0, v0
	s_waitcnt lgkmcnt(0)
	s_barrier
	buffer_gl0_inv
	s_and_saveexec_b32 s0, vcc_lo
	s_cbranch_execz .LBB174_25
; %bb.24:
	v_mov_b32_e32 v0, 0
	ds_load_b128 v[3:6], v0
	s_waitcnt lgkmcnt(0)
	v_add_f64 v[3:4], v[3:4], v[5:6]
	ds_store_b64 v0, v[3:4]
.LBB174_25:
	s_or_b32 exec_lo, exec_lo, s0
	s_waitcnt lgkmcnt(0)
	s_barrier
	buffer_gl0_inv
	s_and_b32 exec_lo, exec_lo, vcc_lo
	s_cbranch_execz .LBB174_29
; %bb.26:
	v_mov_b32_e32 v0, 0
	s_mov_b32 s0, exec_lo
	ds_load_b64 v[3:4], v0
	v_cmpx_neq_f64_e32 0, v[1:2]
	s_cbranch_execz .LBB174_28
; %bb.27:
	s_lshl_b64 s[4:5], s[2:3], 3
	s_delay_alu instid0(SALU_CYCLE_1)
	s_add_u32 s4, s8, s4
	s_addc_u32 s5, s9, s5
	s_load_b64 s[4:5], s[4:5], 0x0
	s_waitcnt lgkmcnt(0)
	v_fma_f64 v[3:4], v[1:2], s[4:5], v[3:4]
.LBB174_28:
	s_or_b32 exec_lo, exec_lo, s0
	s_lshl_b64 s[0:1], s[2:3], 3
	s_delay_alu instid0(SALU_CYCLE_1)
	s_add_u32 s0, s8, s0
	s_addc_u32 s1, s9, s1
	s_waitcnt lgkmcnt(0)
	global_store_b64 v0, v[3:4], s[0:1]
.LBB174_29:
	s_nop 0
	s_sendmsg sendmsg(MSG_DEALLOC_VGPRS)
	s_endpgm
	.section	.rodata,"a",@progbits
	.p2align	6, 0x0
	.amdhsa_kernel _ZN9rocsparseL29csrmvn_lrb_medium_rows_kernelILj256EiifdddEEvbT0_PT1_S3_jNS_24const_host_device_scalarIT5_EEPKS1_PKS2_PKT2_PKT3_S6_PT4_21rocsparse_index_base_b
		.amdhsa_group_segment_fixed_size 2048
		.amdhsa_private_segment_fixed_size 0
		.amdhsa_kernarg_size 96
		.amdhsa_user_sgpr_count 15
		.amdhsa_user_sgpr_dispatch_ptr 0
		.amdhsa_user_sgpr_queue_ptr 0
		.amdhsa_user_sgpr_kernarg_segment_ptr 1
		.amdhsa_user_sgpr_dispatch_id 0
		.amdhsa_user_sgpr_private_segment_size 0
		.amdhsa_wavefront_size32 1
		.amdhsa_uses_dynamic_stack 0
		.amdhsa_enable_private_segment 0
		.amdhsa_system_sgpr_workgroup_id_x 1
		.amdhsa_system_sgpr_workgroup_id_y 0
		.amdhsa_system_sgpr_workgroup_id_z 0
		.amdhsa_system_sgpr_workgroup_info 0
		.amdhsa_system_vgpr_workitem_id 0
		.amdhsa_next_free_vgpr 12
		.amdhsa_next_free_sgpr 16
		.amdhsa_reserve_vcc 1
		.amdhsa_float_round_mode_32 0
		.amdhsa_float_round_mode_16_64 0
		.amdhsa_float_denorm_mode_32 3
		.amdhsa_float_denorm_mode_16_64 3
		.amdhsa_dx10_clamp 1
		.amdhsa_ieee_mode 1
		.amdhsa_fp16_overflow 0
		.amdhsa_workgroup_processor_mode 1
		.amdhsa_memory_ordered 1
		.amdhsa_forward_progress 0
		.amdhsa_shared_vgpr_count 0
		.amdhsa_exception_fp_ieee_invalid_op 0
		.amdhsa_exception_fp_denorm_src 0
		.amdhsa_exception_fp_ieee_div_zero 0
		.amdhsa_exception_fp_ieee_overflow 0
		.amdhsa_exception_fp_ieee_underflow 0
		.amdhsa_exception_fp_ieee_inexact 0
		.amdhsa_exception_int_div_zero 0
	.end_amdhsa_kernel
	.section	.text._ZN9rocsparseL29csrmvn_lrb_medium_rows_kernelILj256EiifdddEEvbT0_PT1_S3_jNS_24const_host_device_scalarIT5_EEPKS1_PKS2_PKT2_PKT3_S6_PT4_21rocsparse_index_base_b,"axG",@progbits,_ZN9rocsparseL29csrmvn_lrb_medium_rows_kernelILj256EiifdddEEvbT0_PT1_S3_jNS_24const_host_device_scalarIT5_EEPKS1_PKS2_PKT2_PKT3_S6_PT4_21rocsparse_index_base_b,comdat
.Lfunc_end174:
	.size	_ZN9rocsparseL29csrmvn_lrb_medium_rows_kernelILj256EiifdddEEvbT0_PT1_S3_jNS_24const_host_device_scalarIT5_EEPKS1_PKS2_PKT2_PKT3_S6_PT4_21rocsparse_index_base_b, .Lfunc_end174-_ZN9rocsparseL29csrmvn_lrb_medium_rows_kernelILj256EiifdddEEvbT0_PT1_S3_jNS_24const_host_device_scalarIT5_EEPKS1_PKS2_PKT2_PKT3_S6_PT4_21rocsparse_index_base_b
                                        ; -- End function
	.section	.AMDGPU.csdata,"",@progbits
; Kernel info:
; codeLenInByte = 1192
; NumSgprs: 18
; NumVgprs: 12
; ScratchSize: 0
; MemoryBound: 0
; FloatMode: 240
; IeeeMode: 1
; LDSByteSize: 2048 bytes/workgroup (compile time only)
; SGPRBlocks: 2
; VGPRBlocks: 1
; NumSGPRsForWavesPerEU: 18
; NumVGPRsForWavesPerEU: 12
; Occupancy: 16
; WaveLimiterHint : 1
; COMPUTE_PGM_RSRC2:SCRATCH_EN: 0
; COMPUTE_PGM_RSRC2:USER_SGPR: 15
; COMPUTE_PGM_RSRC2:TRAP_HANDLER: 0
; COMPUTE_PGM_RSRC2:TGID_X_EN: 1
; COMPUTE_PGM_RSRC2:TGID_Y_EN: 0
; COMPUTE_PGM_RSRC2:TGID_Z_EN: 0
; COMPUTE_PGM_RSRC2:TIDIG_COMP_CNT: 0
	.section	.text._ZN9rocsparseL27csrmvn_lrb_long_rows_kernelIiifdddEEvbT_PjPT0_S4_jNS_24const_host_device_scalarIT4_EEPKS1_PKS3_PKT1_PKT2_S7_PT3_21rocsparse_index_base_b,"axG",@progbits,_ZN9rocsparseL27csrmvn_lrb_long_rows_kernelIiifdddEEvbT_PjPT0_S4_jNS_24const_host_device_scalarIT4_EEPKS1_PKS3_PKT1_PKT2_S7_PT3_21rocsparse_index_base_b,comdat
	.globl	_ZN9rocsparseL27csrmvn_lrb_long_rows_kernelIiifdddEEvbT_PjPT0_S4_jNS_24const_host_device_scalarIT4_EEPKS1_PKS3_PKT1_PKT2_S7_PT3_21rocsparse_index_base_b ; -- Begin function _ZN9rocsparseL27csrmvn_lrb_long_rows_kernelIiifdddEEvbT_PjPT0_S4_jNS_24const_host_device_scalarIT4_EEPKS1_PKS3_PKT1_PKT2_S7_PT3_21rocsparse_index_base_b
	.p2align	8
	.type	_ZN9rocsparseL27csrmvn_lrb_long_rows_kernelIiifdddEEvbT_PjPT0_S4_jNS_24const_host_device_scalarIT4_EEPKS1_PKS3_PKT1_PKT2_S7_PT3_21rocsparse_index_base_b,@function
_ZN9rocsparseL27csrmvn_lrb_long_rows_kernelIiifdddEEvbT_PjPT0_S4_jNS_24const_host_device_scalarIT4_EEPKS1_PKS3_PKT1_PKT2_S7_PT3_21rocsparse_index_base_b: ; @_ZN9rocsparseL27csrmvn_lrb_long_rows_kernelIiifdddEEvbT_PjPT0_S4_jNS_24const_host_device_scalarIT4_EEPKS1_PKS3_PKT1_PKT2_S7_PT3_21rocsparse_index_base_b
; %bb.0:
	s_mov_b32 s8, s15
	s_clause 0x2
	s_load_b64 s[14:15], s[0:1], 0x60
	s_load_b64 s[4:5], s[0:1], 0x28
	;; [unrolled: 1-line block ×3, first 2 shown]
	s_waitcnt lgkmcnt(0)
	s_bitcmp1_b32 s15, 0
	v_dual_mov_b32 v1, s4 :: v_dual_mov_b32 v2, s5
	s_cselect_b32 s6, -1, 0
	s_delay_alu instid0(SALU_CYCLE_1)
	s_and_b32 vcc_lo, exec_lo, s6
	s_xor_b32 s6, s6, -1
	s_cbranch_vccnz .LBB175_2
; %bb.1:
	v_dual_mov_b32 v1, s4 :: v_dual_mov_b32 v2, s5
	flat_load_b64 v[1:2], v[1:2]
.LBB175_2:
	v_dual_mov_b32 v4, s3 :: v_dual_mov_b32 v3, s2
	s_and_not1_b32 vcc_lo, exec_lo, s6
	s_cbranch_vccnz .LBB175_4
; %bb.3:
	v_dual_mov_b32 v4, s3 :: v_dual_mov_b32 v3, s2
	flat_load_b64 v[3:4], v[3:4]
.LBB175_4:
	s_waitcnt vmcnt(0) lgkmcnt(0)
	v_cmp_neq_f64_e32 vcc_lo, 0, v[1:2]
	v_cmp_neq_f64_e64 s2, 1.0, v[3:4]
	s_delay_alu instid0(VALU_DEP_1) | instskip(NEXT) | instid1(SALU_CYCLE_1)
	s_or_b32 s2, vcc_lo, s2
	s_and_saveexec_b32 s3, s2
	s_cbranch_execz .LBB175_39
; %bb.5:
	s_clause 0x1
	s_load_b32 s2, s[0:1], 0x20
	s_load_b64 s[4:5], s[0:1], 0x18
	s_mov_b32 s3, 0
	s_mov_b32 s19, exec_lo
	s_waitcnt lgkmcnt(0)
	s_lshl_b64 s[6:7], s[2:3], 2
	s_delay_alu instid0(SALU_CYCLE_1)
	s_add_u32 s4, s4, s6
	s_addc_u32 s5, s5, s7
	s_lshl_b32 s2, -1, s2
	s_load_b32 s10, s[4:5], 0x0
	s_not_b32 s2, s2
	s_load_b128 s[4:7], s[0:1], 0x8
	s_mul_hi_u32 s2, s2, 0x2aaaaaab
	s_delay_alu instid0(SALU_CYCLE_1) | instskip(NEXT) | instid1(SALU_CYCLE_1)
	s_lshr_b32 s2, s2, 7
	s_add_i32 s9, s2, 1
	s_not_b32 s2, s2
	v_cvt_f32_u32_e32 v5, s9
	s_delay_alu instid0(VALU_DEP_1) | instskip(SKIP_2) | instid1(VALU_DEP_1)
	v_rcp_iflag_f32_e32 v5, v5
	s_waitcnt_depctr 0xfff
	v_mul_f32_e32 v5, 0x4f7ffffe, v5
	v_cvt_u32_f32_e32 v5, v5
	s_delay_alu instid0(VALU_DEP_1) | instskip(SKIP_2) | instid1(VALU_DEP_3)
	v_readfirstlane_b32 s3, v5
	v_mov_b32_e32 v5, 0
	v_mov_b32_e32 v6, 0
	s_mul_i32 s2, s2, s3
	s_delay_alu instid0(SALU_CYCLE_1) | instskip(NEXT) | instid1(SALU_CYCLE_1)
	s_mul_hi_u32 s2, s3, s2
	s_add_i32 s3, s3, s2
	s_delay_alu instid0(SALU_CYCLE_1) | instskip(NEXT) | instid1(SALU_CYCLE_1)
	s_mul_hi_u32 s2, s8, s3
	s_mul_i32 s3, s2, s9
	s_add_i32 s11, s2, 1
	s_sub_i32 s3, s8, s3
	s_delay_alu instid0(SALU_CYCLE_1)
	s_sub_i32 s12, s3, s9
	s_cmp_ge_u32 s3, s9
	s_cselect_b32 s2, s11, s2
	s_cselect_b32 s3, s12, s3
	s_add_i32 s11, s2, 1
	s_cmp_ge_u32 s3, s9
	s_cselect_b32 s11, s11, s2
	s_waitcnt lgkmcnt(0)
	s_add_i32 s2, s11, s10
	s_mul_i32 s12, s11, s9
	s_ashr_i32 s3, s2, 31
	s_sub_i32 s18, s8, s12
	s_lshl_b64 s[2:3], s[2:3], 2
	v_or_b32_e32 v7, s18, v0
	s_add_u32 s2, s6, s2
	s_addc_u32 s3, s7, s3
	s_load_b32 s6, s[2:3], 0x0
	s_load_b64 s[2:3], s[0:1], 0x30
	s_waitcnt lgkmcnt(0)
	s_ashr_i32 s7, s6, 31
	s_delay_alu instid0(SALU_CYCLE_1) | instskip(NEXT) | instid1(SALU_CYCLE_1)
	s_lshl_b64 s[10:11], s[6:7], 2
	s_add_u32 s2, s2, s10
	s_addc_u32 s3, s3, s11
	s_ashr_i32 s9, s8, 31
	s_delay_alu instid0(SALU_CYCLE_1)
	s_lshl_b64 s[10:11], s[8:9], 2
	s_load_b64 s[8:9], s[0:1], 0x58
	s_add_u32 s10, s4, s10
	s_addc_u32 s11, s5, s11
	s_load_b64 s[2:3], s[2:3], 0x0
	s_load_b32 s15, s[10:11], 0x0
	v_cmpx_eq_u32_e32 0, v7
	s_cbranch_execz .LBB175_9
; %bb.6:
	v_add_f64 v[3:4], v[3:4], -1.0
	s_lshl_b64 s[16:17], s[6:7], 3
	s_mov_b32 s20, exec_lo
	s_waitcnt lgkmcnt(0)
	s_add_u32 s16, s8, s16
	s_addc_u32 s17, s9, s17
	v_mbcnt_lo_u32_b32 v5, s20, 0
	s_load_b64 s[16:17], s[16:17], 0x0
	s_mov_b32 s21, exec_lo
	s_waitcnt vmcnt(0) expcnt(0) lgkmcnt(0)
	s_delay_alu instid0(VALU_DEP_1)
	v_cmpx_eq_u32_e32 0, v5
	s_cbranch_execz .LBB175_8
; %bb.7:
	s_ashr_i32 s13, s12, 31
	s_delay_alu instid0(SALU_CYCLE_1) | instskip(NEXT) | instid1(SALU_CYCLE_1)
	s_lshl_b64 s[22:23], s[12:13], 2
	s_add_u32 s22, s4, s22
	s_addc_u32 s23, s5, s23
	s_bcnt1_i32_b32 s13, s20
	s_delay_alu instid0(SALU_CYCLE_1) | instskip(NEXT) | instid1(SALU_CYCLE_1)
	s_and_b32 s13, s13, 1
	v_dual_mov_b32 v5, 0 :: v_dual_mov_b32 v6, s13
	global_atomic_xor_b32 v5, v6, s[22:23]
.LBB175_8:
	s_or_b32 exec_lo, exec_lo, s21
	s_delay_alu instid0(VALU_DEP_3)
	v_mul_f64 v[5:6], v[3:4], s[16:17]
.LBB175_9:
	s_or_b32 exec_lo, exec_lo, s19
	s_mul_i32 s13, s18, 0x300
	s_waitcnt lgkmcnt(0)
	s_sub_i32 s3, s3, s14
	s_sub_i32 s13, s13, s14
	s_delay_alu instid0(SALU_CYCLE_1) | instskip(SKIP_3) | instid1(SALU_CYCLE_1)
	s_add_i32 s2, s13, s2
	s_mov_b32 s13, exec_lo
	v_add_nc_u32_e32 v3, s2, v0
	s_addk_i32 s2, 0x300
	s_min_i32 s19, s2, s3
	s_delay_alu instid0(VALU_DEP_1) | instid1(SALU_CYCLE_1)
	v_cmpx_gt_i32_e64 s19, v3
	s_cbranch_execz .LBB175_13
; %bb.10:
	s_clause 0x1
	s_load_b64 s[16:17], s[0:1], 0x48
	s_load_b128 s[0:3], s[0:1], 0x38
	s_mov_b32 s20, 0
	s_set_inst_prefetch_distance 0x1
	.p2align	6
.LBB175_11:                             ; =>This Inner Loop Header: Depth=1
	v_ashrrev_i32_e32 v4, 31, v3
	s_delay_alu instid0(VALU_DEP_1) | instskip(SKIP_2) | instid1(VALU_DEP_2)
	v_lshlrev_b64 v[7:8], 2, v[3:4]
	v_add_nc_u32_e32 v3, 0x100, v3
	s_waitcnt lgkmcnt(0)
	v_add_co_u32 v9, vcc_lo, s0, v7
	s_delay_alu instid0(VALU_DEP_3)
	v_add_co_ci_u32_e32 v10, vcc_lo, s1, v8, vcc_lo
	v_add_co_u32 v7, vcc_lo, s2, v7
	v_add_co_ci_u32_e32 v8, vcc_lo, s3, v8, vcc_lo
	global_load_b32 v4, v[9:10], off
	global_load_b32 v9, v[7:8], off
	s_waitcnt vmcnt(1)
	v_subrev_nc_u32_e32 v7, s14, v4
	s_waitcnt vmcnt(0)
	v_cvt_f64_f32_e32 v[9:10], v9
	s_delay_alu instid0(VALU_DEP_2) | instskip(NEXT) | instid1(VALU_DEP_1)
	v_ashrrev_i32_e32 v8, 31, v7
	v_lshlrev_b64 v[7:8], 3, v[7:8]
	s_delay_alu instid0(VALU_DEP_1) | instskip(NEXT) | instid1(VALU_DEP_2)
	v_add_co_u32 v7, vcc_lo, s16, v7
	v_add_co_ci_u32_e32 v8, vcc_lo, s17, v8, vcc_lo
	v_cmp_le_i32_e32 vcc_lo, s19, v3
	global_load_b64 v[7:8], v[7:8], off
	s_or_b32 s20, vcc_lo, s20
	v_mul_f64 v[9:10], v[1:2], v[9:10]
	s_waitcnt vmcnt(0)
	s_delay_alu instid0(VALU_DEP_1)
	v_fma_f64 v[5:6], v[9:10], v[7:8], v[5:6]
	s_and_not1_b32 exec_lo, exec_lo, s20
	s_cbranch_execnz .LBB175_11
; %bb.12:
	s_set_inst_prefetch_distance 0x2
	s_or_b32 exec_lo, exec_lo, s20
.LBB175_13:
	s_delay_alu instid0(SALU_CYCLE_1)
	s_or_b32 exec_lo, exec_lo, s13
	v_lshlrev_b32_e32 v1, 3, v0
	s_mov_b32 s0, exec_lo
	ds_store_b64 v1, v[5:6]
	s_waitcnt lgkmcnt(0)
	s_waitcnt_vscnt null, 0x0
	s_barrier
	buffer_gl0_inv
	v_cmpx_gt_u32_e32 0x80, v0
	s_cbranch_execz .LBB175_15
; %bb.14:
	ds_load_2addr_stride64_b64 v[2:5], v1 offset1:2
	s_waitcnt lgkmcnt(0)
	v_add_f64 v[2:3], v[2:3], v[4:5]
	ds_store_b64 v1, v[2:3]
.LBB175_15:
	s_or_b32 exec_lo, exec_lo, s0
	s_delay_alu instid0(SALU_CYCLE_1)
	s_mov_b32 s0, exec_lo
	s_waitcnt lgkmcnt(0)
	s_barrier
	buffer_gl0_inv
	v_cmpx_gt_u32_e32 64, v0
	s_cbranch_execz .LBB175_17
; %bb.16:
	ds_load_2addr_stride64_b64 v[2:5], v1 offset1:1
	s_waitcnt lgkmcnt(0)
	v_add_f64 v[2:3], v[2:3], v[4:5]
	ds_store_b64 v1, v[2:3]
.LBB175_17:
	s_or_b32 exec_lo, exec_lo, s0
	s_delay_alu instid0(SALU_CYCLE_1)
	s_mov_b32 s0, exec_lo
	s_waitcnt lgkmcnt(0)
	s_barrier
	buffer_gl0_inv
	v_cmpx_gt_u32_e32 32, v0
	s_cbranch_execz .LBB175_19
; %bb.18:
	ds_load_2addr_b64 v[2:5], v1 offset1:32
	s_waitcnt lgkmcnt(0)
	v_add_f64 v[2:3], v[2:3], v[4:5]
	ds_store_b64 v1, v[2:3]
.LBB175_19:
	s_or_b32 exec_lo, exec_lo, s0
	s_delay_alu instid0(SALU_CYCLE_1)
	s_mov_b32 s0, exec_lo
	s_waitcnt lgkmcnt(0)
	s_barrier
	buffer_gl0_inv
	v_cmpx_gt_u32_e32 16, v0
	s_cbranch_execz .LBB175_21
; %bb.20:
	ds_load_2addr_b64 v[2:5], v1 offset1:16
	s_waitcnt lgkmcnt(0)
	v_add_f64 v[2:3], v[2:3], v[4:5]
	ds_store_b64 v1, v[2:3]
.LBB175_21:
	;; [unrolled: 14-line block ×5, first 2 shown]
	s_or_b32 exec_lo, exec_lo, s0
	v_cmp_eq_u32_e32 vcc_lo, 0, v0
	s_waitcnt lgkmcnt(0)
	s_barrier
	buffer_gl0_inv
	s_and_saveexec_b32 s0, vcc_lo
	s_cbranch_execz .LBB175_29
; %bb.28:
	v_mov_b32_e32 v4, 0
	ds_load_b128 v[0:3], v4
	s_waitcnt lgkmcnt(0)
	v_add_f64 v[0:1], v[0:1], v[2:3]
	ds_store_b64 v4, v[0:1]
.LBB175_29:
	s_or_b32 exec_lo, exec_lo, s0
	s_waitcnt lgkmcnt(0)
	s_barrier
	buffer_gl0_inv
	s_and_b32 exec_lo, exec_lo, vcc_lo
	s_cbranch_execz .LBB175_39
; %bb.30:
	s_cmp_eq_u32 s18, 0
	s_cbranch_scc1 .LBB175_36
; %bb.31:
	s_ashr_i32 s13, s12, 31
	v_mov_b32_e32 v0, 0
	s_lshl_b64 s[0:1], s[12:13], 2
	s_delay_alu instid0(SALU_CYCLE_1)
	s_add_u32 s0, s4, s0
	s_addc_u32 s1, s5, s1
	s_branch .LBB175_33
.LBB175_32:                             ;   in Loop: Header=BB175_33 Depth=1
	s_or_b32 exec_lo, exec_lo, s2
	s_waitcnt vmcnt(0)
	v_readfirstlane_b32 s2, v1
	s_delay_alu instid0(VALU_DEP_1)
	s_cmp_eq_u32 s2, s15
	s_cbranch_scc0 .LBB175_35
.LBB175_33:                             ; =>This Inner Loop Header: Depth=1
	v_mbcnt_lo_u32_b32 v1, exec_lo, 0
	s_delay_alu instid0(VALU_DEP_1)
	v_cmp_eq_u32_e32 vcc_lo, 0, v1
                                        ; implicit-def: $vgpr1
	s_and_saveexec_b32 s2, vcc_lo
	s_cbranch_execz .LBB175_32
; %bb.34:                               ;   in Loop: Header=BB175_33 Depth=1
	global_load_b32 v1, v0, s[0:1] glc
	s_branch .LBB175_32
.LBB175_35:
	v_mov_b32_e32 v0, 0
	global_load_b32 v1, v0, s[10:11]
	s_waitcnt vmcnt(0)
	v_xor_b32_e32 v1, 1, v1
	global_store_b32 v0, v1, s[10:11]
.LBB175_36:
	s_mov_b32 s2, exec_lo
	s_delay_alu instid0(SALU_CYCLE_1) | instskip(NEXT) | instid1(VALU_DEP_1)
	v_mbcnt_lo_u32_b32 v0, s2, 0
	v_cmp_eq_u32_e32 vcc_lo, 0, v0
	s_and_b32 s0, exec_lo, vcc_lo
	s_delay_alu instid0(SALU_CYCLE_1)
	s_mov_b32 exec_lo, s0
	s_cbranch_execz .LBB175_39
; %bb.37:
	s_lshl_b64 s[0:1], s[6:7], 3
	v_mov_b32_e32 v6, 0
	s_add_u32 s0, s8, s0
	s_addc_u32 s1, s9, s1
	s_bcnt1_i32_b32 s2, s2
	global_load_b64 v[2:3], v6, s[0:1]
	ds_load_b64 v[4:5], v6
	v_cvt_f64_u32_e32 v[0:1], s2
	s_mov_b32 s2, 0
	s_waitcnt lgkmcnt(0)
	s_delay_alu instid0(VALU_DEP_1)
	v_mul_f64 v[4:5], v[4:5], v[0:1]
.LBB175_38:                             ; =>This Inner Loop Header: Depth=1
	s_waitcnt vmcnt(0)
	s_delay_alu instid0(VALU_DEP_1)
	v_add_f64 v[0:1], v[2:3], v[4:5]
	global_atomic_cmpswap_b64 v[0:1], v6, v[0:3], s[0:1] glc
	s_waitcnt vmcnt(0)
	v_cmp_eq_u64_e32 vcc_lo, v[0:1], v[2:3]
	v_dual_mov_b32 v3, v1 :: v_dual_mov_b32 v2, v0
	s_or_b32 s2, vcc_lo, s2
	s_delay_alu instid0(SALU_CYCLE_1)
	s_and_not1_b32 exec_lo, exec_lo, s2
	s_cbranch_execnz .LBB175_38
.LBB175_39:
	s_nop 0
	s_sendmsg sendmsg(MSG_DEALLOC_VGPRS)
	s_endpgm
	.section	.rodata,"a",@progbits
	.p2align	6, 0x0
	.amdhsa_kernel _ZN9rocsparseL27csrmvn_lrb_long_rows_kernelIiifdddEEvbT_PjPT0_S4_jNS_24const_host_device_scalarIT4_EEPKS1_PKS3_PKT1_PKT2_S7_PT3_21rocsparse_index_base_b
		.amdhsa_group_segment_fixed_size 2048
		.amdhsa_private_segment_fixed_size 0
		.amdhsa_kernarg_size 104
		.amdhsa_user_sgpr_count 15
		.amdhsa_user_sgpr_dispatch_ptr 0
		.amdhsa_user_sgpr_queue_ptr 0
		.amdhsa_user_sgpr_kernarg_segment_ptr 1
		.amdhsa_user_sgpr_dispatch_id 0
		.amdhsa_user_sgpr_private_segment_size 0
		.amdhsa_wavefront_size32 1
		.amdhsa_uses_dynamic_stack 0
		.amdhsa_enable_private_segment 0
		.amdhsa_system_sgpr_workgroup_id_x 1
		.amdhsa_system_sgpr_workgroup_id_y 0
		.amdhsa_system_sgpr_workgroup_id_z 0
		.amdhsa_system_sgpr_workgroup_info 0
		.amdhsa_system_vgpr_workitem_id 0
		.amdhsa_next_free_vgpr 11
		.amdhsa_next_free_sgpr 24
		.amdhsa_reserve_vcc 1
		.amdhsa_float_round_mode_32 0
		.amdhsa_float_round_mode_16_64 0
		.amdhsa_float_denorm_mode_32 3
		.amdhsa_float_denorm_mode_16_64 3
		.amdhsa_dx10_clamp 1
		.amdhsa_ieee_mode 1
		.amdhsa_fp16_overflow 0
		.amdhsa_workgroup_processor_mode 1
		.amdhsa_memory_ordered 1
		.amdhsa_forward_progress 0
		.amdhsa_shared_vgpr_count 0
		.amdhsa_exception_fp_ieee_invalid_op 0
		.amdhsa_exception_fp_denorm_src 0
		.amdhsa_exception_fp_ieee_div_zero 0
		.amdhsa_exception_fp_ieee_overflow 0
		.amdhsa_exception_fp_ieee_underflow 0
		.amdhsa_exception_fp_ieee_inexact 0
		.amdhsa_exception_int_div_zero 0
	.end_amdhsa_kernel
	.section	.text._ZN9rocsparseL27csrmvn_lrb_long_rows_kernelIiifdddEEvbT_PjPT0_S4_jNS_24const_host_device_scalarIT4_EEPKS1_PKS3_PKT1_PKT2_S7_PT3_21rocsparse_index_base_b,"axG",@progbits,_ZN9rocsparseL27csrmvn_lrb_long_rows_kernelIiifdddEEvbT_PjPT0_S4_jNS_24const_host_device_scalarIT4_EEPKS1_PKS3_PKT1_PKT2_S7_PT3_21rocsparse_index_base_b,comdat
.Lfunc_end175:
	.size	_ZN9rocsparseL27csrmvn_lrb_long_rows_kernelIiifdddEEvbT_PjPT0_S4_jNS_24const_host_device_scalarIT4_EEPKS1_PKS3_PKT1_PKT2_S7_PT3_21rocsparse_index_base_b, .Lfunc_end175-_ZN9rocsparseL27csrmvn_lrb_long_rows_kernelIiifdddEEvbT_PjPT0_S4_jNS_24const_host_device_scalarIT4_EEPKS1_PKS3_PKT1_PKT2_S7_PT3_21rocsparse_index_base_b
                                        ; -- End function
	.section	.AMDGPU.csdata,"",@progbits
; Kernel info:
; codeLenInByte = 1728
; NumSgprs: 26
; NumVgprs: 11
; ScratchSize: 0
; MemoryBound: 0
; FloatMode: 240
; IeeeMode: 1
; LDSByteSize: 2048 bytes/workgroup (compile time only)
; SGPRBlocks: 3
; VGPRBlocks: 1
; NumSGPRsForWavesPerEU: 26
; NumVGPRsForWavesPerEU: 11
; Occupancy: 16
; WaveLimiterHint : 1
; COMPUTE_PGM_RSRC2:SCRATCH_EN: 0
; COMPUTE_PGM_RSRC2:USER_SGPR: 15
; COMPUTE_PGM_RSRC2:TRAP_HANDLER: 0
; COMPUTE_PGM_RSRC2:TGID_X_EN: 1
; COMPUTE_PGM_RSRC2:TGID_Y_EN: 0
; COMPUTE_PGM_RSRC2:TGID_Z_EN: 0
; COMPUTE_PGM_RSRC2:TIDIG_COMP_CNT: 0
	.section	.text._ZN9rocsparseL28csrmvn_lrb_short_rows_kernelIlifdddEEvbT_PT0_S3_jNS_24const_host_device_scalarIT4_EEPKS1_PKS2_PKT1_PKT2_S6_PT3_21rocsparse_index_base_b,"axG",@progbits,_ZN9rocsparseL28csrmvn_lrb_short_rows_kernelIlifdddEEvbT_PT0_S3_jNS_24const_host_device_scalarIT4_EEPKS1_PKS2_PKT1_PKT2_S6_PT3_21rocsparse_index_base_b,comdat
	.globl	_ZN9rocsparseL28csrmvn_lrb_short_rows_kernelIlifdddEEvbT_PT0_S3_jNS_24const_host_device_scalarIT4_EEPKS1_PKS2_PKT1_PKT2_S6_PT3_21rocsparse_index_base_b ; -- Begin function _ZN9rocsparseL28csrmvn_lrb_short_rows_kernelIlifdddEEvbT_PT0_S3_jNS_24const_host_device_scalarIT4_EEPKS1_PKS2_PKT1_PKT2_S6_PT3_21rocsparse_index_base_b
	.p2align	8
	.type	_ZN9rocsparseL28csrmvn_lrb_short_rows_kernelIlifdddEEvbT_PT0_S3_jNS_24const_host_device_scalarIT4_EEPKS1_PKS2_PKT1_PKT2_S6_PT3_21rocsparse_index_base_b,@function
_ZN9rocsparseL28csrmvn_lrb_short_rows_kernelIlifdddEEvbT_PT0_S3_jNS_24const_host_device_scalarIT4_EEPKS1_PKS2_PKT1_PKT2_S6_PT3_21rocsparse_index_base_b: ; @_ZN9rocsparseL28csrmvn_lrb_short_rows_kernelIlifdddEEvbT_PT0_S3_jNS_24const_host_device_scalarIT4_EEPKS1_PKS2_PKT1_PKT2_S6_PT3_21rocsparse_index_base_b
; %bb.0:
	s_clause 0x2
	s_load_b64 s[12:13], s[0:1], 0x60
	s_load_b64 s[4:5], s[0:1], 0x28
	;; [unrolled: 1-line block ×3, first 2 shown]
	s_waitcnt lgkmcnt(0)
	s_bitcmp1_b32 s13, 0
	v_dual_mov_b32 v8, s5 :: v_dual_mov_b32 v7, s4
	s_cselect_b32 s6, -1, 0
	s_delay_alu instid0(SALU_CYCLE_1)
	s_and_b32 vcc_lo, exec_lo, s6
	s_xor_b32 s6, s6, -1
	s_cbranch_vccnz .LBB176_2
; %bb.1:
	v_dual_mov_b32 v1, s4 :: v_dual_mov_b32 v2, s5
	flat_load_b64 v[7:8], v[1:2]
.LBB176_2:
	v_dual_mov_b32 v6, s3 :: v_dual_mov_b32 v5, s2
	s_and_not1_b32 vcc_lo, exec_lo, s6
	s_cbranch_vccnz .LBB176_4
; %bb.3:
	v_dual_mov_b32 v1, s2 :: v_dual_mov_b32 v2, s3
	flat_load_b64 v[5:6], v[1:2]
.LBB176_4:
	s_waitcnt vmcnt(0) lgkmcnt(0)
	v_cmp_neq_f64_e32 vcc_lo, 0, v[7:8]
	v_cmp_neq_f64_e64 s2, 1.0, v[5:6]
	s_delay_alu instid0(VALU_DEP_1) | instskip(NEXT) | instid1(SALU_CYCLE_1)
	s_or_b32 s2, vcc_lo, s2
	s_and_saveexec_b32 s3, s2
	s_cbranch_execz .LBB176_18
; %bb.5:
	s_clause 0x1
	s_load_b32 s2, s[0:1], 0x20
	s_load_b128 s[16:19], s[0:1], 0x10
	s_mov_b32 s3, 0
	s_delay_alu instid0(SALU_CYCLE_1) | instskip(SKIP_2) | instid1(SALU_CYCLE_1)
	s_mov_b32 s7, s3
	s_waitcnt lgkmcnt(0)
	s_lshl_b64 s[4:5], s[2:3], 2
	s_add_u32 s4, s18, s4
	s_addc_u32 s5, s19, s5
	s_add_i32 s6, s2, 1
	s_delay_alu instid0(SALU_CYCLE_1) | instskip(NEXT) | instid1(SALU_CYCLE_1)
	s_lshl_b64 s[6:7], s[6:7], 2
	s_add_u32 s6, s18, s6
	s_addc_u32 s7, s19, s7
	s_clause 0x1
	s_load_b32 s13, s[4:5], 0x0
	s_load_b32 s4, s[6:7], 0x0
	s_lshl_b32 s14, s15, 8
	s_delay_alu instid0(SALU_CYCLE_1) | instskip(SKIP_2) | instid1(SALU_CYCLE_1)
	s_add_i32 s5, s14, 0x100
	s_waitcnt lgkmcnt(0)
	s_sub_i32 s4, s4, s13
	s_min_u32 s15, s4, s5
	s_cmp_gt_u32 s2, 23
	s_cbranch_scc1 .LBB176_12
; %bb.6:
	s_load_b256 s[4:11], s[0:1], 0x30
	v_mov_b32_e32 v10, 0
	v_bfe_u32 v11, v0, 0, s2
	v_lshl_add_u32 v13, v0, 3, 0
	s_lshl_b32 s18, 0x100, s2
	s_delay_alu instid0(VALU_DEP_3)
	v_mov_b32_e32 v12, v10
	s_branch .LBB176_9
.LBB176_7:                              ;   in Loop: Header=BB176_9 Depth=1
	s_or_b32 exec_lo, exec_lo, s20
	ds_store_b64 v13, v[3:4]
.LBB176_8:                              ;   in Loop: Header=BB176_9 Depth=1
	s_or_b32 exec_lo, exec_lo, s19
	v_add_nc_u32_e32 v13, 0x800, v13
	s_addk_i32 s3, 0x100
	s_delay_alu instid0(SALU_CYCLE_1)
	s_cmp_ge_u32 s3, s18
	s_cbranch_scc1 .LBB176_12
.LBB176_9:                              ; =>This Inner Loop Header: Depth=1
	v_add_nc_u32_e32 v1, s3, v0
	s_mov_b32 s19, exec_lo
	s_delay_alu instid0(VALU_DEP_1) | instskip(NEXT) | instid1(VALU_DEP_1)
	v_lshrrev_b32_e32 v1, s2, v1
	v_add_nc_u32_e32 v1, s14, v1
	s_delay_alu instid0(VALU_DEP_1)
	v_cmpx_gt_u32_e64 s15, v1
	s_cbranch_execz .LBB176_8
; %bb.10:                               ;   in Loop: Header=BB176_9 Depth=1
	v_add_nc_u32_e32 v9, s13, v1
	s_delay_alu instid0(VALU_DEP_1) | instskip(NEXT) | instid1(VALU_DEP_1)
	v_lshlrev_b64 v[1:2], 2, v[9:10]
	v_add_co_u32 v1, vcc_lo, s16, v1
	s_delay_alu instid0(VALU_DEP_2) | instskip(SKIP_3) | instid1(VALU_DEP_1)
	v_add_co_ci_u32_e32 v2, vcc_lo, s17, v2, vcc_lo
	global_load_b32 v1, v[1:2], off
	s_waitcnt vmcnt(0)
	v_ashrrev_i32_e32 v2, 31, v1
	v_lshlrev_b64 v[1:2], 3, v[1:2]
	s_waitcnt lgkmcnt(0)
	s_delay_alu instid0(VALU_DEP_1) | instskip(NEXT) | instid1(VALU_DEP_2)
	v_add_co_u32 v1, vcc_lo, s4, v1
	v_add_co_ci_u32_e32 v2, vcc_lo, s5, v2, vcc_lo
	global_load_b128 v[1:4], v[1:2], off
	s_waitcnt vmcnt(0)
	v_sub_co_u32 v3, vcc_lo, v3, v1
	v_sub_co_ci_u32_e32 v4, vcc_lo, v4, v2, vcc_lo
	s_delay_alu instid0(VALU_DEP_1)
	v_cmp_gt_i64_e32 vcc_lo, v[3:4], v[11:12]
	v_mov_b32_e32 v3, 0
	v_mov_b32_e32 v4, 0
	s_and_saveexec_b32 s20, vcc_lo
	s_cbranch_execz .LBB176_7
; %bb.11:                               ;   in Loop: Header=BB176_9 Depth=1
	v_sub_co_u32 v1, vcc_lo, v1, s12
	v_subrev_co_ci_u32_e32 v2, vcc_lo, 0, v2, vcc_lo
	s_delay_alu instid0(VALU_DEP_2) | instskip(NEXT) | instid1(VALU_DEP_2)
	v_add_co_u32 v1, vcc_lo, v1, v11
	v_add_co_ci_u32_e32 v2, vcc_lo, 0, v2, vcc_lo
	s_delay_alu instid0(VALU_DEP_1) | instskip(NEXT) | instid1(VALU_DEP_1)
	v_lshlrev_b64 v[1:2], 2, v[1:2]
	v_add_co_u32 v3, vcc_lo, s6, v1
	s_delay_alu instid0(VALU_DEP_2)
	v_add_co_ci_u32_e32 v4, vcc_lo, s7, v2, vcc_lo
	v_add_co_u32 v1, vcc_lo, s8, v1
	v_add_co_ci_u32_e32 v2, vcc_lo, s9, v2, vcc_lo
	global_load_b32 v3, v[3:4], off
	global_load_b32 v4, v[1:2], off
	s_waitcnt vmcnt(1)
	v_subrev_nc_u32_e32 v1, s12, v3
	s_waitcnt vmcnt(0)
	v_cvt_f64_f32_e32 v[3:4], v4
	s_delay_alu instid0(VALU_DEP_2) | instskip(NEXT) | instid1(VALU_DEP_1)
	v_ashrrev_i32_e32 v2, 31, v1
	v_lshlrev_b64 v[1:2], 3, v[1:2]
	s_delay_alu instid0(VALU_DEP_1) | instskip(NEXT) | instid1(VALU_DEP_2)
	v_add_co_u32 v1, vcc_lo, s10, v1
	v_add_co_ci_u32_e32 v2, vcc_lo, s11, v2, vcc_lo
	global_load_b64 v[1:2], v[1:2], off
	v_mul_f64 v[3:4], v[7:8], v[3:4]
	s_waitcnt vmcnt(0)
	s_delay_alu instid0(VALU_DEP_1)
	v_mul_f64 v[3:4], v[3:4], v[1:2]
	s_branch .LBB176_7
.LBB176_12:
	s_sub_i32 s3, s15, s14
	s_waitcnt lgkmcnt(0)
	v_cmp_gt_u32_e32 vcc_lo, s3, v0
	s_barrier
	buffer_gl0_inv
	s_and_b32 exec_lo, exec_lo, vcc_lo
	s_cbranch_execz .LBB176_18
; %bb.13:
	v_add3_u32 v1, s13, s14, v0
	v_dual_mov_b32 v2, 0 :: v_dual_lshlrev_b32 v3, s2, v0
	s_load_b64 s[0:1], s[0:1], 0x58
	s_mov_b32 s3, 1
	s_delay_alu instid0(VALU_DEP_1) | instskip(NEXT) | instid1(VALU_DEP_2)
	v_lshlrev_b64 v[1:2], 2, v[1:2]
	v_lshl_add_u32 v3, v3, 3, 0
	s_delay_alu instid0(VALU_DEP_2) | instskip(NEXT) | instid1(VALU_DEP_3)
	v_add_co_u32 v1, vcc_lo, s16, v1
	v_add_co_ci_u32_e32 v2, vcc_lo, s17, v2, vcc_lo
	global_load_b32 v2, v[1:2], off
	v_mov_b32_e32 v0, 0
	v_mov_b32_e32 v1, 0
.LBB176_14:                             ; =>This Inner Loop Header: Depth=1
	ds_load_b64 v[7:8], v3
	v_add_nc_u32_e32 v3, 8, v3
	s_lshr_b32 s4, s3, s2
	s_add_i32 s3, s3, 1
	s_cmp_lg_u32 s4, 0
	s_waitcnt lgkmcnt(0)
	v_add_f64 v[0:1], v[0:1], v[7:8]
	s_cbranch_scc0 .LBB176_14
; %bb.15:
	s_waitcnt vmcnt(0)
	v_ashrrev_i32_e32 v3, 31, v2
	s_mov_b32 s2, exec_lo
	s_delay_alu instid0(VALU_DEP_1)
	v_lshlrev_b64 v[2:3], 3, v[2:3]
	v_cmpx_neq_f64_e32 0, v[5:6]
	s_cbranch_execz .LBB176_17
; %bb.16:
	s_delay_alu instid0(VALU_DEP_2) | instskip(NEXT) | instid1(VALU_DEP_3)
	v_add_co_u32 v7, vcc_lo, s0, v2
	v_add_co_ci_u32_e32 v8, vcc_lo, s1, v3, vcc_lo
	global_load_b64 v[7:8], v[7:8], off
	s_waitcnt vmcnt(0)
	v_fma_f64 v[0:1], v[5:6], v[7:8], v[0:1]
.LBB176_17:
	s_or_b32 exec_lo, exec_lo, s2
	s_delay_alu instid0(VALU_DEP_2) | instskip(NEXT) | instid1(VALU_DEP_3)
	v_add_co_u32 v2, vcc_lo, s0, v2
	v_add_co_ci_u32_e32 v3, vcc_lo, s1, v3, vcc_lo
	global_store_b64 v[2:3], v[0:1], off
.LBB176_18:
	s_nop 0
	s_sendmsg sendmsg(MSG_DEALLOC_VGPRS)
	s_endpgm
	.section	.rodata,"a",@progbits
	.p2align	6, 0x0
	.amdhsa_kernel _ZN9rocsparseL28csrmvn_lrb_short_rows_kernelIlifdddEEvbT_PT0_S3_jNS_24const_host_device_scalarIT4_EEPKS1_PKS2_PKT1_PKT2_S6_PT3_21rocsparse_index_base_b
		.amdhsa_group_segment_fixed_size 0
		.amdhsa_private_segment_fixed_size 0
		.amdhsa_kernarg_size 104
		.amdhsa_user_sgpr_count 15
		.amdhsa_user_sgpr_dispatch_ptr 0
		.amdhsa_user_sgpr_queue_ptr 0
		.amdhsa_user_sgpr_kernarg_segment_ptr 1
		.amdhsa_user_sgpr_dispatch_id 0
		.amdhsa_user_sgpr_private_segment_size 0
		.amdhsa_wavefront_size32 1
		.amdhsa_uses_dynamic_stack 0
		.amdhsa_enable_private_segment 0
		.amdhsa_system_sgpr_workgroup_id_x 1
		.amdhsa_system_sgpr_workgroup_id_y 0
		.amdhsa_system_sgpr_workgroup_id_z 0
		.amdhsa_system_sgpr_workgroup_info 0
		.amdhsa_system_vgpr_workitem_id 0
		.amdhsa_next_free_vgpr 14
		.amdhsa_next_free_sgpr 21
		.amdhsa_reserve_vcc 1
		.amdhsa_float_round_mode_32 0
		.amdhsa_float_round_mode_16_64 0
		.amdhsa_float_denorm_mode_32 3
		.amdhsa_float_denorm_mode_16_64 3
		.amdhsa_dx10_clamp 1
		.amdhsa_ieee_mode 1
		.amdhsa_fp16_overflow 0
		.amdhsa_workgroup_processor_mode 1
		.amdhsa_memory_ordered 1
		.amdhsa_forward_progress 0
		.amdhsa_shared_vgpr_count 0
		.amdhsa_exception_fp_ieee_invalid_op 0
		.amdhsa_exception_fp_denorm_src 0
		.amdhsa_exception_fp_ieee_div_zero 0
		.amdhsa_exception_fp_ieee_overflow 0
		.amdhsa_exception_fp_ieee_underflow 0
		.amdhsa_exception_fp_ieee_inexact 0
		.amdhsa_exception_int_div_zero 0
	.end_amdhsa_kernel
	.section	.text._ZN9rocsparseL28csrmvn_lrb_short_rows_kernelIlifdddEEvbT_PT0_S3_jNS_24const_host_device_scalarIT4_EEPKS1_PKS2_PKT1_PKT2_S6_PT3_21rocsparse_index_base_b,"axG",@progbits,_ZN9rocsparseL28csrmvn_lrb_short_rows_kernelIlifdddEEvbT_PT0_S3_jNS_24const_host_device_scalarIT4_EEPKS1_PKS2_PKT1_PKT2_S6_PT3_21rocsparse_index_base_b,comdat
.Lfunc_end176:
	.size	_ZN9rocsparseL28csrmvn_lrb_short_rows_kernelIlifdddEEvbT_PT0_S3_jNS_24const_host_device_scalarIT4_EEPKS1_PKS2_PKT1_PKT2_S6_PT3_21rocsparse_index_base_b, .Lfunc_end176-_ZN9rocsparseL28csrmvn_lrb_short_rows_kernelIlifdddEEvbT_PT0_S3_jNS_24const_host_device_scalarIT4_EEPKS1_PKS2_PKT1_PKT2_S6_PT3_21rocsparse_index_base_b
                                        ; -- End function
	.section	.AMDGPU.csdata,"",@progbits
; Kernel info:
; codeLenInByte = 944
; NumSgprs: 23
; NumVgprs: 14
; ScratchSize: 0
; MemoryBound: 0
; FloatMode: 240
; IeeeMode: 1
; LDSByteSize: 0 bytes/workgroup (compile time only)
; SGPRBlocks: 2
; VGPRBlocks: 1
; NumSGPRsForWavesPerEU: 23
; NumVGPRsForWavesPerEU: 14
; Occupancy: 16
; WaveLimiterHint : 1
; COMPUTE_PGM_RSRC2:SCRATCH_EN: 0
; COMPUTE_PGM_RSRC2:USER_SGPR: 15
; COMPUTE_PGM_RSRC2:TRAP_HANDLER: 0
; COMPUTE_PGM_RSRC2:TGID_X_EN: 1
; COMPUTE_PGM_RSRC2:TGID_Y_EN: 0
; COMPUTE_PGM_RSRC2:TGID_Z_EN: 0
; COMPUTE_PGM_RSRC2:TIDIG_COMP_CNT: 0
	.section	.text._ZN9rocsparseL30csrmvn_lrb_short_rows_2_kernelIlifdddEEvbT_PT0_S3_jNS_24const_host_device_scalarIT4_EEPKS1_PKS2_PKT1_PKT2_S6_PT3_21rocsparse_index_base_b,"axG",@progbits,_ZN9rocsparseL30csrmvn_lrb_short_rows_2_kernelIlifdddEEvbT_PT0_S3_jNS_24const_host_device_scalarIT4_EEPKS1_PKS2_PKT1_PKT2_S6_PT3_21rocsparse_index_base_b,comdat
	.globl	_ZN9rocsparseL30csrmvn_lrb_short_rows_2_kernelIlifdddEEvbT_PT0_S3_jNS_24const_host_device_scalarIT4_EEPKS1_PKS2_PKT1_PKT2_S6_PT3_21rocsparse_index_base_b ; -- Begin function _ZN9rocsparseL30csrmvn_lrb_short_rows_2_kernelIlifdddEEvbT_PT0_S3_jNS_24const_host_device_scalarIT4_EEPKS1_PKS2_PKT1_PKT2_S6_PT3_21rocsparse_index_base_b
	.p2align	8
	.type	_ZN9rocsparseL30csrmvn_lrb_short_rows_2_kernelIlifdddEEvbT_PT0_S3_jNS_24const_host_device_scalarIT4_EEPKS1_PKS2_PKT1_PKT2_S6_PT3_21rocsparse_index_base_b,@function
_ZN9rocsparseL30csrmvn_lrb_short_rows_2_kernelIlifdddEEvbT_PT0_S3_jNS_24const_host_device_scalarIT4_EEPKS1_PKS2_PKT1_PKT2_S6_PT3_21rocsparse_index_base_b: ; @_ZN9rocsparseL30csrmvn_lrb_short_rows_2_kernelIlifdddEEvbT_PT0_S3_jNS_24const_host_device_scalarIT4_EEPKS1_PKS2_PKT1_PKT2_S6_PT3_21rocsparse_index_base_b
; %bb.0:
	s_clause 0x2
	s_load_b64 s[16:17], s[0:1], 0x60
	s_load_b64 s[4:5], s[0:1], 0x28
	;; [unrolled: 1-line block ×3, first 2 shown]
	s_waitcnt lgkmcnt(0)
	s_bitcmp1_b32 s17, 0
	v_dual_mov_b32 v8, s5 :: v_dual_mov_b32 v7, s4
	s_cselect_b32 s6, -1, 0
	s_delay_alu instid0(SALU_CYCLE_1)
	s_and_b32 vcc_lo, exec_lo, s6
	s_xor_b32 s6, s6, -1
	s_cbranch_vccnz .LBB177_2
; %bb.1:
	v_dual_mov_b32 v1, s4 :: v_dual_mov_b32 v2, s5
	flat_load_b64 v[7:8], v[1:2]
.LBB177_2:
	v_dual_mov_b32 v6, s3 :: v_dual_mov_b32 v5, s2
	s_and_not1_b32 vcc_lo, exec_lo, s6
	s_cbranch_vccnz .LBB177_4
; %bb.3:
	v_dual_mov_b32 v1, s2 :: v_dual_mov_b32 v2, s3
	flat_load_b64 v[5:6], v[1:2]
.LBB177_4:
	s_waitcnt vmcnt(0) lgkmcnt(0)
	v_cmp_neq_f64_e32 vcc_lo, 0, v[7:8]
	v_cmp_neq_f64_e64 s2, 1.0, v[5:6]
	s_delay_alu instid0(VALU_DEP_1) | instskip(NEXT) | instid1(SALU_CYCLE_1)
	s_or_b32 s2, vcc_lo, s2
	s_and_saveexec_b32 s3, s2
	s_cbranch_execz .LBB177_30
; %bb.5:
	s_clause 0x1
	s_load_b32 s12, s[0:1], 0x20
	s_load_b128 s[8:11], s[0:1], 0x10
	s_mov_b32 s13, 0
	v_mov_b32_e32 v10, 0
	s_mov_b32 s5, s13
	s_waitcnt lgkmcnt(0)
	s_lshl_b64 s[2:3], s[12:13], 2
	v_lshrrev_b32_e32 v1, s12, v0
	s_add_u32 s2, s10, s2
	s_addc_u32 s3, s11, s3
	s_add_i32 s4, s12, 1
	v_bfe_u32 v9, v0, 0, s12
	s_lshl_b64 s[4:5], s[4:5], 2
	s_delay_alu instid0(SALU_CYCLE_1)
	s_add_u32 s4, s10, s4
	s_addc_u32 s5, s11, s5
	s_clause 0x1
	s_load_b32 s14, s[2:3], 0x0
	s_load_b32 s17, s[4:5], 0x0
	s_clause 0x1
	s_load_b64 s[10:11], s[0:1], 0x58
	s_load_b256 s[0:7], s[0:1], 0x30
	s_lshr_b32 s13, 0x400, s12
	s_delay_alu instid0(SALU_CYCLE_1) | instskip(NEXT) | instid1(SALU_CYCLE_1)
	s_mul_i32 s15, s13, s15
	v_add_nc_u32_e32 v1, s15, v1
	s_add_i32 s18, s15, s13
	s_waitcnt lgkmcnt(0)
	s_sub_i32 s17, s17, s14
	s_delay_alu instid0(SALU_CYCLE_1)
	s_min_u32 s17, s17, s18
	s_mov_b32 s18, exec_lo
	v_cmpx_gt_u32_e64 s17, v1
	s_cbranch_execz .LBB177_9
; %bb.6:
	v_dual_mov_b32 v2, v10 :: v_dual_add_nc_u32 v1, s14, v1
	s_delay_alu instid0(VALU_DEP_1) | instskip(NEXT) | instid1(VALU_DEP_1)
	v_lshlrev_b64 v[1:2], 2, v[1:2]
	v_add_co_u32 v1, vcc_lo, s8, v1
	s_delay_alu instid0(VALU_DEP_2) | instskip(SKIP_3) | instid1(VALU_DEP_1)
	v_add_co_ci_u32_e32 v2, vcc_lo, s9, v2, vcc_lo
	global_load_b32 v1, v[1:2], off
	s_waitcnt vmcnt(0)
	v_ashrrev_i32_e32 v2, 31, v1
	v_lshlrev_b64 v[1:2], 3, v[1:2]
	s_delay_alu instid0(VALU_DEP_1) | instskip(NEXT) | instid1(VALU_DEP_2)
	v_add_co_u32 v1, vcc_lo, s0, v1
	v_add_co_ci_u32_e32 v2, vcc_lo, s1, v2, vcc_lo
	global_load_b128 v[1:4], v[1:2], off
	s_waitcnt vmcnt(0)
	v_sub_co_u32 v3, vcc_lo, v3, v1
	v_sub_co_ci_u32_e32 v4, vcc_lo, v4, v2, vcc_lo
	s_delay_alu instid0(VALU_DEP_1)
	v_cmp_gt_i64_e32 vcc_lo, v[3:4], v[9:10]
	v_mov_b32_e32 v3, 0
	v_mov_b32_e32 v4, 0
	s_and_saveexec_b32 s19, vcc_lo
	s_cbranch_execz .LBB177_8
; %bb.7:
	v_sub_co_u32 v1, vcc_lo, v1, s16
	v_subrev_co_ci_u32_e32 v2, vcc_lo, 0, v2, vcc_lo
	s_delay_alu instid0(VALU_DEP_2) | instskip(NEXT) | instid1(VALU_DEP_2)
	v_add_co_u32 v1, vcc_lo, v1, v9
	v_add_co_ci_u32_e32 v2, vcc_lo, 0, v2, vcc_lo
	s_delay_alu instid0(VALU_DEP_1) | instskip(NEXT) | instid1(VALU_DEP_1)
	v_lshlrev_b64 v[1:2], 2, v[1:2]
	v_add_co_u32 v3, vcc_lo, s2, v1
	s_delay_alu instid0(VALU_DEP_2)
	v_add_co_ci_u32_e32 v4, vcc_lo, s3, v2, vcc_lo
	v_add_co_u32 v1, vcc_lo, s4, v1
	v_add_co_ci_u32_e32 v2, vcc_lo, s5, v2, vcc_lo
	global_load_b32 v3, v[3:4], off
	global_load_b32 v4, v[1:2], off
	s_waitcnt vmcnt(1)
	v_subrev_nc_u32_e32 v1, s16, v3
	s_waitcnt vmcnt(0)
	v_cvt_f64_f32_e32 v[3:4], v4
	s_delay_alu instid0(VALU_DEP_2) | instskip(NEXT) | instid1(VALU_DEP_1)
	v_ashrrev_i32_e32 v2, 31, v1
	v_lshlrev_b64 v[1:2], 3, v[1:2]
	s_delay_alu instid0(VALU_DEP_1) | instskip(NEXT) | instid1(VALU_DEP_2)
	v_add_co_u32 v1, vcc_lo, s6, v1
	v_add_co_ci_u32_e32 v2, vcc_lo, s7, v2, vcc_lo
	global_load_b64 v[1:2], v[1:2], off
	v_mul_f64 v[3:4], v[7:8], v[3:4]
	s_waitcnt vmcnt(0)
	s_delay_alu instid0(VALU_DEP_1)
	v_mul_f64 v[3:4], v[3:4], v[1:2]
.LBB177_8:
	s_or_b32 exec_lo, exec_lo, s19
	v_lshlrev_b32_e32 v1, 3, v0
	ds_store_b64 v1, v[3:4]
.LBB177_9:
	s_or_b32 exec_lo, exec_lo, s18
	v_or_b32_e32 v1, 0x100, v0
	s_mov_b32 s18, exec_lo
	s_delay_alu instid0(VALU_DEP_1) | instskip(NEXT) | instid1(VALU_DEP_1)
	v_lshrrev_b32_e32 v1, s12, v1
	v_add_nc_u32_e32 v1, s15, v1
	s_delay_alu instid0(VALU_DEP_1)
	v_cmpx_gt_u32_e64 s17, v1
	s_cbranch_execz .LBB177_13
; %bb.10:
	v_dual_mov_b32 v2, 0 :: v_dual_add_nc_u32 v1, s14, v1
	s_delay_alu instid0(VALU_DEP_1) | instskip(NEXT) | instid1(VALU_DEP_1)
	v_lshlrev_b64 v[1:2], 2, v[1:2]
	v_add_co_u32 v1, vcc_lo, s8, v1
	s_delay_alu instid0(VALU_DEP_2) | instskip(SKIP_3) | instid1(VALU_DEP_1)
	v_add_co_ci_u32_e32 v2, vcc_lo, s9, v2, vcc_lo
	global_load_b32 v1, v[1:2], off
	s_waitcnt vmcnt(0)
	v_ashrrev_i32_e32 v2, 31, v1
	v_lshlrev_b64 v[1:2], 3, v[1:2]
	s_delay_alu instid0(VALU_DEP_1) | instskip(NEXT) | instid1(VALU_DEP_2)
	v_add_co_u32 v1, vcc_lo, s0, v1
	v_add_co_ci_u32_e32 v2, vcc_lo, s1, v2, vcc_lo
	global_load_b128 v[1:4], v[1:2], off
	s_waitcnt vmcnt(0)
	v_sub_co_u32 v3, vcc_lo, v3, v1
	v_sub_co_ci_u32_e32 v4, vcc_lo, v4, v2, vcc_lo
	s_delay_alu instid0(VALU_DEP_1)
	v_cmp_gt_i64_e32 vcc_lo, v[3:4], v[9:10]
	v_mov_b32_e32 v3, 0
	v_mov_b32_e32 v4, 0
	s_and_saveexec_b32 s19, vcc_lo
	s_cbranch_execz .LBB177_12
; %bb.11:
	v_sub_co_u32 v1, vcc_lo, v1, s16
	v_subrev_co_ci_u32_e32 v2, vcc_lo, 0, v2, vcc_lo
	s_delay_alu instid0(VALU_DEP_2) | instskip(NEXT) | instid1(VALU_DEP_2)
	v_add_co_u32 v1, vcc_lo, v1, v9
	v_add_co_ci_u32_e32 v2, vcc_lo, 0, v2, vcc_lo
	s_delay_alu instid0(VALU_DEP_1) | instskip(NEXT) | instid1(VALU_DEP_1)
	v_lshlrev_b64 v[1:2], 2, v[1:2]
	v_add_co_u32 v3, vcc_lo, s2, v1
	s_delay_alu instid0(VALU_DEP_2)
	v_add_co_ci_u32_e32 v4, vcc_lo, s3, v2, vcc_lo
	v_add_co_u32 v1, vcc_lo, s4, v1
	v_add_co_ci_u32_e32 v2, vcc_lo, s5, v2, vcc_lo
	global_load_b32 v3, v[3:4], off
	global_load_b32 v4, v[1:2], off
	s_waitcnt vmcnt(1)
	v_subrev_nc_u32_e32 v1, s16, v3
	s_waitcnt vmcnt(0)
	v_cvt_f64_f32_e32 v[3:4], v4
	s_delay_alu instid0(VALU_DEP_2) | instskip(NEXT) | instid1(VALU_DEP_1)
	v_ashrrev_i32_e32 v2, 31, v1
	v_lshlrev_b64 v[1:2], 3, v[1:2]
	s_delay_alu instid0(VALU_DEP_1) | instskip(NEXT) | instid1(VALU_DEP_2)
	v_add_co_u32 v1, vcc_lo, s6, v1
	v_add_co_ci_u32_e32 v2, vcc_lo, s7, v2, vcc_lo
	global_load_b64 v[1:2], v[1:2], off
	v_mul_f64 v[3:4], v[7:8], v[3:4]
	s_waitcnt vmcnt(0)
	s_delay_alu instid0(VALU_DEP_1)
	v_mul_f64 v[3:4], v[3:4], v[1:2]
.LBB177_12:
	s_or_b32 exec_lo, exec_lo, s19
	v_lshlrev_b32_e32 v1, 3, v0
	ds_store_b64 v1, v[3:4] offset:2048
.LBB177_13:
	s_or_b32 exec_lo, exec_lo, s18
	v_or_b32_e32 v1, 0x200, v0
	s_mov_b32 s18, exec_lo
	s_delay_alu instid0(VALU_DEP_1) | instskip(NEXT) | instid1(VALU_DEP_1)
	v_lshrrev_b32_e32 v1, s12, v1
	v_add_nc_u32_e32 v1, s15, v1
	s_delay_alu instid0(VALU_DEP_1)
	v_cmpx_gt_u32_e64 s17, v1
	s_cbranch_execz .LBB177_17
; %bb.14:
	v_dual_mov_b32 v2, 0 :: v_dual_add_nc_u32 v1, s14, v1
	s_delay_alu instid0(VALU_DEP_1) | instskip(NEXT) | instid1(VALU_DEP_1)
	v_lshlrev_b64 v[1:2], 2, v[1:2]
	v_add_co_u32 v1, vcc_lo, s8, v1
	s_delay_alu instid0(VALU_DEP_2) | instskip(SKIP_3) | instid1(VALU_DEP_1)
	v_add_co_ci_u32_e32 v2, vcc_lo, s9, v2, vcc_lo
	global_load_b32 v1, v[1:2], off
	s_waitcnt vmcnt(0)
	v_ashrrev_i32_e32 v2, 31, v1
	v_lshlrev_b64 v[1:2], 3, v[1:2]
	s_delay_alu instid0(VALU_DEP_1) | instskip(NEXT) | instid1(VALU_DEP_2)
	v_add_co_u32 v1, vcc_lo, s0, v1
	v_add_co_ci_u32_e32 v2, vcc_lo, s1, v2, vcc_lo
	global_load_b128 v[1:4], v[1:2], off
	s_waitcnt vmcnt(0)
	v_sub_co_u32 v3, vcc_lo, v3, v1
	v_sub_co_ci_u32_e32 v4, vcc_lo, v4, v2, vcc_lo
	s_delay_alu instid0(VALU_DEP_1)
	v_cmp_gt_i64_e32 vcc_lo, v[3:4], v[9:10]
	v_mov_b32_e32 v3, 0
	v_mov_b32_e32 v4, 0
	s_and_saveexec_b32 s19, vcc_lo
	s_cbranch_execz .LBB177_16
; %bb.15:
	v_sub_co_u32 v1, vcc_lo, v1, s16
	v_subrev_co_ci_u32_e32 v2, vcc_lo, 0, v2, vcc_lo
	s_delay_alu instid0(VALU_DEP_2) | instskip(NEXT) | instid1(VALU_DEP_2)
	v_add_co_u32 v1, vcc_lo, v1, v9
	v_add_co_ci_u32_e32 v2, vcc_lo, 0, v2, vcc_lo
	s_delay_alu instid0(VALU_DEP_1) | instskip(NEXT) | instid1(VALU_DEP_1)
	v_lshlrev_b64 v[1:2], 2, v[1:2]
	v_add_co_u32 v3, vcc_lo, s2, v1
	s_delay_alu instid0(VALU_DEP_2)
	v_add_co_ci_u32_e32 v4, vcc_lo, s3, v2, vcc_lo
	v_add_co_u32 v1, vcc_lo, s4, v1
	v_add_co_ci_u32_e32 v2, vcc_lo, s5, v2, vcc_lo
	global_load_b32 v3, v[3:4], off
	global_load_b32 v4, v[1:2], off
	s_waitcnt vmcnt(1)
	v_subrev_nc_u32_e32 v1, s16, v3
	s_waitcnt vmcnt(0)
	v_cvt_f64_f32_e32 v[3:4], v4
	s_delay_alu instid0(VALU_DEP_2) | instskip(NEXT) | instid1(VALU_DEP_1)
	v_ashrrev_i32_e32 v2, 31, v1
	v_lshlrev_b64 v[1:2], 3, v[1:2]
	s_delay_alu instid0(VALU_DEP_1) | instskip(NEXT) | instid1(VALU_DEP_2)
	v_add_co_u32 v1, vcc_lo, s6, v1
	v_add_co_ci_u32_e32 v2, vcc_lo, s7, v2, vcc_lo
	global_load_b64 v[1:2], v[1:2], off
	v_mul_f64 v[3:4], v[7:8], v[3:4]
	s_waitcnt vmcnt(0)
	s_delay_alu instid0(VALU_DEP_1)
	v_mul_f64 v[3:4], v[3:4], v[1:2]
.LBB177_16:
	s_or_b32 exec_lo, exec_lo, s19
	v_lshlrev_b32_e32 v1, 3, v0
	ds_store_b64 v1, v[3:4] offset:4096
.LBB177_17:
	s_or_b32 exec_lo, exec_lo, s18
	v_or_b32_e32 v1, 0x300, v0
	s_mov_b32 s18, exec_lo
	s_delay_alu instid0(VALU_DEP_1) | instskip(NEXT) | instid1(VALU_DEP_1)
	v_lshrrev_b32_e32 v1, s12, v1
	v_add_nc_u32_e32 v1, s15, v1
	s_delay_alu instid0(VALU_DEP_1)
	v_cmpx_gt_u32_e64 s17, v1
	s_cbranch_execz .LBB177_21
; %bb.18:
	v_dual_mov_b32 v2, 0 :: v_dual_add_nc_u32 v1, s14, v1
	s_delay_alu instid0(VALU_DEP_1) | instskip(NEXT) | instid1(VALU_DEP_1)
	v_lshlrev_b64 v[1:2], 2, v[1:2]
	v_add_co_u32 v1, vcc_lo, s8, v1
	s_delay_alu instid0(VALU_DEP_2) | instskip(SKIP_3) | instid1(VALU_DEP_1)
	v_add_co_ci_u32_e32 v2, vcc_lo, s9, v2, vcc_lo
	global_load_b32 v1, v[1:2], off
	s_waitcnt vmcnt(0)
	v_ashrrev_i32_e32 v2, 31, v1
	v_lshlrev_b64 v[1:2], 3, v[1:2]
	s_delay_alu instid0(VALU_DEP_1) | instskip(NEXT) | instid1(VALU_DEP_2)
	v_add_co_u32 v1, vcc_lo, s0, v1
	v_add_co_ci_u32_e32 v2, vcc_lo, s1, v2, vcc_lo
	global_load_b128 v[1:4], v[1:2], off
	s_waitcnt vmcnt(0)
	v_sub_co_u32 v3, vcc_lo, v3, v1
	v_sub_co_ci_u32_e32 v4, vcc_lo, v4, v2, vcc_lo
	s_delay_alu instid0(VALU_DEP_1)
	v_cmp_gt_i64_e32 vcc_lo, v[3:4], v[9:10]
	v_mov_b32_e32 v3, 0
	v_mov_b32_e32 v4, 0
	s_and_saveexec_b32 s0, vcc_lo
	s_cbranch_execz .LBB177_20
; %bb.19:
	v_sub_co_u32 v1, vcc_lo, v1, s16
	v_subrev_co_ci_u32_e32 v2, vcc_lo, 0, v2, vcc_lo
	s_delay_alu instid0(VALU_DEP_2) | instskip(NEXT) | instid1(VALU_DEP_2)
	v_add_co_u32 v1, vcc_lo, v1, v9
	v_add_co_ci_u32_e32 v2, vcc_lo, 0, v2, vcc_lo
	s_delay_alu instid0(VALU_DEP_1) | instskip(NEXT) | instid1(VALU_DEP_1)
	v_lshlrev_b64 v[1:2], 2, v[1:2]
	v_add_co_u32 v3, vcc_lo, s2, v1
	s_delay_alu instid0(VALU_DEP_2)
	v_add_co_ci_u32_e32 v4, vcc_lo, s3, v2, vcc_lo
	v_add_co_u32 v1, vcc_lo, s4, v1
	v_add_co_ci_u32_e32 v2, vcc_lo, s5, v2, vcc_lo
	global_load_b32 v3, v[3:4], off
	global_load_b32 v4, v[1:2], off
	s_waitcnt vmcnt(1)
	v_subrev_nc_u32_e32 v1, s16, v3
	s_waitcnt vmcnt(0)
	v_cvt_f64_f32_e32 v[3:4], v4
	s_delay_alu instid0(VALU_DEP_2) | instskip(NEXT) | instid1(VALU_DEP_1)
	v_ashrrev_i32_e32 v2, 31, v1
	v_lshlrev_b64 v[1:2], 3, v[1:2]
	s_delay_alu instid0(VALU_DEP_1) | instskip(NEXT) | instid1(VALU_DEP_2)
	v_add_co_u32 v1, vcc_lo, s6, v1
	v_add_co_ci_u32_e32 v2, vcc_lo, s7, v2, vcc_lo
	global_load_b64 v[1:2], v[1:2], off
	v_mul_f64 v[3:4], v[7:8], v[3:4]
	s_waitcnt vmcnt(0)
	s_delay_alu instid0(VALU_DEP_1)
	v_mul_f64 v[3:4], v[3:4], v[1:2]
.LBB177_20:
	s_or_b32 exec_lo, exec_lo, s0
	v_lshlrev_b32_e32 v1, 3, v0
	ds_store_b64 v1, v[3:4] offset:6144
.LBB177_21:
	s_or_b32 exec_lo, exec_lo, s18
	s_cmp_lt_u32 s12, 11
	s_waitcnt lgkmcnt(0)
	s_barrier
	buffer_gl0_inv
	s_cbranch_scc0 .LBB177_30
; %bb.22:
	v_cmp_neq_f64_e32 vcc_lo, 0, v[5:6]
	v_mov_b32_e32 v2, 0
	s_sub_i32 s1, s17, s15
	s_add_i32 s14, s14, s15
	s_mov_b32 s2, 0
	s_branch .LBB177_25
.LBB177_23:                             ;   in Loop: Header=BB177_25 Depth=1
	s_or_b32 exec_lo, exec_lo, s4
	s_delay_alu instid0(VALU_DEP_1) | instskip(NEXT) | instid1(VALU_DEP_1)
	v_add_co_u32 v7, s0, s10, v7
	v_add_co_ci_u32_e64 v8, s0, s11, v8, s0
	global_store_b64 v[7:8], v[3:4], off
.LBB177_24:                             ;   in Loop: Header=BB177_25 Depth=1
	s_or_b32 exec_lo, exec_lo, s3
	s_addk_i32 s2, 0x100
	s_delay_alu instid0(SALU_CYCLE_1)
	s_cmp_lt_u32 s2, s13
	s_cbranch_scc0 .LBB177_30
.LBB177_25:                             ; =>This Loop Header: Depth=1
                                        ;     Child Loop BB177_27 Depth 2
	v_add_nc_u32_e32 v3, s2, v0
	s_mov_b32 s3, exec_lo
	s_delay_alu instid0(VALU_DEP_1)
	v_cmpx_gt_u32_e64 s1, v3
	s_cbranch_execz .LBB177_24
; %bb.26:                               ;   in Loop: Header=BB177_25 Depth=1
	v_add_nc_u32_e32 v1, s14, v3
	s_delay_alu instid0(VALU_DEP_1) | instskip(SKIP_2) | instid1(VALU_DEP_2)
	v_lshlrev_b64 v[7:8], 2, v[1:2]
	v_lshlrev_b32_e32 v1, s12, v3
	v_mov_b32_e32 v3, 0
	v_dual_mov_b32 v4, 0 :: v_dual_lshlrev_b32 v1, 3, v1
	s_delay_alu instid0(VALU_DEP_4) | instskip(NEXT) | instid1(VALU_DEP_1)
	v_add_co_u32 v7, s0, s8, v7
	v_add_co_ci_u32_e64 v8, s0, s9, v8, s0
	s_mov_b32 s0, 1
	global_load_b32 v7, v[7:8], off
.LBB177_27:                             ;   Parent Loop BB177_25 Depth=1
                                        ; =>  This Inner Loop Header: Depth=2
	ds_load_b64 v[8:9], v1
	v_add_nc_u32_e32 v1, 8, v1
	s_lshr_b32 s4, s0, s12
	s_add_i32 s0, s0, 1
	s_cmp_lg_u32 s4, 0
	s_waitcnt lgkmcnt(0)
	v_add_f64 v[3:4], v[3:4], v[8:9]
	s_cbranch_scc0 .LBB177_27
; %bb.28:                               ;   in Loop: Header=BB177_25 Depth=1
	s_waitcnt vmcnt(0)
	v_ashrrev_i32_e32 v8, 31, v7
	s_delay_alu instid0(VALU_DEP_1)
	v_lshlrev_b64 v[7:8], 3, v[7:8]
	s_and_saveexec_b32 s4, vcc_lo
	s_cbranch_execz .LBB177_23
; %bb.29:                               ;   in Loop: Header=BB177_25 Depth=1
	s_delay_alu instid0(VALU_DEP_1) | instskip(NEXT) | instid1(VALU_DEP_1)
	v_add_co_u32 v9, s0, s10, v7
	v_add_co_ci_u32_e64 v10, s0, s11, v8, s0
	global_load_b64 v[9:10], v[9:10], off
	s_waitcnt vmcnt(0)
	v_fma_f64 v[3:4], v[5:6], v[9:10], v[3:4]
	s_branch .LBB177_23
.LBB177_30:
	s_nop 0
	s_sendmsg sendmsg(MSG_DEALLOC_VGPRS)
	s_endpgm
	.section	.rodata,"a",@progbits
	.p2align	6, 0x0
	.amdhsa_kernel _ZN9rocsparseL30csrmvn_lrb_short_rows_2_kernelIlifdddEEvbT_PT0_S3_jNS_24const_host_device_scalarIT4_EEPKS1_PKS2_PKT1_PKT2_S6_PT3_21rocsparse_index_base_b
		.amdhsa_group_segment_fixed_size 8192
		.amdhsa_private_segment_fixed_size 0
		.amdhsa_kernarg_size 104
		.amdhsa_user_sgpr_count 15
		.amdhsa_user_sgpr_dispatch_ptr 0
		.amdhsa_user_sgpr_queue_ptr 0
		.amdhsa_user_sgpr_kernarg_segment_ptr 1
		.amdhsa_user_sgpr_dispatch_id 0
		.amdhsa_user_sgpr_private_segment_size 0
		.amdhsa_wavefront_size32 1
		.amdhsa_uses_dynamic_stack 0
		.amdhsa_enable_private_segment 0
		.amdhsa_system_sgpr_workgroup_id_x 1
		.amdhsa_system_sgpr_workgroup_id_y 0
		.amdhsa_system_sgpr_workgroup_id_z 0
		.amdhsa_system_sgpr_workgroup_info 0
		.amdhsa_system_vgpr_workitem_id 0
		.amdhsa_next_free_vgpr 11
		.amdhsa_next_free_sgpr 20
		.amdhsa_reserve_vcc 1
		.amdhsa_float_round_mode_32 0
		.amdhsa_float_round_mode_16_64 0
		.amdhsa_float_denorm_mode_32 3
		.amdhsa_float_denorm_mode_16_64 3
		.amdhsa_dx10_clamp 1
		.amdhsa_ieee_mode 1
		.amdhsa_fp16_overflow 0
		.amdhsa_workgroup_processor_mode 1
		.amdhsa_memory_ordered 1
		.amdhsa_forward_progress 0
		.amdhsa_shared_vgpr_count 0
		.amdhsa_exception_fp_ieee_invalid_op 0
		.amdhsa_exception_fp_denorm_src 0
		.amdhsa_exception_fp_ieee_div_zero 0
		.amdhsa_exception_fp_ieee_overflow 0
		.amdhsa_exception_fp_ieee_underflow 0
		.amdhsa_exception_fp_ieee_inexact 0
		.amdhsa_exception_int_div_zero 0
	.end_amdhsa_kernel
	.section	.text._ZN9rocsparseL30csrmvn_lrb_short_rows_2_kernelIlifdddEEvbT_PT0_S3_jNS_24const_host_device_scalarIT4_EEPKS1_PKS2_PKT1_PKT2_S6_PT3_21rocsparse_index_base_b,"axG",@progbits,_ZN9rocsparseL30csrmvn_lrb_short_rows_2_kernelIlifdddEEvbT_PT0_S3_jNS_24const_host_device_scalarIT4_EEPKS1_PKS2_PKT1_PKT2_S6_PT3_21rocsparse_index_base_b,comdat
.Lfunc_end177:
	.size	_ZN9rocsparseL30csrmvn_lrb_short_rows_2_kernelIlifdddEEvbT_PT0_S3_jNS_24const_host_device_scalarIT4_EEPKS1_PKS2_PKT1_PKT2_S6_PT3_21rocsparse_index_base_b, .Lfunc_end177-_ZN9rocsparseL30csrmvn_lrb_short_rows_2_kernelIlifdddEEvbT_PT0_S3_jNS_24const_host_device_scalarIT4_EEPKS1_PKS2_PKT1_PKT2_S6_PT3_21rocsparse_index_base_b
                                        ; -- End function
	.section	.AMDGPU.csdata,"",@progbits
; Kernel info:
; codeLenInByte = 1984
; NumSgprs: 22
; NumVgprs: 11
; ScratchSize: 0
; MemoryBound: 0
; FloatMode: 240
; IeeeMode: 1
; LDSByteSize: 8192 bytes/workgroup (compile time only)
; SGPRBlocks: 2
; VGPRBlocks: 1
; NumSGPRsForWavesPerEU: 22
; NumVGPRsForWavesPerEU: 11
; Occupancy: 16
; WaveLimiterHint : 1
; COMPUTE_PGM_RSRC2:SCRATCH_EN: 0
; COMPUTE_PGM_RSRC2:USER_SGPR: 15
; COMPUTE_PGM_RSRC2:TRAP_HANDLER: 0
; COMPUTE_PGM_RSRC2:TGID_X_EN: 1
; COMPUTE_PGM_RSRC2:TGID_Y_EN: 0
; COMPUTE_PGM_RSRC2:TGID_Z_EN: 0
; COMPUTE_PGM_RSRC2:TIDIG_COMP_CNT: 0
	.section	.text._ZN9rocsparseL41csrmvn_lrb_medium_rows_warp_reduce_kernelILj256ELj32ElifdddEEvbT1_lPT2_S3_jNS_24const_host_device_scalarIT6_EEPKS1_PKS2_PKT3_PKT4_S6_PT5_21rocsparse_index_base_b,"axG",@progbits,_ZN9rocsparseL41csrmvn_lrb_medium_rows_warp_reduce_kernelILj256ELj32ElifdddEEvbT1_lPT2_S3_jNS_24const_host_device_scalarIT6_EEPKS1_PKS2_PKT3_PKT4_S6_PT5_21rocsparse_index_base_b,comdat
	.globl	_ZN9rocsparseL41csrmvn_lrb_medium_rows_warp_reduce_kernelILj256ELj32ElifdddEEvbT1_lPT2_S3_jNS_24const_host_device_scalarIT6_EEPKS1_PKS2_PKT3_PKT4_S6_PT5_21rocsparse_index_base_b ; -- Begin function _ZN9rocsparseL41csrmvn_lrb_medium_rows_warp_reduce_kernelILj256ELj32ElifdddEEvbT1_lPT2_S3_jNS_24const_host_device_scalarIT6_EEPKS1_PKS2_PKT3_PKT4_S6_PT5_21rocsparse_index_base_b
	.p2align	8
	.type	_ZN9rocsparseL41csrmvn_lrb_medium_rows_warp_reduce_kernelILj256ELj32ElifdddEEvbT1_lPT2_S3_jNS_24const_host_device_scalarIT6_EEPKS1_PKS2_PKT3_PKT4_S6_PT5_21rocsparse_index_base_b,@function
_ZN9rocsparseL41csrmvn_lrb_medium_rows_warp_reduce_kernelILj256ELj32ElifdddEEvbT1_lPT2_S3_jNS_24const_host_device_scalarIT6_EEPKS1_PKS2_PKT3_PKT4_S6_PT5_21rocsparse_index_base_b: ; @_ZN9rocsparseL41csrmvn_lrb_medium_rows_warp_reduce_kernelILj256ELj32ElifdddEEvbT1_lPT2_S3_jNS_24const_host_device_scalarIT6_EEPKS1_PKS2_PKT3_PKT4_S6_PT5_21rocsparse_index_base_b
; %bb.0:
	s_clause 0x2
	s_load_b64 s[4:5], s[0:1], 0x68
	s_load_b64 s[6:7], s[0:1], 0x30
	;; [unrolled: 1-line block ×3, first 2 shown]
	s_waitcnt lgkmcnt(0)
	s_bitcmp1_b32 s5, 0
	v_dual_mov_b32 v5, s6 :: v_dual_mov_b32 v6, s7
	s_cselect_b32 s5, -1, 0
	s_delay_alu instid0(SALU_CYCLE_1)
	s_and_b32 vcc_lo, exec_lo, s5
	s_xor_b32 s5, s5, -1
	s_cbranch_vccnz .LBB178_2
; %bb.1:
	v_dual_mov_b32 v1, s6 :: v_dual_mov_b32 v2, s7
	flat_load_b64 v[5:6], v[1:2]
.LBB178_2:
	v_dual_mov_b32 v1, s2 :: v_dual_mov_b32 v2, s3
	s_and_not1_b32 vcc_lo, exec_lo, s5
	s_cbranch_vccnz .LBB178_4
; %bb.3:
	v_dual_mov_b32 v1, s2 :: v_dual_mov_b32 v2, s3
	flat_load_b64 v[1:2], v[1:2]
.LBB178_4:
	s_waitcnt vmcnt(0) lgkmcnt(0)
	v_cmp_neq_f64_e32 vcc_lo, 0, v[5:6]
	v_cmp_neq_f64_e64 s2, 1.0, v[1:2]
	s_delay_alu instid0(VALU_DEP_1) | instskip(NEXT) | instid1(SALU_CYCLE_1)
	s_or_b32 s2, vcc_lo, s2
	s_and_saveexec_b32 s3, s2
	s_cbranch_execz .LBB178_14
; %bb.5:
	s_load_b64 s[2:3], s[0:1], 0x10
	v_lshrrev_b32_e32 v3, 5, v0
	s_delay_alu instid0(VALU_DEP_1) | instskip(NEXT) | instid1(VALU_DEP_1)
	v_lshl_or_b32 v3, s15, 3, v3
	v_ashrrev_i32_e32 v4, 31, v3
	s_waitcnt lgkmcnt(0)
	s_delay_alu instid0(VALU_DEP_1)
	v_cmp_gt_i64_e32 vcc_lo, s[2:3], v[3:4]
	s_and_b32 exec_lo, exec_lo, vcc_lo
	s_cbranch_execz .LBB178_14
; %bb.6:
	s_clause 0x1
	s_load_b32 s6, s[0:1], 0x28
	s_load_b128 s[8:11], s[0:1], 0x18
	s_mov_b32 s7, 0
	v_and_b32_e32 v0, 31, v0
	s_waitcnt lgkmcnt(0)
	s_lshl_b64 s[2:3], s[6:7], 2
	s_delay_alu instid0(SALU_CYCLE_1)
	s_add_u32 s2, s10, s2
	s_addc_u32 s3, s11, s3
	s_load_b32 s2, s[2:3], 0x0
	s_waitcnt lgkmcnt(0)
	v_add_nc_u32_e32 v3, s2, v3
	s_load_b64 s[2:3], s[0:1], 0x38
	s_delay_alu instid0(VALU_DEP_1) | instskip(NEXT) | instid1(VALU_DEP_1)
	v_ashrrev_i32_e32 v4, 31, v3
	v_lshlrev_b64 v[3:4], 2, v[3:4]
	s_delay_alu instid0(VALU_DEP_1) | instskip(NEXT) | instid1(VALU_DEP_2)
	v_add_co_u32 v3, vcc_lo, s8, v3
	v_add_co_ci_u32_e32 v4, vcc_lo, s9, v4, vcc_lo
	global_load_b32 v3, v[3:4], off
	s_waitcnt vmcnt(0)
	v_ashrrev_i32_e32 v4, 31, v3
	s_delay_alu instid0(VALU_DEP_1) | instskip(SKIP_1) | instid1(VALU_DEP_1)
	v_lshlrev_b64 v[3:4], 3, v[3:4]
	s_waitcnt lgkmcnt(0)
	v_add_co_u32 v7, vcc_lo, s2, v3
	s_delay_alu instid0(VALU_DEP_2)
	v_add_co_ci_u32_e32 v8, vcc_lo, s3, v4, vcc_lo
	s_load_b64 s[2:3], s[0:1], 0x60
	global_load_b128 v[9:12], v[7:8], off
	s_waitcnt vmcnt(0)
	v_sub_co_u32 v7, vcc_lo, v11, s4
	v_subrev_co_ci_u32_e32 v8, vcc_lo, 0, v12, vcc_lo
	v_mov_b32_e32 v11, 0
	v_mov_b32_e32 v12, 0
	v_sub_co_u32 v13, s5, v0, s4
	s_delay_alu instid0(VALU_DEP_1) | instskip(SKIP_1) | instid1(VALU_DEP_2)
	v_sub_co_ci_u32_e64 v14, null, 0, 0, s5
	s_mov_b32 s5, exec_lo
	v_add_co_u32 v9, vcc_lo, v9, v13
	s_delay_alu instid0(VALU_DEP_2) | instskip(NEXT) | instid1(VALU_DEP_1)
	v_add_co_ci_u32_e32 v10, vcc_lo, v10, v14, vcc_lo
	v_cmpx_lt_i64_e64 v[9:10], v[7:8]
	s_cbranch_execz .LBB178_10
; %bb.7:
	s_clause 0x1
	s_load_b128 s[12:15], s[0:1], 0x40
	s_load_b64 s[8:9], s[0:1], 0x50
	v_lshlrev_b64 v[15:16], 2, v[9:10]
	v_mov_b32_e32 v11, 0
	v_mov_b32_e32 v12, 0
	s_waitcnt lgkmcnt(0)
	s_delay_alu instid0(VALU_DEP_3) | instskip(NEXT) | instid1(VALU_DEP_4)
	v_add_co_u32 v13, vcc_lo, s14, v15
	v_add_co_ci_u32_e32 v14, vcc_lo, s15, v16, vcc_lo
	v_add_co_u32 v15, vcc_lo, s12, v15
	v_add_co_ci_u32_e32 v16, vcc_lo, s13, v16, vcc_lo
	s_set_inst_prefetch_distance 0x1
	.p2align	6
.LBB178_8:                              ; =>This Inner Loop Header: Depth=1
	global_load_b32 v17, v[15:16], off
	global_load_b32 v19, v[13:14], off
	v_add_co_u32 v15, s0, 0x80, v15
	s_delay_alu instid0(VALU_DEP_1) | instskip(SKIP_4) | instid1(VALU_DEP_2)
	v_add_co_ci_u32_e64 v16, s0, 0, v16, s0
	s_waitcnt vmcnt(1)
	v_subrev_nc_u32_e32 v17, s4, v17
	s_waitcnt vmcnt(0)
	v_cvt_f64_f32_e32 v[19:20], v19
	v_ashrrev_i32_e32 v18, 31, v17
	s_delay_alu instid0(VALU_DEP_1) | instskip(NEXT) | instid1(VALU_DEP_1)
	v_lshlrev_b64 v[17:18], 3, v[17:18]
	v_add_co_u32 v17, vcc_lo, s8, v17
	s_delay_alu instid0(VALU_DEP_2)
	v_add_co_ci_u32_e32 v18, vcc_lo, s9, v18, vcc_lo
	v_add_co_u32 v9, vcc_lo, v9, 32
	v_add_co_ci_u32_e32 v10, vcc_lo, 0, v10, vcc_lo
	global_load_b64 v[17:18], v[17:18], off
	v_add_co_u32 v13, vcc_lo, 0x80, v13
	v_add_co_ci_u32_e32 v14, vcc_lo, 0, v14, vcc_lo
	v_cmp_ge_i64_e32 vcc_lo, v[9:10], v[7:8]
	s_or_b32 s7, vcc_lo, s7
	v_mul_f64 v[19:20], v[5:6], v[19:20]
	s_waitcnt vmcnt(0)
	s_delay_alu instid0(VALU_DEP_1)
	v_fma_f64 v[11:12], v[19:20], v[17:18], v[11:12]
	s_and_not1_b32 exec_lo, exec_lo, s7
	s_cbranch_execnz .LBB178_8
; %bb.9:
	s_set_inst_prefetch_distance 0x2
	s_or_b32 exec_lo, exec_lo, s7
.LBB178_10:
	s_delay_alu instid0(SALU_CYCLE_1) | instskip(SKIP_1) | instid1(VALU_DEP_1)
	s_or_b32 exec_lo, exec_lo, s5
	v_mbcnt_lo_u32_b32 v9, -1, 0
	v_xor_b32_e32 v5, 16, v9
	v_xor_b32_e32 v7, 8, v9
	s_delay_alu instid0(VALU_DEP_2) | instskip(SKIP_1) | instid1(VALU_DEP_3)
	v_cmp_gt_i32_e32 vcc_lo, 32, v5
	v_cndmask_b32_e32 v5, v9, v5, vcc_lo
	v_cmp_gt_i32_e32 vcc_lo, 32, v7
	v_cndmask_b32_e32 v7, v9, v7, vcc_lo
	s_delay_alu instid0(VALU_DEP_1) | instskip(NEXT) | instid1(VALU_DEP_4)
	v_lshlrev_b32_e32 v8, 2, v7
	v_lshlrev_b32_e32 v6, 2, v5
	ds_bpermute_b32 v5, v6, v11
	ds_bpermute_b32 v6, v6, v12
	s_waitcnt lgkmcnt(0)
	v_add_f64 v[5:6], v[11:12], v[5:6]
	ds_bpermute_b32 v7, v8, v5
	ds_bpermute_b32 v8, v8, v6
	s_waitcnt lgkmcnt(0)
	v_add_f64 v[5:6], v[5:6], v[7:8]
	v_xor_b32_e32 v7, 4, v9
	s_delay_alu instid0(VALU_DEP_1) | instskip(SKIP_1) | instid1(VALU_DEP_1)
	v_cmp_gt_i32_e32 vcc_lo, 32, v7
	v_cndmask_b32_e32 v7, v9, v7, vcc_lo
	v_lshlrev_b32_e32 v8, 2, v7
	ds_bpermute_b32 v7, v8, v5
	ds_bpermute_b32 v8, v8, v6
	s_waitcnt lgkmcnt(0)
	v_add_f64 v[5:6], v[5:6], v[7:8]
	v_xor_b32_e32 v7, 2, v9
	s_delay_alu instid0(VALU_DEP_1) | instskip(SKIP_1) | instid1(VALU_DEP_1)
	v_cmp_gt_i32_e32 vcc_lo, 32, v7
	v_cndmask_b32_e32 v7, v9, v7, vcc_lo
	v_lshlrev_b32_e32 v8, 2, v7
	ds_bpermute_b32 v7, v8, v5
	ds_bpermute_b32 v8, v8, v6
	s_waitcnt lgkmcnt(0)
	v_add_f64 v[5:6], v[5:6], v[7:8]
	v_xor_b32_e32 v7, 1, v9
	s_delay_alu instid0(VALU_DEP_1) | instskip(SKIP_2) | instid1(VALU_DEP_2)
	v_cmp_gt_i32_e32 vcc_lo, 32, v7
	v_cndmask_b32_e32 v7, v9, v7, vcc_lo
	v_cmp_eq_u32_e32 vcc_lo, 31, v0
	v_lshlrev_b32_e32 v8, 2, v7
	ds_bpermute_b32 v7, v8, v5
	ds_bpermute_b32 v8, v8, v6
	s_and_b32 exec_lo, exec_lo, vcc_lo
	s_cbranch_execz .LBB178_14
; %bb.11:
	s_waitcnt lgkmcnt(0)
	v_add_f64 v[5:6], v[5:6], v[7:8]
	s_mov_b32 s0, exec_lo
	v_cmpx_neq_f64_e32 0, v[1:2]
	s_cbranch_execz .LBB178_13
; %bb.12:
	v_add_co_u32 v7, vcc_lo, s2, v3
	v_add_co_ci_u32_e32 v8, vcc_lo, s3, v4, vcc_lo
	global_load_b64 v[7:8], v[7:8], off
	s_waitcnt vmcnt(0)
	v_fma_f64 v[5:6], v[1:2], v[7:8], v[5:6]
.LBB178_13:
	s_or_b32 exec_lo, exec_lo, s0
	v_add_co_u32 v0, vcc_lo, s2, v3
	v_add_co_ci_u32_e32 v1, vcc_lo, s3, v4, vcc_lo
	global_store_b64 v[0:1], v[5:6], off
.LBB178_14:
	s_nop 0
	s_sendmsg sendmsg(MSG_DEALLOC_VGPRS)
	s_endpgm
	.section	.rodata,"a",@progbits
	.p2align	6, 0x0
	.amdhsa_kernel _ZN9rocsparseL41csrmvn_lrb_medium_rows_warp_reduce_kernelILj256ELj32ElifdddEEvbT1_lPT2_S3_jNS_24const_host_device_scalarIT6_EEPKS1_PKS2_PKT3_PKT4_S6_PT5_21rocsparse_index_base_b
		.amdhsa_group_segment_fixed_size 0
		.amdhsa_private_segment_fixed_size 0
		.amdhsa_kernarg_size 112
		.amdhsa_user_sgpr_count 15
		.amdhsa_user_sgpr_dispatch_ptr 0
		.amdhsa_user_sgpr_queue_ptr 0
		.amdhsa_user_sgpr_kernarg_segment_ptr 1
		.amdhsa_user_sgpr_dispatch_id 0
		.amdhsa_user_sgpr_private_segment_size 0
		.amdhsa_wavefront_size32 1
		.amdhsa_uses_dynamic_stack 0
		.amdhsa_enable_private_segment 0
		.amdhsa_system_sgpr_workgroup_id_x 1
		.amdhsa_system_sgpr_workgroup_id_y 0
		.amdhsa_system_sgpr_workgroup_id_z 0
		.amdhsa_system_sgpr_workgroup_info 0
		.amdhsa_system_vgpr_workitem_id 0
		.amdhsa_next_free_vgpr 21
		.amdhsa_next_free_sgpr 16
		.amdhsa_reserve_vcc 1
		.amdhsa_float_round_mode_32 0
		.amdhsa_float_round_mode_16_64 0
		.amdhsa_float_denorm_mode_32 3
		.amdhsa_float_denorm_mode_16_64 3
		.amdhsa_dx10_clamp 1
		.amdhsa_ieee_mode 1
		.amdhsa_fp16_overflow 0
		.amdhsa_workgroup_processor_mode 1
		.amdhsa_memory_ordered 1
		.amdhsa_forward_progress 0
		.amdhsa_shared_vgpr_count 0
		.amdhsa_exception_fp_ieee_invalid_op 0
		.amdhsa_exception_fp_denorm_src 0
		.amdhsa_exception_fp_ieee_div_zero 0
		.amdhsa_exception_fp_ieee_overflow 0
		.amdhsa_exception_fp_ieee_underflow 0
		.amdhsa_exception_fp_ieee_inexact 0
		.amdhsa_exception_int_div_zero 0
	.end_amdhsa_kernel
	.section	.text._ZN9rocsparseL41csrmvn_lrb_medium_rows_warp_reduce_kernelILj256ELj32ElifdddEEvbT1_lPT2_S3_jNS_24const_host_device_scalarIT6_EEPKS1_PKS2_PKT3_PKT4_S6_PT5_21rocsparse_index_base_b,"axG",@progbits,_ZN9rocsparseL41csrmvn_lrb_medium_rows_warp_reduce_kernelILj256ELj32ElifdddEEvbT1_lPT2_S3_jNS_24const_host_device_scalarIT6_EEPKS1_PKS2_PKT3_PKT4_S6_PT5_21rocsparse_index_base_b,comdat
.Lfunc_end178:
	.size	_ZN9rocsparseL41csrmvn_lrb_medium_rows_warp_reduce_kernelILj256ELj32ElifdddEEvbT1_lPT2_S3_jNS_24const_host_device_scalarIT6_EEPKS1_PKS2_PKT3_PKT4_S6_PT5_21rocsparse_index_base_b, .Lfunc_end178-_ZN9rocsparseL41csrmvn_lrb_medium_rows_warp_reduce_kernelILj256ELj32ElifdddEEvbT1_lPT2_S3_jNS_24const_host_device_scalarIT6_EEPKS1_PKS2_PKT3_PKT4_S6_PT5_21rocsparse_index_base_b
                                        ; -- End function
	.section	.AMDGPU.csdata,"",@progbits
; Kernel info:
; codeLenInByte = 1028
; NumSgprs: 18
; NumVgprs: 21
; ScratchSize: 0
; MemoryBound: 0
; FloatMode: 240
; IeeeMode: 1
; LDSByteSize: 0 bytes/workgroup (compile time only)
; SGPRBlocks: 2
; VGPRBlocks: 2
; NumSGPRsForWavesPerEU: 18
; NumVGPRsForWavesPerEU: 21
; Occupancy: 16
; WaveLimiterHint : 1
; COMPUTE_PGM_RSRC2:SCRATCH_EN: 0
; COMPUTE_PGM_RSRC2:USER_SGPR: 15
; COMPUTE_PGM_RSRC2:TRAP_HANDLER: 0
; COMPUTE_PGM_RSRC2:TGID_X_EN: 1
; COMPUTE_PGM_RSRC2:TGID_Y_EN: 0
; COMPUTE_PGM_RSRC2:TGID_Z_EN: 0
; COMPUTE_PGM_RSRC2:TIDIG_COMP_CNT: 0
	.section	.text._ZN9rocsparseL41csrmvn_lrb_medium_rows_warp_reduce_kernelILj256ELj64ElifdddEEvbT1_lPT2_S3_jNS_24const_host_device_scalarIT6_EEPKS1_PKS2_PKT3_PKT4_S6_PT5_21rocsparse_index_base_b,"axG",@progbits,_ZN9rocsparseL41csrmvn_lrb_medium_rows_warp_reduce_kernelILj256ELj64ElifdddEEvbT1_lPT2_S3_jNS_24const_host_device_scalarIT6_EEPKS1_PKS2_PKT3_PKT4_S6_PT5_21rocsparse_index_base_b,comdat
	.globl	_ZN9rocsparseL41csrmvn_lrb_medium_rows_warp_reduce_kernelILj256ELj64ElifdddEEvbT1_lPT2_S3_jNS_24const_host_device_scalarIT6_EEPKS1_PKS2_PKT3_PKT4_S6_PT5_21rocsparse_index_base_b ; -- Begin function _ZN9rocsparseL41csrmvn_lrb_medium_rows_warp_reduce_kernelILj256ELj64ElifdddEEvbT1_lPT2_S3_jNS_24const_host_device_scalarIT6_EEPKS1_PKS2_PKT3_PKT4_S6_PT5_21rocsparse_index_base_b
	.p2align	8
	.type	_ZN9rocsparseL41csrmvn_lrb_medium_rows_warp_reduce_kernelILj256ELj64ElifdddEEvbT1_lPT2_S3_jNS_24const_host_device_scalarIT6_EEPKS1_PKS2_PKT3_PKT4_S6_PT5_21rocsparse_index_base_b,@function
_ZN9rocsparseL41csrmvn_lrb_medium_rows_warp_reduce_kernelILj256ELj64ElifdddEEvbT1_lPT2_S3_jNS_24const_host_device_scalarIT6_EEPKS1_PKS2_PKT3_PKT4_S6_PT5_21rocsparse_index_base_b: ; @_ZN9rocsparseL41csrmvn_lrb_medium_rows_warp_reduce_kernelILj256ELj64ElifdddEEvbT1_lPT2_S3_jNS_24const_host_device_scalarIT6_EEPKS1_PKS2_PKT3_PKT4_S6_PT5_21rocsparse_index_base_b
; %bb.0:
	s_clause 0x2
	s_load_b64 s[4:5], s[0:1], 0x68
	s_load_b64 s[6:7], s[0:1], 0x30
	;; [unrolled: 1-line block ×3, first 2 shown]
	s_waitcnt lgkmcnt(0)
	s_bitcmp1_b32 s5, 0
	v_dual_mov_b32 v5, s6 :: v_dual_mov_b32 v6, s7
	s_cselect_b32 s5, -1, 0
	s_delay_alu instid0(SALU_CYCLE_1)
	s_and_b32 vcc_lo, exec_lo, s5
	s_xor_b32 s5, s5, -1
	s_cbranch_vccnz .LBB179_2
; %bb.1:
	v_dual_mov_b32 v1, s6 :: v_dual_mov_b32 v2, s7
	flat_load_b64 v[5:6], v[1:2]
.LBB179_2:
	v_dual_mov_b32 v1, s2 :: v_dual_mov_b32 v2, s3
	s_and_not1_b32 vcc_lo, exec_lo, s5
	s_cbranch_vccnz .LBB179_4
; %bb.3:
	v_dual_mov_b32 v1, s2 :: v_dual_mov_b32 v2, s3
	flat_load_b64 v[1:2], v[1:2]
.LBB179_4:
	s_waitcnt vmcnt(0) lgkmcnt(0)
	v_cmp_neq_f64_e32 vcc_lo, 0, v[5:6]
	v_cmp_neq_f64_e64 s2, 1.0, v[1:2]
	s_delay_alu instid0(VALU_DEP_1) | instskip(NEXT) | instid1(SALU_CYCLE_1)
	s_or_b32 s2, vcc_lo, s2
	s_and_saveexec_b32 s3, s2
	s_cbranch_execz .LBB179_14
; %bb.5:
	s_load_b64 s[2:3], s[0:1], 0x10
	v_lshrrev_b32_e32 v3, 6, v0
	s_delay_alu instid0(VALU_DEP_1) | instskip(NEXT) | instid1(VALU_DEP_1)
	v_lshl_or_b32 v3, s15, 2, v3
	v_ashrrev_i32_e32 v4, 31, v3
	s_waitcnt lgkmcnt(0)
	s_delay_alu instid0(VALU_DEP_1)
	v_cmp_gt_i64_e32 vcc_lo, s[2:3], v[3:4]
	s_and_b32 exec_lo, exec_lo, vcc_lo
	s_cbranch_execz .LBB179_14
; %bb.6:
	s_clause 0x1
	s_load_b32 s6, s[0:1], 0x28
	s_load_b128 s[8:11], s[0:1], 0x18
	s_mov_b32 s7, 0
	v_and_b32_e32 v0, 63, v0
	s_waitcnt lgkmcnt(0)
	s_lshl_b64 s[2:3], s[6:7], 2
	s_delay_alu instid0(SALU_CYCLE_1)
	s_add_u32 s2, s10, s2
	s_addc_u32 s3, s11, s3
	s_load_b32 s2, s[2:3], 0x0
	s_waitcnt lgkmcnt(0)
	v_add_nc_u32_e32 v3, s2, v3
	s_load_b64 s[2:3], s[0:1], 0x38
	s_delay_alu instid0(VALU_DEP_1) | instskip(NEXT) | instid1(VALU_DEP_1)
	v_ashrrev_i32_e32 v4, 31, v3
	v_lshlrev_b64 v[3:4], 2, v[3:4]
	s_delay_alu instid0(VALU_DEP_1) | instskip(NEXT) | instid1(VALU_DEP_2)
	v_add_co_u32 v3, vcc_lo, s8, v3
	v_add_co_ci_u32_e32 v4, vcc_lo, s9, v4, vcc_lo
	global_load_b32 v3, v[3:4], off
	s_waitcnt vmcnt(0)
	v_ashrrev_i32_e32 v4, 31, v3
	s_delay_alu instid0(VALU_DEP_1) | instskip(SKIP_1) | instid1(VALU_DEP_1)
	v_lshlrev_b64 v[3:4], 3, v[3:4]
	s_waitcnt lgkmcnt(0)
	v_add_co_u32 v7, vcc_lo, s2, v3
	s_delay_alu instid0(VALU_DEP_2)
	v_add_co_ci_u32_e32 v8, vcc_lo, s3, v4, vcc_lo
	s_load_b64 s[2:3], s[0:1], 0x60
	global_load_b128 v[9:12], v[7:8], off
	s_waitcnt vmcnt(0)
	v_sub_co_u32 v7, vcc_lo, v11, s4
	v_subrev_co_ci_u32_e32 v8, vcc_lo, 0, v12, vcc_lo
	v_mov_b32_e32 v11, 0
	v_mov_b32_e32 v12, 0
	v_sub_co_u32 v13, s5, v0, s4
	s_delay_alu instid0(VALU_DEP_1) | instskip(SKIP_1) | instid1(VALU_DEP_2)
	v_sub_co_ci_u32_e64 v14, null, 0, 0, s5
	s_mov_b32 s5, exec_lo
	v_add_co_u32 v9, vcc_lo, v9, v13
	s_delay_alu instid0(VALU_DEP_2) | instskip(NEXT) | instid1(VALU_DEP_1)
	v_add_co_ci_u32_e32 v10, vcc_lo, v10, v14, vcc_lo
	v_cmpx_lt_i64_e64 v[9:10], v[7:8]
	s_cbranch_execz .LBB179_10
; %bb.7:
	s_clause 0x1
	s_load_b128 s[12:15], s[0:1], 0x40
	s_load_b64 s[8:9], s[0:1], 0x50
	v_lshlrev_b64 v[15:16], 2, v[9:10]
	v_mov_b32_e32 v11, 0
	v_mov_b32_e32 v12, 0
	s_waitcnt lgkmcnt(0)
	s_delay_alu instid0(VALU_DEP_3) | instskip(NEXT) | instid1(VALU_DEP_4)
	v_add_co_u32 v13, vcc_lo, s14, v15
	v_add_co_ci_u32_e32 v14, vcc_lo, s15, v16, vcc_lo
	v_add_co_u32 v15, vcc_lo, s12, v15
	v_add_co_ci_u32_e32 v16, vcc_lo, s13, v16, vcc_lo
	s_set_inst_prefetch_distance 0x1
	.p2align	6
.LBB179_8:                              ; =>This Inner Loop Header: Depth=1
	global_load_b32 v17, v[15:16], off
	global_load_b32 v19, v[13:14], off
	v_add_co_u32 v15, s0, 0x100, v15
	s_delay_alu instid0(VALU_DEP_1) | instskip(SKIP_4) | instid1(VALU_DEP_2)
	v_add_co_ci_u32_e64 v16, s0, 0, v16, s0
	s_waitcnt vmcnt(1)
	v_subrev_nc_u32_e32 v17, s4, v17
	s_waitcnt vmcnt(0)
	v_cvt_f64_f32_e32 v[19:20], v19
	v_ashrrev_i32_e32 v18, 31, v17
	s_delay_alu instid0(VALU_DEP_1) | instskip(NEXT) | instid1(VALU_DEP_1)
	v_lshlrev_b64 v[17:18], 3, v[17:18]
	v_add_co_u32 v17, vcc_lo, s8, v17
	s_delay_alu instid0(VALU_DEP_2)
	v_add_co_ci_u32_e32 v18, vcc_lo, s9, v18, vcc_lo
	v_add_co_u32 v9, vcc_lo, v9, 64
	v_add_co_ci_u32_e32 v10, vcc_lo, 0, v10, vcc_lo
	global_load_b64 v[17:18], v[17:18], off
	v_add_co_u32 v13, vcc_lo, 0x100, v13
	v_add_co_ci_u32_e32 v14, vcc_lo, 0, v14, vcc_lo
	v_cmp_ge_i64_e32 vcc_lo, v[9:10], v[7:8]
	s_or_b32 s7, vcc_lo, s7
	v_mul_f64 v[19:20], v[5:6], v[19:20]
	s_waitcnt vmcnt(0)
	s_delay_alu instid0(VALU_DEP_1)
	v_fma_f64 v[11:12], v[19:20], v[17:18], v[11:12]
	s_and_not1_b32 exec_lo, exec_lo, s7
	s_cbranch_execnz .LBB179_8
; %bb.9:
	s_set_inst_prefetch_distance 0x2
	s_or_b32 exec_lo, exec_lo, s7
.LBB179_10:
	s_delay_alu instid0(SALU_CYCLE_1) | instskip(SKIP_1) | instid1(VALU_DEP_1)
	s_or_b32 exec_lo, exec_lo, s5
	v_mbcnt_lo_u32_b32 v9, -1, 0
	v_or_b32_e32 v5, 32, v9
	v_xor_b32_e32 v7, 16, v9
	s_delay_alu instid0(VALU_DEP_2) | instskip(SKIP_1) | instid1(VALU_DEP_3)
	v_cmp_gt_i32_e32 vcc_lo, 32, v5
	v_cndmask_b32_e32 v5, v9, v5, vcc_lo
	v_cmp_gt_i32_e32 vcc_lo, 32, v7
	v_cndmask_b32_e32 v7, v9, v7, vcc_lo
	s_delay_alu instid0(VALU_DEP_1) | instskip(NEXT) | instid1(VALU_DEP_4)
	v_lshlrev_b32_e32 v8, 2, v7
	v_lshlrev_b32_e32 v6, 2, v5
	ds_bpermute_b32 v5, v6, v11
	ds_bpermute_b32 v6, v6, v12
	s_waitcnt lgkmcnt(0)
	v_add_f64 v[5:6], v[11:12], v[5:6]
	ds_bpermute_b32 v7, v8, v5
	ds_bpermute_b32 v8, v8, v6
	s_waitcnt lgkmcnt(0)
	v_add_f64 v[5:6], v[5:6], v[7:8]
	v_xor_b32_e32 v7, 8, v9
	s_delay_alu instid0(VALU_DEP_1) | instskip(SKIP_1) | instid1(VALU_DEP_1)
	v_cmp_gt_i32_e32 vcc_lo, 32, v7
	v_cndmask_b32_e32 v7, v9, v7, vcc_lo
	v_lshlrev_b32_e32 v8, 2, v7
	ds_bpermute_b32 v7, v8, v5
	ds_bpermute_b32 v8, v8, v6
	s_waitcnt lgkmcnt(0)
	v_add_f64 v[5:6], v[5:6], v[7:8]
	v_xor_b32_e32 v7, 4, v9
	s_delay_alu instid0(VALU_DEP_1) | instskip(SKIP_1) | instid1(VALU_DEP_1)
	v_cmp_gt_i32_e32 vcc_lo, 32, v7
	v_cndmask_b32_e32 v7, v9, v7, vcc_lo
	v_lshlrev_b32_e32 v8, 2, v7
	;; [unrolled: 9-line block ×3, first 2 shown]
	ds_bpermute_b32 v7, v8, v5
	ds_bpermute_b32 v8, v8, v6
	s_waitcnt lgkmcnt(0)
	v_add_f64 v[5:6], v[5:6], v[7:8]
	v_xor_b32_e32 v7, 1, v9
	s_delay_alu instid0(VALU_DEP_1) | instskip(SKIP_2) | instid1(VALU_DEP_2)
	v_cmp_gt_i32_e32 vcc_lo, 32, v7
	v_cndmask_b32_e32 v7, v9, v7, vcc_lo
	v_cmp_eq_u32_e32 vcc_lo, 63, v0
	v_lshlrev_b32_e32 v8, 2, v7
	ds_bpermute_b32 v7, v8, v5
	ds_bpermute_b32 v8, v8, v6
	s_and_b32 exec_lo, exec_lo, vcc_lo
	s_cbranch_execz .LBB179_14
; %bb.11:
	s_waitcnt lgkmcnt(0)
	v_add_f64 v[5:6], v[5:6], v[7:8]
	s_mov_b32 s0, exec_lo
	v_cmpx_neq_f64_e32 0, v[1:2]
	s_cbranch_execz .LBB179_13
; %bb.12:
	v_add_co_u32 v7, vcc_lo, s2, v3
	v_add_co_ci_u32_e32 v8, vcc_lo, s3, v4, vcc_lo
	global_load_b64 v[7:8], v[7:8], off
	s_waitcnt vmcnt(0)
	v_fma_f64 v[5:6], v[1:2], v[7:8], v[5:6]
.LBB179_13:
	s_or_b32 exec_lo, exec_lo, s0
	v_add_co_u32 v0, vcc_lo, s2, v3
	v_add_co_ci_u32_e32 v1, vcc_lo, s3, v4, vcc_lo
	global_store_b64 v[0:1], v[5:6], off
.LBB179_14:
	s_nop 0
	s_sendmsg sendmsg(MSG_DEALLOC_VGPRS)
	s_endpgm
	.section	.rodata,"a",@progbits
	.p2align	6, 0x0
	.amdhsa_kernel _ZN9rocsparseL41csrmvn_lrb_medium_rows_warp_reduce_kernelILj256ELj64ElifdddEEvbT1_lPT2_S3_jNS_24const_host_device_scalarIT6_EEPKS1_PKS2_PKT3_PKT4_S6_PT5_21rocsparse_index_base_b
		.amdhsa_group_segment_fixed_size 0
		.amdhsa_private_segment_fixed_size 0
		.amdhsa_kernarg_size 112
		.amdhsa_user_sgpr_count 15
		.amdhsa_user_sgpr_dispatch_ptr 0
		.amdhsa_user_sgpr_queue_ptr 0
		.amdhsa_user_sgpr_kernarg_segment_ptr 1
		.amdhsa_user_sgpr_dispatch_id 0
		.amdhsa_user_sgpr_private_segment_size 0
		.amdhsa_wavefront_size32 1
		.amdhsa_uses_dynamic_stack 0
		.amdhsa_enable_private_segment 0
		.amdhsa_system_sgpr_workgroup_id_x 1
		.amdhsa_system_sgpr_workgroup_id_y 0
		.amdhsa_system_sgpr_workgroup_id_z 0
		.amdhsa_system_sgpr_workgroup_info 0
		.amdhsa_system_vgpr_workitem_id 0
		.amdhsa_next_free_vgpr 21
		.amdhsa_next_free_sgpr 16
		.amdhsa_reserve_vcc 1
		.amdhsa_float_round_mode_32 0
		.amdhsa_float_round_mode_16_64 0
		.amdhsa_float_denorm_mode_32 3
		.amdhsa_float_denorm_mode_16_64 3
		.amdhsa_dx10_clamp 1
		.amdhsa_ieee_mode 1
		.amdhsa_fp16_overflow 0
		.amdhsa_workgroup_processor_mode 1
		.amdhsa_memory_ordered 1
		.amdhsa_forward_progress 0
		.amdhsa_shared_vgpr_count 0
		.amdhsa_exception_fp_ieee_invalid_op 0
		.amdhsa_exception_fp_denorm_src 0
		.amdhsa_exception_fp_ieee_div_zero 0
		.amdhsa_exception_fp_ieee_overflow 0
		.amdhsa_exception_fp_ieee_underflow 0
		.amdhsa_exception_fp_ieee_inexact 0
		.amdhsa_exception_int_div_zero 0
	.end_amdhsa_kernel
	.section	.text._ZN9rocsparseL41csrmvn_lrb_medium_rows_warp_reduce_kernelILj256ELj64ElifdddEEvbT1_lPT2_S3_jNS_24const_host_device_scalarIT6_EEPKS1_PKS2_PKT3_PKT4_S6_PT5_21rocsparse_index_base_b,"axG",@progbits,_ZN9rocsparseL41csrmvn_lrb_medium_rows_warp_reduce_kernelILj256ELj64ElifdddEEvbT1_lPT2_S3_jNS_24const_host_device_scalarIT6_EEPKS1_PKS2_PKT3_PKT4_S6_PT5_21rocsparse_index_base_b,comdat
.Lfunc_end179:
	.size	_ZN9rocsparseL41csrmvn_lrb_medium_rows_warp_reduce_kernelILj256ELj64ElifdddEEvbT1_lPT2_S3_jNS_24const_host_device_scalarIT6_EEPKS1_PKS2_PKT3_PKT4_S6_PT5_21rocsparse_index_base_b, .Lfunc_end179-_ZN9rocsparseL41csrmvn_lrb_medium_rows_warp_reduce_kernelILj256ELj64ElifdddEEvbT1_lPT2_S3_jNS_24const_host_device_scalarIT6_EEPKS1_PKS2_PKT3_PKT4_S6_PT5_21rocsparse_index_base_b
                                        ; -- End function
	.section	.AMDGPU.csdata,"",@progbits
; Kernel info:
; codeLenInByte = 1076
; NumSgprs: 18
; NumVgprs: 21
; ScratchSize: 0
; MemoryBound: 0
; FloatMode: 240
; IeeeMode: 1
; LDSByteSize: 0 bytes/workgroup (compile time only)
; SGPRBlocks: 2
; VGPRBlocks: 2
; NumSGPRsForWavesPerEU: 18
; NumVGPRsForWavesPerEU: 21
; Occupancy: 16
; WaveLimiterHint : 1
; COMPUTE_PGM_RSRC2:SCRATCH_EN: 0
; COMPUTE_PGM_RSRC2:USER_SGPR: 15
; COMPUTE_PGM_RSRC2:TRAP_HANDLER: 0
; COMPUTE_PGM_RSRC2:TGID_X_EN: 1
; COMPUTE_PGM_RSRC2:TGID_Y_EN: 0
; COMPUTE_PGM_RSRC2:TGID_Z_EN: 0
; COMPUTE_PGM_RSRC2:TIDIG_COMP_CNT: 0
	.section	.text._ZN9rocsparseL29csrmvn_lrb_medium_rows_kernelILj256ElifdddEEvbT0_PT1_S3_jNS_24const_host_device_scalarIT5_EEPKS1_PKS2_PKT2_PKT3_S6_PT4_21rocsparse_index_base_b,"axG",@progbits,_ZN9rocsparseL29csrmvn_lrb_medium_rows_kernelILj256ElifdddEEvbT0_PT1_S3_jNS_24const_host_device_scalarIT5_EEPKS1_PKS2_PKT2_PKT3_S6_PT4_21rocsparse_index_base_b,comdat
	.globl	_ZN9rocsparseL29csrmvn_lrb_medium_rows_kernelILj256ElifdddEEvbT0_PT1_S3_jNS_24const_host_device_scalarIT5_EEPKS1_PKS2_PKT2_PKT3_S6_PT4_21rocsparse_index_base_b ; -- Begin function _ZN9rocsparseL29csrmvn_lrb_medium_rows_kernelILj256ElifdddEEvbT0_PT1_S3_jNS_24const_host_device_scalarIT5_EEPKS1_PKS2_PKT2_PKT3_S6_PT4_21rocsparse_index_base_b
	.p2align	8
	.type	_ZN9rocsparseL29csrmvn_lrb_medium_rows_kernelILj256ElifdddEEvbT0_PT1_S3_jNS_24const_host_device_scalarIT5_EEPKS1_PKS2_PKT2_PKT3_S6_PT4_21rocsparse_index_base_b,@function
_ZN9rocsparseL29csrmvn_lrb_medium_rows_kernelILj256ElifdddEEvbT0_PT1_S3_jNS_24const_host_device_scalarIT5_EEPKS1_PKS2_PKT2_PKT3_S6_PT4_21rocsparse_index_base_b: ; @_ZN9rocsparseL29csrmvn_lrb_medium_rows_kernelILj256ElifdddEEvbT0_PT1_S3_jNS_24const_host_device_scalarIT5_EEPKS1_PKS2_PKT2_PKT3_S6_PT4_21rocsparse_index_base_b
; %bb.0:
	s_clause 0x2
	s_load_b64 s[6:7], s[0:1], 0x60
	s_load_b64 s[4:5], s[0:1], 0x28
	;; [unrolled: 1-line block ×3, first 2 shown]
	s_waitcnt lgkmcnt(0)
	s_bitcmp1_b32 s7, 0
	v_dual_mov_b32 v3, s4 :: v_dual_mov_b32 v4, s5
	s_cselect_b32 s7, -1, 0
	s_delay_alu instid0(SALU_CYCLE_1)
	s_and_b32 vcc_lo, exec_lo, s7
	s_xor_b32 s7, s7, -1
	s_cbranch_vccnz .LBB180_2
; %bb.1:
	v_dual_mov_b32 v1, s4 :: v_dual_mov_b32 v2, s5
	flat_load_b64 v[3:4], v[1:2]
.LBB180_2:
	v_dual_mov_b32 v1, s2 :: v_dual_mov_b32 v2, s3
	s_and_not1_b32 vcc_lo, exec_lo, s7
	s_cbranch_vccnz .LBB180_4
; %bb.3:
	v_dual_mov_b32 v1, s2 :: v_dual_mov_b32 v2, s3
	flat_load_b64 v[1:2], v[1:2]
.LBB180_4:
	s_waitcnt vmcnt(0) lgkmcnt(0)
	v_cmp_neq_f64_e32 vcc_lo, 0, v[3:4]
	v_cmp_neq_f64_e64 s2, 1.0, v[1:2]
	s_delay_alu instid0(VALU_DEP_1) | instskip(NEXT) | instid1(SALU_CYCLE_1)
	s_or_b32 s2, vcc_lo, s2
	s_and_saveexec_b32 s3, s2
	s_cbranch_execz .LBB180_29
; %bb.5:
	s_clause 0x1
	s_load_b32 s8, s[0:1], 0x20
	s_load_b128 s[16:19], s[0:1], 0x10
	s_mov_b32 s9, 0
	v_sub_co_u32 v5, s7, v0, s6
	s_delay_alu instid0(VALU_DEP_1)
	v_sub_co_ci_u32_e64 v6, null, 0, 0, s7
	v_mov_b32_e32 v7, 0
	v_mov_b32_e32 v8, 0
	s_mov_b32 s7, exec_lo
	s_waitcnt lgkmcnt(0)
	s_lshl_b64 s[2:3], s[8:9], 2
	s_delay_alu instid0(SALU_CYCLE_1) | instskip(SKIP_4) | instid1(SALU_CYCLE_1)
	s_add_u32 s2, s18, s2
	s_addc_u32 s3, s19, s3
	s_load_b32 s2, s[2:3], 0x0
	s_waitcnt lgkmcnt(0)
	s_add_i32 s2, s2, s15
	s_ashr_i32 s3, s2, 31
	s_delay_alu instid0(SALU_CYCLE_1) | instskip(NEXT) | instid1(SALU_CYCLE_1)
	s_lshl_b64 s[2:3], s[2:3], 2
	s_add_u32 s2, s16, s2
	s_addc_u32 s3, s17, s3
	s_load_b32 s2, s[2:3], 0x0
	s_load_b64 s[4:5], s[0:1], 0x30
	s_waitcnt lgkmcnt(0)
	s_ashr_i32 s3, s2, 31
	s_delay_alu instid0(SALU_CYCLE_1) | instskip(NEXT) | instid1(SALU_CYCLE_1)
	s_lshl_b64 s[2:3], s[2:3], 3
	s_add_u32 s4, s4, s2
	s_addc_u32 s5, s5, s3
	s_load_b128 s[12:15], s[4:5], 0x0
	s_load_b64 s[4:5], s[0:1], 0x58
	s_waitcnt lgkmcnt(0)
	v_add_co_u32 v5, vcc_lo, s12, v5
	v_add_co_ci_u32_e32 v6, vcc_lo, s13, v6, vcc_lo
	s_sub_u32 s10, s14, s6
	s_subb_u32 s11, s15, 0
	s_delay_alu instid0(VALU_DEP_1) | instid1(SALU_CYCLE_1)
	v_cmpx_gt_i64_e64 s[10:11], v[5:6]
	s_cbranch_execz .LBB180_9
; %bb.6:
	s_clause 0x1
	s_load_b128 s[16:19], s[0:1], 0x38
	s_load_b64 s[12:13], s[0:1], 0x48
	v_lshlrev_b64 v[11:12], 2, v[5:6]
	v_mov_b32_e32 v7, 0
	v_mov_b32_e32 v8, 0
	s_waitcnt lgkmcnt(0)
	s_delay_alu instid0(VALU_DEP_3) | instskip(NEXT) | instid1(VALU_DEP_4)
	v_add_co_u32 v9, vcc_lo, s18, v11
	v_add_co_ci_u32_e32 v10, vcc_lo, s19, v12, vcc_lo
	v_add_co_u32 v11, vcc_lo, s16, v11
	v_add_co_ci_u32_e32 v12, vcc_lo, s17, v12, vcc_lo
	s_set_inst_prefetch_distance 0x1
	.p2align	6
.LBB180_7:                              ; =>This Inner Loop Header: Depth=1
	global_load_b32 v13, v[11:12], off
	global_load_b32 v15, v[9:10], off
	v_add_co_u32 v11, s0, 0x400, v11
	s_delay_alu instid0(VALU_DEP_1) | instskip(SKIP_4) | instid1(VALU_DEP_2)
	v_add_co_ci_u32_e64 v12, s0, 0, v12, s0
	s_waitcnt vmcnt(1)
	v_subrev_nc_u32_e32 v13, s6, v13
	s_waitcnt vmcnt(0)
	v_cvt_f64_f32_e32 v[15:16], v15
	v_ashrrev_i32_e32 v14, 31, v13
	s_delay_alu instid0(VALU_DEP_1) | instskip(NEXT) | instid1(VALU_DEP_1)
	v_lshlrev_b64 v[13:14], 3, v[13:14]
	v_add_co_u32 v13, vcc_lo, s12, v13
	s_delay_alu instid0(VALU_DEP_2)
	v_add_co_ci_u32_e32 v14, vcc_lo, s13, v14, vcc_lo
	v_add_co_u32 v5, vcc_lo, 0x100, v5
	v_add_co_ci_u32_e32 v6, vcc_lo, 0, v6, vcc_lo
	global_load_b64 v[13:14], v[13:14], off
	v_add_co_u32 v9, vcc_lo, 0x400, v9
	v_add_co_ci_u32_e32 v10, vcc_lo, 0, v10, vcc_lo
	v_cmp_le_i64_e32 vcc_lo, s[10:11], v[5:6]
	s_or_b32 s9, vcc_lo, s9
	v_mul_f64 v[15:16], v[3:4], v[15:16]
	s_waitcnt vmcnt(0)
	s_delay_alu instid0(VALU_DEP_1)
	v_fma_f64 v[7:8], v[15:16], v[13:14], v[7:8]
	s_and_not1_b32 exec_lo, exec_lo, s9
	s_cbranch_execnz .LBB180_7
; %bb.8:
	s_set_inst_prefetch_distance 0x2
	s_or_b32 exec_lo, exec_lo, s9
.LBB180_9:
	s_delay_alu instid0(SALU_CYCLE_1)
	s_or_b32 exec_lo, exec_lo, s7
	v_lshlrev_b32_e32 v3, 3, v0
	s_mov_b32 s0, exec_lo
	ds_store_b64 v3, v[7:8]
	s_waitcnt lgkmcnt(0)
	s_barrier
	buffer_gl0_inv
	v_cmpx_gt_u32_e32 0x80, v0
	s_cbranch_execz .LBB180_11
; %bb.10:
	ds_load_2addr_stride64_b64 v[4:7], v3 offset1:2
	s_waitcnt lgkmcnt(0)
	v_add_f64 v[4:5], v[4:5], v[6:7]
	ds_store_b64 v3, v[4:5]
.LBB180_11:
	s_or_b32 exec_lo, exec_lo, s0
	s_delay_alu instid0(SALU_CYCLE_1)
	s_mov_b32 s0, exec_lo
	s_waitcnt lgkmcnt(0)
	s_barrier
	buffer_gl0_inv
	v_cmpx_gt_u32_e32 64, v0
	s_cbranch_execz .LBB180_13
; %bb.12:
	ds_load_2addr_stride64_b64 v[4:7], v3 offset1:1
	s_waitcnt lgkmcnt(0)
	v_add_f64 v[4:5], v[4:5], v[6:7]
	ds_store_b64 v3, v[4:5]
.LBB180_13:
	s_or_b32 exec_lo, exec_lo, s0
	s_delay_alu instid0(SALU_CYCLE_1)
	s_mov_b32 s0, exec_lo
	s_waitcnt lgkmcnt(0)
	s_barrier
	buffer_gl0_inv
	v_cmpx_gt_u32_e32 32, v0
	s_cbranch_execz .LBB180_15
; %bb.14:
	ds_load_2addr_b64 v[4:7], v3 offset1:32
	s_waitcnt lgkmcnt(0)
	v_add_f64 v[4:5], v[4:5], v[6:7]
	ds_store_b64 v3, v[4:5]
.LBB180_15:
	s_or_b32 exec_lo, exec_lo, s0
	s_delay_alu instid0(SALU_CYCLE_1)
	s_mov_b32 s0, exec_lo
	s_waitcnt lgkmcnt(0)
	s_barrier
	buffer_gl0_inv
	v_cmpx_gt_u32_e32 16, v0
	s_cbranch_execz .LBB180_17
; %bb.16:
	ds_load_2addr_b64 v[4:7], v3 offset1:16
	s_waitcnt lgkmcnt(0)
	v_add_f64 v[4:5], v[4:5], v[6:7]
	ds_store_b64 v3, v[4:5]
.LBB180_17:
	;; [unrolled: 14-line block ×5, first 2 shown]
	s_or_b32 exec_lo, exec_lo, s0
	v_cmp_eq_u32_e32 vcc_lo, 0, v0
	s_waitcnt lgkmcnt(0)
	s_barrier
	buffer_gl0_inv
	s_and_saveexec_b32 s0, vcc_lo
	s_cbranch_execz .LBB180_25
; %bb.24:
	v_mov_b32_e32 v0, 0
	ds_load_b128 v[3:6], v0
	s_waitcnt lgkmcnt(0)
	v_add_f64 v[3:4], v[3:4], v[5:6]
	ds_store_b64 v0, v[3:4]
.LBB180_25:
	s_or_b32 exec_lo, exec_lo, s0
	s_waitcnt lgkmcnt(0)
	s_barrier
	buffer_gl0_inv
	s_and_b32 exec_lo, exec_lo, vcc_lo
	s_cbranch_execz .LBB180_29
; %bb.26:
	v_mov_b32_e32 v0, 0
	s_mov_b32 s0, exec_lo
	ds_load_b64 v[3:4], v0
	v_cmpx_neq_f64_e32 0, v[1:2]
	s_cbranch_execz .LBB180_28
; %bb.27:
	s_add_u32 s6, s4, s2
	s_addc_u32 s7, s5, s3
	s_load_b64 s[6:7], s[6:7], 0x0
	s_waitcnt lgkmcnt(0)
	v_fma_f64 v[3:4], v[1:2], s[6:7], v[3:4]
.LBB180_28:
	s_or_b32 exec_lo, exec_lo, s0
	s_add_u32 s0, s4, s2
	s_addc_u32 s1, s5, s3
	s_waitcnt lgkmcnt(0)
	global_store_b64 v0, v[3:4], s[0:1]
.LBB180_29:
	s_nop 0
	s_sendmsg sendmsg(MSG_DEALLOC_VGPRS)
	s_endpgm
	.section	.rodata,"a",@progbits
	.p2align	6, 0x0
	.amdhsa_kernel _ZN9rocsparseL29csrmvn_lrb_medium_rows_kernelILj256ElifdddEEvbT0_PT1_S3_jNS_24const_host_device_scalarIT5_EEPKS1_PKS2_PKT2_PKT3_S6_PT4_21rocsparse_index_base_b
		.amdhsa_group_segment_fixed_size 2048
		.amdhsa_private_segment_fixed_size 0
		.amdhsa_kernarg_size 104
		.amdhsa_user_sgpr_count 15
		.amdhsa_user_sgpr_dispatch_ptr 0
		.amdhsa_user_sgpr_queue_ptr 0
		.amdhsa_user_sgpr_kernarg_segment_ptr 1
		.amdhsa_user_sgpr_dispatch_id 0
		.amdhsa_user_sgpr_private_segment_size 0
		.amdhsa_wavefront_size32 1
		.amdhsa_uses_dynamic_stack 0
		.amdhsa_enable_private_segment 0
		.amdhsa_system_sgpr_workgroup_id_x 1
		.amdhsa_system_sgpr_workgroup_id_y 0
		.amdhsa_system_sgpr_workgroup_id_z 0
		.amdhsa_system_sgpr_workgroup_info 0
		.amdhsa_system_vgpr_workitem_id 0
		.amdhsa_next_free_vgpr 17
		.amdhsa_next_free_sgpr 20
		.amdhsa_reserve_vcc 1
		.amdhsa_float_round_mode_32 0
		.amdhsa_float_round_mode_16_64 0
		.amdhsa_float_denorm_mode_32 3
		.amdhsa_float_denorm_mode_16_64 3
		.amdhsa_dx10_clamp 1
		.amdhsa_ieee_mode 1
		.amdhsa_fp16_overflow 0
		.amdhsa_workgroup_processor_mode 1
		.amdhsa_memory_ordered 1
		.amdhsa_forward_progress 0
		.amdhsa_shared_vgpr_count 0
		.amdhsa_exception_fp_ieee_invalid_op 0
		.amdhsa_exception_fp_denorm_src 0
		.amdhsa_exception_fp_ieee_div_zero 0
		.amdhsa_exception_fp_ieee_overflow 0
		.amdhsa_exception_fp_ieee_underflow 0
		.amdhsa_exception_fp_ieee_inexact 0
		.amdhsa_exception_int_div_zero 0
	.end_amdhsa_kernel
	.section	.text._ZN9rocsparseL29csrmvn_lrb_medium_rows_kernelILj256ElifdddEEvbT0_PT1_S3_jNS_24const_host_device_scalarIT5_EEPKS1_PKS2_PKT2_PKT3_S6_PT4_21rocsparse_index_base_b,"axG",@progbits,_ZN9rocsparseL29csrmvn_lrb_medium_rows_kernelILj256ElifdddEEvbT0_PT1_S3_jNS_24const_host_device_scalarIT5_EEPKS1_PKS2_PKT2_PKT3_S6_PT4_21rocsparse_index_base_b,comdat
.Lfunc_end180:
	.size	_ZN9rocsparseL29csrmvn_lrb_medium_rows_kernelILj256ElifdddEEvbT0_PT1_S3_jNS_24const_host_device_scalarIT5_EEPKS1_PKS2_PKT2_PKT3_S6_PT4_21rocsparse_index_base_b, .Lfunc_end180-_ZN9rocsparseL29csrmvn_lrb_medium_rows_kernelILj256ElifdddEEvbT0_PT1_S3_jNS_24const_host_device_scalarIT5_EEPKS1_PKS2_PKT2_PKT3_S6_PT4_21rocsparse_index_base_b
                                        ; -- End function
	.section	.AMDGPU.csdata,"",@progbits
; Kernel info:
; codeLenInByte = 1244
; NumSgprs: 22
; NumVgprs: 17
; ScratchSize: 0
; MemoryBound: 0
; FloatMode: 240
; IeeeMode: 1
; LDSByteSize: 2048 bytes/workgroup (compile time only)
; SGPRBlocks: 2
; VGPRBlocks: 2
; NumSGPRsForWavesPerEU: 22
; NumVGPRsForWavesPerEU: 17
; Occupancy: 16
; WaveLimiterHint : 1
; COMPUTE_PGM_RSRC2:SCRATCH_EN: 0
; COMPUTE_PGM_RSRC2:USER_SGPR: 15
; COMPUTE_PGM_RSRC2:TRAP_HANDLER: 0
; COMPUTE_PGM_RSRC2:TGID_X_EN: 1
; COMPUTE_PGM_RSRC2:TGID_Y_EN: 0
; COMPUTE_PGM_RSRC2:TGID_Z_EN: 0
; COMPUTE_PGM_RSRC2:TIDIG_COMP_CNT: 0
	.section	.text._ZN9rocsparseL27csrmvn_lrb_long_rows_kernelIlifdddEEvbT_PjPT0_S4_jNS_24const_host_device_scalarIT4_EEPKS1_PKS3_PKT1_PKT2_S7_PT3_21rocsparse_index_base_b,"axG",@progbits,_ZN9rocsparseL27csrmvn_lrb_long_rows_kernelIlifdddEEvbT_PjPT0_S4_jNS_24const_host_device_scalarIT4_EEPKS1_PKS3_PKT1_PKT2_S7_PT3_21rocsparse_index_base_b,comdat
	.globl	_ZN9rocsparseL27csrmvn_lrb_long_rows_kernelIlifdddEEvbT_PjPT0_S4_jNS_24const_host_device_scalarIT4_EEPKS1_PKS3_PKT1_PKT2_S7_PT3_21rocsparse_index_base_b ; -- Begin function _ZN9rocsparseL27csrmvn_lrb_long_rows_kernelIlifdddEEvbT_PjPT0_S4_jNS_24const_host_device_scalarIT4_EEPKS1_PKS3_PKT1_PKT2_S7_PT3_21rocsparse_index_base_b
	.p2align	8
	.type	_ZN9rocsparseL27csrmvn_lrb_long_rows_kernelIlifdddEEvbT_PjPT0_S4_jNS_24const_host_device_scalarIT4_EEPKS1_PKS3_PKT1_PKT2_S7_PT3_21rocsparse_index_base_b,@function
_ZN9rocsparseL27csrmvn_lrb_long_rows_kernelIlifdddEEvbT_PjPT0_S4_jNS_24const_host_device_scalarIT4_EEPKS1_PKS3_PKT1_PKT2_S7_PT3_21rocsparse_index_base_b: ; @_ZN9rocsparseL27csrmvn_lrb_long_rows_kernelIlifdddEEvbT_PjPT0_S4_jNS_24const_host_device_scalarIT4_EEPKS1_PKS3_PKT1_PKT2_S7_PT3_21rocsparse_index_base_b
; %bb.0:
	s_clause 0x2
	s_load_b64 s[16:17], s[0:1], 0x68
	s_load_b64 s[4:5], s[0:1], 0x30
	;; [unrolled: 1-line block ×3, first 2 shown]
	s_mov_b32 s8, s15
	s_waitcnt lgkmcnt(0)
	s_bitcmp1_b32 s17, 0
	v_dual_mov_b32 v1, s4 :: v_dual_mov_b32 v2, s5
	s_cselect_b32 s6, -1, 0
	s_delay_alu instid0(SALU_CYCLE_1)
	s_and_b32 vcc_lo, exec_lo, s6
	s_xor_b32 s6, s6, -1
	s_cbranch_vccnz .LBB181_2
; %bb.1:
	v_dual_mov_b32 v1, s4 :: v_dual_mov_b32 v2, s5
	flat_load_b64 v[1:2], v[1:2]
.LBB181_2:
	v_dual_mov_b32 v6, s3 :: v_dual_mov_b32 v5, s2
	s_and_not1_b32 vcc_lo, exec_lo, s6
	s_cbranch_vccnz .LBB181_4
; %bb.3:
	v_dual_mov_b32 v4, s3 :: v_dual_mov_b32 v3, s2
	flat_load_b64 v[5:6], v[3:4]
.LBB181_4:
	s_waitcnt vmcnt(0) lgkmcnt(0)
	v_cmp_neq_f64_e32 vcc_lo, 0, v[1:2]
	v_cmp_neq_f64_e64 s2, 1.0, v[5:6]
	s_delay_alu instid0(VALU_DEP_1) | instskip(NEXT) | instid1(SALU_CYCLE_1)
	s_or_b32 s2, vcc_lo, s2
	s_and_saveexec_b32 s3, s2
	s_cbranch_execz .LBB181_39
; %bb.5:
	s_clause 0x1
	s_load_b32 s18, s[0:1], 0x28
	s_load_b64 s[2:3], s[0:1], 0x20
	s_mov_b32 s19, 0
	s_waitcnt lgkmcnt(0)
	s_lshl_b64 s[4:5], s[18:19], 2
	s_delay_alu instid0(SALU_CYCLE_1)
	s_add_u32 s2, s2, s4
	s_addc_u32 s3, s3, s5
	s_lshl_b32 s4, -1, s18
	s_load_b32 s2, s[2:3], 0x0
	s_not_b32 s4, s4
	s_mov_b32 s18, exec_lo
	s_mul_hi_u32 s4, s4, 0x2aaaaaab
	s_delay_alu instid0(SALU_CYCLE_1) | instskip(NEXT) | instid1(SALU_CYCLE_1)
	s_lshr_b32 s4, s4, 7
	s_add_i32 s9, s4, 1
	s_not_b32 s4, s4
	v_cvt_f32_u32_e32 v3, s9
	s_delay_alu instid0(VALU_DEP_1) | instskip(SKIP_2) | instid1(VALU_DEP_1)
	v_rcp_iflag_f32_e32 v3, v3
	s_waitcnt_depctr 0xfff
	v_mul_f32_e32 v3, 0x4f7ffffe, v3
	v_cvt_u32_f32_e32 v3, v3
	s_delay_alu instid0(VALU_DEP_1) | instskip(SKIP_2) | instid1(VALU_DEP_3)
	v_readfirstlane_b32 s5, v3
	v_mov_b32_e32 v3, 0
	v_mov_b32_e32 v4, 0
	s_mul_i32 s4, s4, s5
	s_delay_alu instid0(SALU_CYCLE_1) | instskip(NEXT) | instid1(SALU_CYCLE_1)
	s_mul_hi_u32 s3, s5, s4
	s_add_i32 s5, s5, s3
	s_delay_alu instid0(SALU_CYCLE_1) | instskip(SKIP_4) | instid1(SALU_CYCLE_1)
	s_mul_hi_u32 s3, s8, s5
	s_load_b128 s[4:7], s[0:1], 0x10
	s_mul_i32 s10, s3, s9
	s_add_i32 s11, s3, 1
	s_sub_i32 s10, s8, s10
	s_sub_i32 s12, s10, s9
	s_cmp_ge_u32 s10, s9
	s_cselect_b32 s3, s11, s3
	s_cselect_b32 s10, s12, s10
	s_add_i32 s11, s3, 1
	s_cmp_ge_u32 s10, s9
	s_cselect_b32 s10, s11, s3
	s_waitcnt lgkmcnt(0)
	s_add_i32 s2, s10, s2
	s_mul_i32 s14, s10, s9
	s_ashr_i32 s3, s2, 31
	s_sub_i32 s22, s8, s14
	s_lshl_b64 s[2:3], s[2:3], 2
	v_or_b32_e32 v7, s22, v0
	s_add_u32 s2, s6, s2
	s_addc_u32 s3, s7, s3
	s_load_b32 s2, s[2:3], 0x0
	s_load_b64 s[6:7], s[0:1], 0x38
	s_waitcnt lgkmcnt(0)
	s_ashr_i32 s3, s2, 31
	s_delay_alu instid0(SALU_CYCLE_1) | instskip(NEXT) | instid1(SALU_CYCLE_1)
	s_lshl_b64 s[2:3], s[2:3], 3
	s_add_u32 s10, s6, s2
	s_addc_u32 s11, s7, s3
	s_ashr_i32 s9, s8, 31
	s_load_b64 s[6:7], s[0:1], 0x60
	s_lshl_b64 s[8:9], s[8:9], 2
	s_delay_alu instid0(SALU_CYCLE_1)
	s_add_u32 s12, s4, s8
	s_addc_u32 s13, s5, s9
	s_load_b128 s[8:11], s[10:11], 0x0
	s_load_b32 s17, s[12:13], 0x0
	v_cmpx_eq_u32_e32 0, v7
	s_cbranch_execz .LBB181_9
; %bb.6:
	v_add_f64 v[3:4], v[5:6], -1.0
	s_waitcnt lgkmcnt(0)
	s_add_u32 s20, s6, s2
	s_addc_u32 s21, s7, s3
	s_mov_b32 s23, exec_lo
	s_load_b64 s[20:21], s[20:21], 0x0
	v_mbcnt_lo_u32_b32 v5, s23, 0
	s_mov_b32 s24, exec_lo
	s_waitcnt vmcnt(0) expcnt(0) lgkmcnt(0)
	s_delay_alu instid0(VALU_DEP_1)
	v_cmpx_eq_u32_e32 0, v5
	s_cbranch_execz .LBB181_8
; %bb.7:
	s_ashr_i32 s15, s14, 31
	s_delay_alu instid0(SALU_CYCLE_1) | instskip(NEXT) | instid1(SALU_CYCLE_1)
	s_lshl_b64 s[26:27], s[14:15], 2
	s_add_u32 s26, s4, s26
	s_addc_u32 s27, s5, s27
	s_bcnt1_i32_b32 s15, s23
	s_delay_alu instid0(SALU_CYCLE_1) | instskip(NEXT) | instid1(SALU_CYCLE_1)
	s_and_b32 s15, s15, 1
	v_dual_mov_b32 v5, 0 :: v_dual_mov_b32 v6, s15
	global_atomic_xor_b32 v5, v6, s[26:27]
.LBB181_8:
	s_or_b32 exec_lo, exec_lo, s24
	s_delay_alu instid0(VALU_DEP_3)
	v_mul_f64 v[3:4], v[3:4], s[20:21]
.LBB181_9:
	s_or_b32 exec_lo, exec_lo, s18
	s_mul_i32 s18, s22, 3
	s_delay_alu instid0(SALU_CYCLE_1)
	s_lshl_b64 s[18:19], s[18:19], 8
	s_waitcnt lgkmcnt(0)
	s_sub_u32 s8, s8, s16
	s_subb_u32 s9, s9, 0
	s_add_u32 s15, s8, s18
	s_addc_u32 s18, s9, s19
	s_sub_u32 s8, s10, s16
	s_subb_u32 s9, s11, 0
	s_add_u32 s10, s15, 0x300
	s_addc_u32 s11, s18, 0
	v_add_co_u32 v5, s15, s15, v0
	v_cmp_lt_i64_e64 s19, s[10:11], s[8:9]
	v_add_co_ci_u32_e64 v6, null, s18, 0, s15
	s_delay_alu instid0(VALU_DEP_2)
	s_and_b32 s15, s19, exec_lo
	s_cselect_b32 s9, s11, s9
	s_cselect_b32 s8, s10, s8
	s_mov_b32 s15, exec_lo
	v_cmpx_gt_i64_e64 s[8:9], v[5:6]
	s_cbranch_execz .LBB181_13
; %bb.10:
	s_clause 0x1
	s_load_b128 s[24:27], s[0:1], 0x40
	s_load_b64 s[10:11], s[0:1], 0x50
	v_lshlrev_b64 v[9:10], 2, v[5:6]
	s_mov_b32 s1, 0
	s_waitcnt lgkmcnt(0)
	s_delay_alu instid0(VALU_DEP_1) | instskip(NEXT) | instid1(VALU_DEP_2)
	v_add_co_u32 v7, vcc_lo, s26, v9
	v_add_co_ci_u32_e32 v8, vcc_lo, s27, v10, vcc_lo
	v_add_co_u32 v9, vcc_lo, s24, v9
	v_add_co_ci_u32_e32 v10, vcc_lo, s25, v10, vcc_lo
	s_set_inst_prefetch_distance 0x1
	.p2align	6
.LBB181_11:                             ; =>This Inner Loop Header: Depth=1
	global_load_b32 v11, v[9:10], off
	global_load_b32 v13, v[7:8], off
	v_add_co_u32 v9, s0, 0x400, v9
	s_delay_alu instid0(VALU_DEP_1) | instskip(SKIP_4) | instid1(VALU_DEP_2)
	v_add_co_ci_u32_e64 v10, s0, 0, v10, s0
	s_waitcnt vmcnt(1)
	v_subrev_nc_u32_e32 v11, s16, v11
	s_waitcnt vmcnt(0)
	v_cvt_f64_f32_e32 v[13:14], v13
	v_ashrrev_i32_e32 v12, 31, v11
	s_delay_alu instid0(VALU_DEP_1) | instskip(NEXT) | instid1(VALU_DEP_1)
	v_lshlrev_b64 v[11:12], 3, v[11:12]
	v_add_co_u32 v11, vcc_lo, s10, v11
	s_delay_alu instid0(VALU_DEP_2)
	v_add_co_ci_u32_e32 v12, vcc_lo, s11, v12, vcc_lo
	v_add_co_u32 v5, vcc_lo, 0x100, v5
	v_add_co_ci_u32_e32 v6, vcc_lo, 0, v6, vcc_lo
	global_load_b64 v[11:12], v[11:12], off
	v_add_co_u32 v7, vcc_lo, 0x400, v7
	v_add_co_ci_u32_e32 v8, vcc_lo, 0, v8, vcc_lo
	v_cmp_le_i64_e32 vcc_lo, s[8:9], v[5:6]
	s_or_b32 s1, vcc_lo, s1
	v_mul_f64 v[13:14], v[1:2], v[13:14]
	s_waitcnt vmcnt(0)
	s_delay_alu instid0(VALU_DEP_1)
	v_fma_f64 v[3:4], v[13:14], v[11:12], v[3:4]
	s_and_not1_b32 exec_lo, exec_lo, s1
	s_cbranch_execnz .LBB181_11
; %bb.12:
	s_set_inst_prefetch_distance 0x2
	s_or_b32 exec_lo, exec_lo, s1
.LBB181_13:
	s_delay_alu instid0(SALU_CYCLE_1)
	s_or_b32 exec_lo, exec_lo, s15
	v_lshlrev_b32_e32 v1, 3, v0
	s_mov_b32 s0, exec_lo
	ds_store_b64 v1, v[3:4]
	s_waitcnt lgkmcnt(0)
	s_waitcnt_vscnt null, 0x0
	s_barrier
	buffer_gl0_inv
	v_cmpx_gt_u32_e32 0x80, v0
	s_cbranch_execz .LBB181_15
; %bb.14:
	ds_load_2addr_stride64_b64 v[2:5], v1 offset1:2
	s_waitcnt lgkmcnt(0)
	v_add_f64 v[2:3], v[2:3], v[4:5]
	ds_store_b64 v1, v[2:3]
.LBB181_15:
	s_or_b32 exec_lo, exec_lo, s0
	s_delay_alu instid0(SALU_CYCLE_1)
	s_mov_b32 s0, exec_lo
	s_waitcnt lgkmcnt(0)
	s_barrier
	buffer_gl0_inv
	v_cmpx_gt_u32_e32 64, v0
	s_cbranch_execz .LBB181_17
; %bb.16:
	ds_load_2addr_stride64_b64 v[2:5], v1 offset1:1
	s_waitcnt lgkmcnt(0)
	v_add_f64 v[2:3], v[2:3], v[4:5]
	ds_store_b64 v1, v[2:3]
.LBB181_17:
	s_or_b32 exec_lo, exec_lo, s0
	s_delay_alu instid0(SALU_CYCLE_1)
	s_mov_b32 s0, exec_lo
	s_waitcnt lgkmcnt(0)
	s_barrier
	buffer_gl0_inv
	v_cmpx_gt_u32_e32 32, v0
	s_cbranch_execz .LBB181_19
; %bb.18:
	ds_load_2addr_b64 v[2:5], v1 offset1:32
	s_waitcnt lgkmcnt(0)
	v_add_f64 v[2:3], v[2:3], v[4:5]
	ds_store_b64 v1, v[2:3]
.LBB181_19:
	s_or_b32 exec_lo, exec_lo, s0
	s_delay_alu instid0(SALU_CYCLE_1)
	s_mov_b32 s0, exec_lo
	s_waitcnt lgkmcnt(0)
	s_barrier
	buffer_gl0_inv
	v_cmpx_gt_u32_e32 16, v0
	s_cbranch_execz .LBB181_21
; %bb.20:
	ds_load_2addr_b64 v[2:5], v1 offset1:16
	s_waitcnt lgkmcnt(0)
	v_add_f64 v[2:3], v[2:3], v[4:5]
	ds_store_b64 v1, v[2:3]
.LBB181_21:
	;; [unrolled: 14-line block ×5, first 2 shown]
	s_or_b32 exec_lo, exec_lo, s0
	v_cmp_eq_u32_e32 vcc_lo, 0, v0
	s_waitcnt lgkmcnt(0)
	s_barrier
	buffer_gl0_inv
	s_and_saveexec_b32 s0, vcc_lo
	s_cbranch_execz .LBB181_29
; %bb.28:
	v_mov_b32_e32 v4, 0
	ds_load_b128 v[0:3], v4
	s_waitcnt lgkmcnt(0)
	v_add_f64 v[0:1], v[0:1], v[2:3]
	ds_store_b64 v4, v[0:1]
.LBB181_29:
	s_or_b32 exec_lo, exec_lo, s0
	s_waitcnt lgkmcnt(0)
	s_barrier
	buffer_gl0_inv
	s_and_b32 exec_lo, exec_lo, vcc_lo
	s_cbranch_execz .LBB181_39
; %bb.30:
	s_cmp_eq_u32 s22, 0
	s_cbranch_scc1 .LBB181_36
; %bb.31:
	s_ashr_i32 s15, s14, 31
	v_mov_b32_e32 v0, 0
	s_lshl_b64 s[0:1], s[14:15], 2
	s_delay_alu instid0(SALU_CYCLE_1)
	s_add_u32 s0, s4, s0
	s_addc_u32 s1, s5, s1
	s_branch .LBB181_33
.LBB181_32:                             ;   in Loop: Header=BB181_33 Depth=1
	s_or_b32 exec_lo, exec_lo, s4
	s_waitcnt vmcnt(0)
	v_readfirstlane_b32 s4, v1
	s_delay_alu instid0(VALU_DEP_1)
	s_cmp_eq_u32 s4, s17
	s_cbranch_scc0 .LBB181_35
.LBB181_33:                             ; =>This Inner Loop Header: Depth=1
	v_mbcnt_lo_u32_b32 v1, exec_lo, 0
	s_delay_alu instid0(VALU_DEP_1)
	v_cmp_eq_u32_e32 vcc_lo, 0, v1
                                        ; implicit-def: $vgpr1
	s_and_saveexec_b32 s4, vcc_lo
	s_cbranch_execz .LBB181_32
; %bb.34:                               ;   in Loop: Header=BB181_33 Depth=1
	global_load_b32 v1, v0, s[0:1] glc
	s_branch .LBB181_32
.LBB181_35:
	v_mov_b32_e32 v0, 0
	global_load_b32 v1, v0, s[12:13]
	s_waitcnt vmcnt(0)
	v_xor_b32_e32 v1, 1, v1
	global_store_b32 v0, v1, s[12:13]
.LBB181_36:
	s_mov_b32 s4, exec_lo
	s_delay_alu instid0(SALU_CYCLE_1) | instskip(NEXT) | instid1(VALU_DEP_1)
	v_mbcnt_lo_u32_b32 v0, s4, 0
	v_cmp_eq_u32_e32 vcc_lo, 0, v0
	s_and_b32 s0, exec_lo, vcc_lo
	s_delay_alu instid0(SALU_CYCLE_1)
	s_mov_b32 exec_lo, s0
	s_cbranch_execz .LBB181_39
; %bb.37:
	v_mov_b32_e32 v6, 0
	s_add_u32 s0, s6, s2
	s_addc_u32 s1, s7, s3
	s_bcnt1_i32_b32 s2, s4
	s_delay_alu instid0(SALU_CYCLE_1)
	v_cvt_f64_u32_e32 v[0:1], s2
	global_load_b64 v[2:3], v6, s[0:1]
	ds_load_b64 v[4:5], v6
	s_mov_b32 s2, 0
	s_waitcnt lgkmcnt(0)
	v_mul_f64 v[4:5], v[4:5], v[0:1]
.LBB181_38:                             ; =>This Inner Loop Header: Depth=1
	s_waitcnt vmcnt(0)
	s_delay_alu instid0(VALU_DEP_1)
	v_add_f64 v[0:1], v[2:3], v[4:5]
	global_atomic_cmpswap_b64 v[0:1], v6, v[0:3], s[0:1] glc
	s_waitcnt vmcnt(0)
	v_cmp_eq_u64_e32 vcc_lo, v[0:1], v[2:3]
	v_dual_mov_b32 v3, v1 :: v_dual_mov_b32 v2, v0
	s_or_b32 s2, vcc_lo, s2
	s_delay_alu instid0(SALU_CYCLE_1)
	s_and_not1_b32 exec_lo, exec_lo, s2
	s_cbranch_execnz .LBB181_38
.LBB181_39:
	s_nop 0
	s_sendmsg sendmsg(MSG_DEALLOC_VGPRS)
	s_endpgm
	.section	.rodata,"a",@progbits
	.p2align	6, 0x0
	.amdhsa_kernel _ZN9rocsparseL27csrmvn_lrb_long_rows_kernelIlifdddEEvbT_PjPT0_S4_jNS_24const_host_device_scalarIT4_EEPKS1_PKS3_PKT1_PKT2_S7_PT3_21rocsparse_index_base_b
		.amdhsa_group_segment_fixed_size 2048
		.amdhsa_private_segment_fixed_size 0
		.amdhsa_kernarg_size 112
		.amdhsa_user_sgpr_count 15
		.amdhsa_user_sgpr_dispatch_ptr 0
		.amdhsa_user_sgpr_queue_ptr 0
		.amdhsa_user_sgpr_kernarg_segment_ptr 1
		.amdhsa_user_sgpr_dispatch_id 0
		.amdhsa_user_sgpr_private_segment_size 0
		.amdhsa_wavefront_size32 1
		.amdhsa_uses_dynamic_stack 0
		.amdhsa_enable_private_segment 0
		.amdhsa_system_sgpr_workgroup_id_x 1
		.amdhsa_system_sgpr_workgroup_id_y 0
		.amdhsa_system_sgpr_workgroup_id_z 0
		.amdhsa_system_sgpr_workgroup_info 0
		.amdhsa_system_vgpr_workitem_id 0
		.amdhsa_next_free_vgpr 15
		.amdhsa_next_free_sgpr 28
		.amdhsa_reserve_vcc 1
		.amdhsa_float_round_mode_32 0
		.amdhsa_float_round_mode_16_64 0
		.amdhsa_float_denorm_mode_32 3
		.amdhsa_float_denorm_mode_16_64 3
		.amdhsa_dx10_clamp 1
		.amdhsa_ieee_mode 1
		.amdhsa_fp16_overflow 0
		.amdhsa_workgroup_processor_mode 1
		.amdhsa_memory_ordered 1
		.amdhsa_forward_progress 0
		.amdhsa_shared_vgpr_count 0
		.amdhsa_exception_fp_ieee_invalid_op 0
		.amdhsa_exception_fp_denorm_src 0
		.amdhsa_exception_fp_ieee_div_zero 0
		.amdhsa_exception_fp_ieee_overflow 0
		.amdhsa_exception_fp_ieee_underflow 0
		.amdhsa_exception_fp_ieee_inexact 0
		.amdhsa_exception_int_div_zero 0
	.end_amdhsa_kernel
	.section	.text._ZN9rocsparseL27csrmvn_lrb_long_rows_kernelIlifdddEEvbT_PjPT0_S4_jNS_24const_host_device_scalarIT4_EEPKS1_PKS3_PKT1_PKT2_S7_PT3_21rocsparse_index_base_b,"axG",@progbits,_ZN9rocsparseL27csrmvn_lrb_long_rows_kernelIlifdddEEvbT_PjPT0_S4_jNS_24const_host_device_scalarIT4_EEPKS1_PKS3_PKT1_PKT2_S7_PT3_21rocsparse_index_base_b,comdat
.Lfunc_end181:
	.size	_ZN9rocsparseL27csrmvn_lrb_long_rows_kernelIlifdddEEvbT_PjPT0_S4_jNS_24const_host_device_scalarIT4_EEPKS1_PKS3_PKT1_PKT2_S7_PT3_21rocsparse_index_base_b, .Lfunc_end181-_ZN9rocsparseL27csrmvn_lrb_long_rows_kernelIlifdddEEvbT_PjPT0_S4_jNS_24const_host_device_scalarIT4_EEPKS1_PKS3_PKT1_PKT2_S7_PT3_21rocsparse_index_base_b
                                        ; -- End function
	.section	.AMDGPU.csdata,"",@progbits
; Kernel info:
; codeLenInByte = 1804
; NumSgprs: 30
; NumVgprs: 15
; ScratchSize: 0
; MemoryBound: 0
; FloatMode: 240
; IeeeMode: 1
; LDSByteSize: 2048 bytes/workgroup (compile time only)
; SGPRBlocks: 3
; VGPRBlocks: 1
; NumSGPRsForWavesPerEU: 30
; NumVGPRsForWavesPerEU: 15
; Occupancy: 16
; WaveLimiterHint : 1
; COMPUTE_PGM_RSRC2:SCRATCH_EN: 0
; COMPUTE_PGM_RSRC2:USER_SGPR: 15
; COMPUTE_PGM_RSRC2:TRAP_HANDLER: 0
; COMPUTE_PGM_RSRC2:TGID_X_EN: 1
; COMPUTE_PGM_RSRC2:TGID_Y_EN: 0
; COMPUTE_PGM_RSRC2:TGID_Z_EN: 0
; COMPUTE_PGM_RSRC2:TIDIG_COMP_CNT: 0
	.section	.text._ZN9rocsparseL28csrmvn_lrb_short_rows_kernelIllfdddEEvbT_PT0_S3_jNS_24const_host_device_scalarIT4_EEPKS1_PKS2_PKT1_PKT2_S6_PT3_21rocsparse_index_base_b,"axG",@progbits,_ZN9rocsparseL28csrmvn_lrb_short_rows_kernelIllfdddEEvbT_PT0_S3_jNS_24const_host_device_scalarIT4_EEPKS1_PKS2_PKT1_PKT2_S6_PT3_21rocsparse_index_base_b,comdat
	.globl	_ZN9rocsparseL28csrmvn_lrb_short_rows_kernelIllfdddEEvbT_PT0_S3_jNS_24const_host_device_scalarIT4_EEPKS1_PKS2_PKT1_PKT2_S6_PT3_21rocsparse_index_base_b ; -- Begin function _ZN9rocsparseL28csrmvn_lrb_short_rows_kernelIllfdddEEvbT_PT0_S3_jNS_24const_host_device_scalarIT4_EEPKS1_PKS2_PKT1_PKT2_S6_PT3_21rocsparse_index_base_b
	.p2align	8
	.type	_ZN9rocsparseL28csrmvn_lrb_short_rows_kernelIllfdddEEvbT_PT0_S3_jNS_24const_host_device_scalarIT4_EEPKS1_PKS2_PKT1_PKT2_S6_PT3_21rocsparse_index_base_b,@function
_ZN9rocsparseL28csrmvn_lrb_short_rows_kernelIllfdddEEvbT_PT0_S3_jNS_24const_host_device_scalarIT4_EEPKS1_PKS2_PKT1_PKT2_S6_PT3_21rocsparse_index_base_b: ; @_ZN9rocsparseL28csrmvn_lrb_short_rows_kernelIllfdddEEvbT_PT0_S3_jNS_24const_host_device_scalarIT4_EEPKS1_PKS2_PKT1_PKT2_S6_PT3_21rocsparse_index_base_b
; %bb.0:
	s_clause 0x2
	s_load_b64 s[12:13], s[0:1], 0x60
	s_load_b64 s[4:5], s[0:1], 0x28
	;; [unrolled: 1-line block ×3, first 2 shown]
	s_waitcnt lgkmcnt(0)
	s_bitcmp1_b32 s13, 0
	v_dual_mov_b32 v8, s5 :: v_dual_mov_b32 v7, s4
	s_cselect_b32 s6, -1, 0
	s_delay_alu instid0(SALU_CYCLE_1)
	s_and_b32 vcc_lo, exec_lo, s6
	s_xor_b32 s6, s6, -1
	s_cbranch_vccnz .LBB182_2
; %bb.1:
	v_dual_mov_b32 v1, s4 :: v_dual_mov_b32 v2, s5
	flat_load_b64 v[7:8], v[1:2]
.LBB182_2:
	v_dual_mov_b32 v6, s3 :: v_dual_mov_b32 v5, s2
	s_and_not1_b32 vcc_lo, exec_lo, s6
	s_cbranch_vccnz .LBB182_4
; %bb.3:
	v_dual_mov_b32 v1, s2 :: v_dual_mov_b32 v2, s3
	flat_load_b64 v[5:6], v[1:2]
.LBB182_4:
	s_waitcnt vmcnt(0) lgkmcnt(0)
	v_cmp_neq_f64_e32 vcc_lo, 0, v[7:8]
	v_cmp_neq_f64_e64 s2, 1.0, v[5:6]
	s_delay_alu instid0(VALU_DEP_1) | instskip(NEXT) | instid1(SALU_CYCLE_1)
	s_or_b32 s2, vcc_lo, s2
	s_and_saveexec_b32 s3, s2
	s_cbranch_execz .LBB182_18
; %bb.5:
	s_clause 0x1
	s_load_b32 s2, s[0:1], 0x20
	s_load_b128 s[16:19], s[0:1], 0x10
	s_mov_b32 s3, 0
	s_delay_alu instid0(SALU_CYCLE_1) | instskip(SKIP_2) | instid1(SALU_CYCLE_1)
	s_mov_b32 s7, s3
	s_waitcnt lgkmcnt(0)
	s_lshl_b64 s[4:5], s[2:3], 3
	s_add_u32 s4, s18, s4
	s_addc_u32 s5, s19, s5
	s_add_i32 s6, s2, 1
	s_delay_alu instid0(SALU_CYCLE_1) | instskip(NEXT) | instid1(SALU_CYCLE_1)
	s_lshl_b64 s[6:7], s[6:7], 3
	s_add_u32 s6, s18, s6
	s_addc_u32 s7, s19, s7
	s_clause 0x1
	s_load_b64 s[18:19], s[4:5], 0x0
	s_load_b32 s4, s[6:7], 0x0
	s_lshl_b32 s14, s15, 8
	s_delay_alu instid0(SALU_CYCLE_1) | instskip(SKIP_2) | instid1(SALU_CYCLE_1)
	s_add_i32 s5, s14, 0x100
	s_waitcnt lgkmcnt(0)
	s_sub_i32 s4, s4, s18
	s_min_u32 s13, s4, s5
	s_cmp_gt_u32 s2, 23
	s_cbranch_scc1 .LBB182_12
; %bb.6:
	s_load_b256 s[4:11], s[0:1], 0x30
	v_mov_b32_e32 v10, 0
	s_lshl_b64 s[20:21], s[18:19], 3
	v_bfe_u32 v11, v0, 0, s2
	v_lshl_add_u32 v13, v0, 3, 0
	s_lshl_b32 s15, 0x100, s2
	v_mov_b32_e32 v12, v10
	s_add_u32 s20, s16, s20
	s_addc_u32 s21, s17, s21
	s_branch .LBB182_9
.LBB182_7:                              ;   in Loop: Header=BB182_9 Depth=1
	s_or_b32 exec_lo, exec_lo, s23
	ds_store_b64 v13, v[3:4]
.LBB182_8:                              ;   in Loop: Header=BB182_9 Depth=1
	s_or_b32 exec_lo, exec_lo, s22
	v_add_nc_u32_e32 v13, 0x800, v13
	s_addk_i32 s3, 0x100
	s_delay_alu instid0(SALU_CYCLE_1)
	s_cmp_ge_u32 s3, s15
	s_cbranch_scc1 .LBB182_12
.LBB182_9:                              ; =>This Inner Loop Header: Depth=1
	v_add_nc_u32_e32 v1, s3, v0
	s_mov_b32 s22, exec_lo
	s_delay_alu instid0(VALU_DEP_1) | instskip(NEXT) | instid1(VALU_DEP_1)
	v_lshrrev_b32_e32 v1, s2, v1
	v_add_nc_u32_e32 v9, s14, v1
	s_delay_alu instid0(VALU_DEP_1)
	v_cmpx_gt_u32_e64 s13, v9
	s_cbranch_execz .LBB182_8
; %bb.10:                               ;   in Loop: Header=BB182_9 Depth=1
	v_lshlrev_b64 v[1:2], 3, v[9:10]
	s_delay_alu instid0(VALU_DEP_1) | instskip(NEXT) | instid1(VALU_DEP_2)
	v_add_co_u32 v1, vcc_lo, s20, v1
	v_add_co_ci_u32_e32 v2, vcc_lo, s21, v2, vcc_lo
	global_load_b64 v[1:2], v[1:2], off
	s_waitcnt vmcnt(0)
	v_lshlrev_b64 v[1:2], 3, v[1:2]
	s_waitcnt lgkmcnt(0)
	s_delay_alu instid0(VALU_DEP_1) | instskip(NEXT) | instid1(VALU_DEP_2)
	v_add_co_u32 v1, vcc_lo, s4, v1
	v_add_co_ci_u32_e32 v2, vcc_lo, s5, v2, vcc_lo
	global_load_b128 v[1:4], v[1:2], off
	s_waitcnt vmcnt(0)
	v_sub_co_u32 v3, vcc_lo, v3, v1
	v_sub_co_ci_u32_e32 v4, vcc_lo, v4, v2, vcc_lo
	s_delay_alu instid0(VALU_DEP_1)
	v_cmp_gt_i64_e32 vcc_lo, v[3:4], v[11:12]
	v_mov_b32_e32 v3, 0
	v_mov_b32_e32 v4, 0
	s_and_saveexec_b32 s23, vcc_lo
	s_cbranch_execz .LBB182_7
; %bb.11:                               ;   in Loop: Header=BB182_9 Depth=1
	v_sub_co_u32 v1, vcc_lo, v1, s12
	v_subrev_co_ci_u32_e32 v2, vcc_lo, 0, v2, vcc_lo
	s_delay_alu instid0(VALU_DEP_2) | instskip(NEXT) | instid1(VALU_DEP_2)
	v_add_co_u32 v1, vcc_lo, v1, v11
	v_add_co_ci_u32_e32 v2, vcc_lo, 0, v2, vcc_lo
	s_delay_alu instid0(VALU_DEP_1) | instskip(SKIP_1) | instid1(VALU_DEP_2)
	v_lshlrev_b64 v[3:4], 3, v[1:2]
	v_lshlrev_b64 v[1:2], 2, v[1:2]
	v_add_co_u32 v3, vcc_lo, s6, v3
	s_delay_alu instid0(VALU_DEP_3) | instskip(NEXT) | instid1(VALU_DEP_3)
	v_add_co_ci_u32_e32 v4, vcc_lo, s7, v4, vcc_lo
	v_add_co_u32 v1, vcc_lo, s8, v1
	s_delay_alu instid0(VALU_DEP_4)
	v_add_co_ci_u32_e32 v2, vcc_lo, s9, v2, vcc_lo
	global_load_b64 v[3:4], v[3:4], off
	global_load_b32 v9, v[1:2], off
	s_waitcnt vmcnt(1)
	v_sub_co_u32 v1, vcc_lo, v3, s12
	v_subrev_co_ci_u32_e32 v2, vcc_lo, 0, v4, vcc_lo
	s_waitcnt vmcnt(0)
	v_cvt_f64_f32_e32 v[3:4], v9
	s_delay_alu instid0(VALU_DEP_2) | instskip(NEXT) | instid1(VALU_DEP_1)
	v_lshlrev_b64 v[1:2], 3, v[1:2]
	v_add_co_u32 v1, vcc_lo, s10, v1
	s_delay_alu instid0(VALU_DEP_2) | instskip(SKIP_3) | instid1(VALU_DEP_1)
	v_add_co_ci_u32_e32 v2, vcc_lo, s11, v2, vcc_lo
	global_load_b64 v[1:2], v[1:2], off
	v_mul_f64 v[3:4], v[7:8], v[3:4]
	s_waitcnt vmcnt(0)
	v_mul_f64 v[3:4], v[3:4], v[1:2]
	s_branch .LBB182_7
.LBB182_12:
	s_sub_i32 s3, s13, s14
	s_waitcnt lgkmcnt(0)
	v_cmp_gt_u32_e32 vcc_lo, s3, v0
	s_barrier
	buffer_gl0_inv
	s_and_b32 exec_lo, exec_lo, vcc_lo
	s_cbranch_execz .LBB182_18
; %bb.13:
	s_lshl_b64 s[4:5], s[18:19], 3
	s_mov_b32 s15, 0
	s_add_u32 s3, s16, s4
	s_addc_u32 s6, s17, s5
	s_lshl_b64 s[4:5], s[14:15], 3
	v_lshlrev_b32_e32 v1, 3, v0
	s_add_u32 s4, s3, s4
	s_addc_u32 s5, s6, s5
	s_load_b64 s[0:1], s[0:1], 0x58
	v_lshlrev_b32_e32 v4, s2, v0
	global_load_b64 v[2:3], v1, s[4:5]
	v_mov_b32_e32 v0, 0
	v_mov_b32_e32 v1, 0
	s_mov_b32 s3, 1
	v_lshl_add_u32 v4, v4, 3, 0
.LBB182_14:                             ; =>This Inner Loop Header: Depth=1
	ds_load_b64 v[7:8], v4
	v_add_nc_u32_e32 v4, 8, v4
	s_lshr_b32 s4, s3, s2
	s_add_i32 s3, s3, 1
	s_cmp_lg_u32 s4, 0
	s_waitcnt lgkmcnt(0)
	v_add_f64 v[0:1], v[0:1], v[7:8]
	s_cbranch_scc0 .LBB182_14
; %bb.15:
	s_waitcnt vmcnt(0)
	v_lshlrev_b64 v[2:3], 3, v[2:3]
	s_mov_b32 s2, exec_lo
	v_cmpx_neq_f64_e32 0, v[5:6]
	s_cbranch_execz .LBB182_17
; %bb.16:
	s_delay_alu instid0(VALU_DEP_2) | instskip(NEXT) | instid1(VALU_DEP_3)
	v_add_co_u32 v7, vcc_lo, s0, v2
	v_add_co_ci_u32_e32 v8, vcc_lo, s1, v3, vcc_lo
	global_load_b64 v[7:8], v[7:8], off
	s_waitcnt vmcnt(0)
	v_fma_f64 v[0:1], v[5:6], v[7:8], v[0:1]
.LBB182_17:
	s_or_b32 exec_lo, exec_lo, s2
	s_delay_alu instid0(VALU_DEP_2)
	v_add_co_u32 v2, vcc_lo, s0, v2
	v_add_co_ci_u32_e32 v3, vcc_lo, s1, v3, vcc_lo
	global_store_b64 v[2:3], v[0:1], off
.LBB182_18:
	s_nop 0
	s_sendmsg sendmsg(MSG_DEALLOC_VGPRS)
	s_endpgm
	.section	.rodata,"a",@progbits
	.p2align	6, 0x0
	.amdhsa_kernel _ZN9rocsparseL28csrmvn_lrb_short_rows_kernelIllfdddEEvbT_PT0_S3_jNS_24const_host_device_scalarIT4_EEPKS1_PKS2_PKT1_PKT2_S6_PT3_21rocsparse_index_base_b
		.amdhsa_group_segment_fixed_size 0
		.amdhsa_private_segment_fixed_size 0
		.amdhsa_kernarg_size 104
		.amdhsa_user_sgpr_count 15
		.amdhsa_user_sgpr_dispatch_ptr 0
		.amdhsa_user_sgpr_queue_ptr 0
		.amdhsa_user_sgpr_kernarg_segment_ptr 1
		.amdhsa_user_sgpr_dispatch_id 0
		.amdhsa_user_sgpr_private_segment_size 0
		.amdhsa_wavefront_size32 1
		.amdhsa_uses_dynamic_stack 0
		.amdhsa_enable_private_segment 0
		.amdhsa_system_sgpr_workgroup_id_x 1
		.amdhsa_system_sgpr_workgroup_id_y 0
		.amdhsa_system_sgpr_workgroup_id_z 0
		.amdhsa_system_sgpr_workgroup_info 0
		.amdhsa_system_vgpr_workitem_id 0
		.amdhsa_next_free_vgpr 14
		.amdhsa_next_free_sgpr 24
		.amdhsa_reserve_vcc 1
		.amdhsa_float_round_mode_32 0
		.amdhsa_float_round_mode_16_64 0
		.amdhsa_float_denorm_mode_32 3
		.amdhsa_float_denorm_mode_16_64 3
		.amdhsa_dx10_clamp 1
		.amdhsa_ieee_mode 1
		.amdhsa_fp16_overflow 0
		.amdhsa_workgroup_processor_mode 1
		.amdhsa_memory_ordered 1
		.amdhsa_forward_progress 0
		.amdhsa_shared_vgpr_count 0
		.amdhsa_exception_fp_ieee_invalid_op 0
		.amdhsa_exception_fp_denorm_src 0
		.amdhsa_exception_fp_ieee_div_zero 0
		.amdhsa_exception_fp_ieee_overflow 0
		.amdhsa_exception_fp_ieee_underflow 0
		.amdhsa_exception_fp_ieee_inexact 0
		.amdhsa_exception_int_div_zero 0
	.end_amdhsa_kernel
	.section	.text._ZN9rocsparseL28csrmvn_lrb_short_rows_kernelIllfdddEEvbT_PT0_S3_jNS_24const_host_device_scalarIT4_EEPKS1_PKS2_PKT1_PKT2_S6_PT3_21rocsparse_index_base_b,"axG",@progbits,_ZN9rocsparseL28csrmvn_lrb_short_rows_kernelIllfdddEEvbT_PT0_S3_jNS_24const_host_device_scalarIT4_EEPKS1_PKS2_PKT1_PKT2_S6_PT3_21rocsparse_index_base_b,comdat
.Lfunc_end182:
	.size	_ZN9rocsparseL28csrmvn_lrb_short_rows_kernelIllfdddEEvbT_PT0_S3_jNS_24const_host_device_scalarIT4_EEPKS1_PKS2_PKT1_PKT2_S6_PT3_21rocsparse_index_base_b, .Lfunc_end182-_ZN9rocsparseL28csrmvn_lrb_short_rows_kernelIllfdddEEvbT_PT0_S3_jNS_24const_host_device_scalarIT4_EEPKS1_PKS2_PKT1_PKT2_S6_PT3_21rocsparse_index_base_b
                                        ; -- End function
	.section	.AMDGPU.csdata,"",@progbits
; Kernel info:
; codeLenInByte = 936
; NumSgprs: 26
; NumVgprs: 14
; ScratchSize: 0
; MemoryBound: 0
; FloatMode: 240
; IeeeMode: 1
; LDSByteSize: 0 bytes/workgroup (compile time only)
; SGPRBlocks: 3
; VGPRBlocks: 1
; NumSGPRsForWavesPerEU: 26
; NumVGPRsForWavesPerEU: 14
; Occupancy: 16
; WaveLimiterHint : 1
; COMPUTE_PGM_RSRC2:SCRATCH_EN: 0
; COMPUTE_PGM_RSRC2:USER_SGPR: 15
; COMPUTE_PGM_RSRC2:TRAP_HANDLER: 0
; COMPUTE_PGM_RSRC2:TGID_X_EN: 1
; COMPUTE_PGM_RSRC2:TGID_Y_EN: 0
; COMPUTE_PGM_RSRC2:TGID_Z_EN: 0
; COMPUTE_PGM_RSRC2:TIDIG_COMP_CNT: 0
	.section	.text._ZN9rocsparseL30csrmvn_lrb_short_rows_2_kernelIllfdddEEvbT_PT0_S3_jNS_24const_host_device_scalarIT4_EEPKS1_PKS2_PKT1_PKT2_S6_PT3_21rocsparse_index_base_b,"axG",@progbits,_ZN9rocsparseL30csrmvn_lrb_short_rows_2_kernelIllfdddEEvbT_PT0_S3_jNS_24const_host_device_scalarIT4_EEPKS1_PKS2_PKT1_PKT2_S6_PT3_21rocsparse_index_base_b,comdat
	.globl	_ZN9rocsparseL30csrmvn_lrb_short_rows_2_kernelIllfdddEEvbT_PT0_S3_jNS_24const_host_device_scalarIT4_EEPKS1_PKS2_PKT1_PKT2_S6_PT3_21rocsparse_index_base_b ; -- Begin function _ZN9rocsparseL30csrmvn_lrb_short_rows_2_kernelIllfdddEEvbT_PT0_S3_jNS_24const_host_device_scalarIT4_EEPKS1_PKS2_PKT1_PKT2_S6_PT3_21rocsparse_index_base_b
	.p2align	8
	.type	_ZN9rocsparseL30csrmvn_lrb_short_rows_2_kernelIllfdddEEvbT_PT0_S3_jNS_24const_host_device_scalarIT4_EEPKS1_PKS2_PKT1_PKT2_S6_PT3_21rocsparse_index_base_b,@function
_ZN9rocsparseL30csrmvn_lrb_short_rows_2_kernelIllfdddEEvbT_PT0_S3_jNS_24const_host_device_scalarIT4_EEPKS1_PKS2_PKT1_PKT2_S6_PT3_21rocsparse_index_base_b: ; @_ZN9rocsparseL30csrmvn_lrb_short_rows_2_kernelIllfdddEEvbT_PT0_S3_jNS_24const_host_device_scalarIT4_EEPKS1_PKS2_PKT1_PKT2_S6_PT3_21rocsparse_index_base_b
; %bb.0:
	s_clause 0x2
	s_load_b64 s[16:17], s[0:1], 0x60
	s_load_b64 s[4:5], s[0:1], 0x28
	;; [unrolled: 1-line block ×3, first 2 shown]
	s_waitcnt lgkmcnt(0)
	s_bitcmp1_b32 s17, 0
	v_dual_mov_b32 v8, s5 :: v_dual_mov_b32 v7, s4
	s_cselect_b32 s6, -1, 0
	s_delay_alu instid0(SALU_CYCLE_1)
	s_and_b32 vcc_lo, exec_lo, s6
	s_xor_b32 s6, s6, -1
	s_cbranch_vccnz .LBB183_2
; %bb.1:
	v_dual_mov_b32 v1, s4 :: v_dual_mov_b32 v2, s5
	flat_load_b64 v[7:8], v[1:2]
.LBB183_2:
	v_dual_mov_b32 v6, s3 :: v_dual_mov_b32 v5, s2
	s_and_not1_b32 vcc_lo, exec_lo, s6
	s_cbranch_vccnz .LBB183_4
; %bb.3:
	v_dual_mov_b32 v1, s2 :: v_dual_mov_b32 v2, s3
	flat_load_b64 v[5:6], v[1:2]
.LBB183_4:
	s_waitcnt vmcnt(0) lgkmcnt(0)
	v_cmp_neq_f64_e32 vcc_lo, 0, v[7:8]
	v_cmp_neq_f64_e64 s2, 1.0, v[5:6]
	s_delay_alu instid0(VALU_DEP_1) | instskip(NEXT) | instid1(SALU_CYCLE_1)
	s_or_b32 s2, vcc_lo, s2
	s_and_saveexec_b32 s3, s2
	s_cbranch_execz .LBB183_30
; %bb.5:
	s_clause 0x1
	s_load_b32 s8, s[0:1], 0x20
	s_load_b128 s[20:23], s[0:1], 0x10
	s_mov_b32 s9, 0
	v_mov_b32_e32 v10, 0
	s_mov_b32 s5, s9
	s_waitcnt lgkmcnt(0)
	s_lshl_b64 s[2:3], s[8:9], 3
	v_lshrrev_b32_e32 v1, s8, v0
	s_add_u32 s2, s22, s2
	s_addc_u32 s3, s23, s3
	s_add_i32 s4, s8, 1
	v_bfe_u32 v9, v0, 0, s8
	s_lshl_b64 s[4:5], s[4:5], 3
	s_delay_alu instid0(SALU_CYCLE_1)
	s_add_u32 s4, s22, s4
	s_addc_u32 s5, s23, s5
	s_clause 0x1
	s_load_b64 s[18:19], s[2:3], 0x0
	s_load_b32 s13, s[4:5], 0x0
	s_clause 0x1
	s_load_b64 s[10:11], s[0:1], 0x58
	s_load_b256 s[0:7], s[0:1], 0x30
	s_lshr_b32 s9, 0x400, s8
	s_delay_alu instid0(SALU_CYCLE_1) | instskip(NEXT) | instid1(SALU_CYCLE_1)
	s_mul_i32 s12, s9, s15
	s_add_i32 s14, s12, s9
	v_add_nc_u32_e32 v1, s12, v1
	s_waitcnt lgkmcnt(0)
	s_sub_i32 s13, s13, s18
	s_lshl_b64 s[18:19], s[18:19], 3
	s_min_u32 s14, s13, s14
	s_add_u32 s15, s20, s18
	s_addc_u32 s17, s21, s19
	s_mov_b32 s13, exec_lo
	v_cmpx_gt_u32_e64 s14, v1
	s_cbranch_execz .LBB183_9
; %bb.6:
	v_mov_b32_e32 v2, v10
	s_delay_alu instid0(VALU_DEP_1) | instskip(NEXT) | instid1(VALU_DEP_1)
	v_lshlrev_b64 v[1:2], 3, v[1:2]
	v_add_co_u32 v1, vcc_lo, s15, v1
	s_delay_alu instid0(VALU_DEP_2) | instskip(SKIP_3) | instid1(VALU_DEP_1)
	v_add_co_ci_u32_e32 v2, vcc_lo, s17, v2, vcc_lo
	global_load_b64 v[1:2], v[1:2], off
	s_waitcnt vmcnt(0)
	v_lshlrev_b64 v[1:2], 3, v[1:2]
	v_add_co_u32 v1, vcc_lo, s0, v1
	s_delay_alu instid0(VALU_DEP_2) | instskip(SKIP_4) | instid1(VALU_DEP_1)
	v_add_co_ci_u32_e32 v2, vcc_lo, s1, v2, vcc_lo
	global_load_b128 v[1:4], v[1:2], off
	s_waitcnt vmcnt(0)
	v_sub_co_u32 v3, vcc_lo, v3, v1
	v_sub_co_ci_u32_e32 v4, vcc_lo, v4, v2, vcc_lo
	v_cmp_gt_i64_e32 vcc_lo, v[3:4], v[9:10]
	v_mov_b32_e32 v3, 0
	v_mov_b32_e32 v4, 0
	s_and_saveexec_b32 s18, vcc_lo
	s_cbranch_execz .LBB183_8
; %bb.7:
	v_sub_co_u32 v1, vcc_lo, v1, s16
	v_subrev_co_ci_u32_e32 v2, vcc_lo, 0, v2, vcc_lo
	s_delay_alu instid0(VALU_DEP_2) | instskip(NEXT) | instid1(VALU_DEP_2)
	v_add_co_u32 v1, vcc_lo, v1, v9
	v_add_co_ci_u32_e32 v2, vcc_lo, 0, v2, vcc_lo
	s_delay_alu instid0(VALU_DEP_1) | instskip(SKIP_1) | instid1(VALU_DEP_2)
	v_lshlrev_b64 v[3:4], 3, v[1:2]
	v_lshlrev_b64 v[1:2], 2, v[1:2]
	v_add_co_u32 v3, vcc_lo, s2, v3
	s_delay_alu instid0(VALU_DEP_3) | instskip(NEXT) | instid1(VALU_DEP_3)
	v_add_co_ci_u32_e32 v4, vcc_lo, s3, v4, vcc_lo
	v_add_co_u32 v1, vcc_lo, s4, v1
	s_delay_alu instid0(VALU_DEP_4)
	v_add_co_ci_u32_e32 v2, vcc_lo, s5, v2, vcc_lo
	global_load_b64 v[3:4], v[3:4], off
	global_load_b32 v11, v[1:2], off
	s_waitcnt vmcnt(1)
	v_sub_co_u32 v1, vcc_lo, v3, s16
	v_subrev_co_ci_u32_e32 v2, vcc_lo, 0, v4, vcc_lo
	s_waitcnt vmcnt(0)
	v_cvt_f64_f32_e32 v[3:4], v11
	s_delay_alu instid0(VALU_DEP_2) | instskip(NEXT) | instid1(VALU_DEP_1)
	v_lshlrev_b64 v[1:2], 3, v[1:2]
	v_add_co_u32 v1, vcc_lo, s6, v1
	s_delay_alu instid0(VALU_DEP_2) | instskip(SKIP_3) | instid1(VALU_DEP_1)
	v_add_co_ci_u32_e32 v2, vcc_lo, s7, v2, vcc_lo
	global_load_b64 v[1:2], v[1:2], off
	v_mul_f64 v[3:4], v[7:8], v[3:4]
	s_waitcnt vmcnt(0)
	v_mul_f64 v[3:4], v[3:4], v[1:2]
.LBB183_8:
	s_or_b32 exec_lo, exec_lo, s18
	v_lshlrev_b32_e32 v1, 3, v0
	ds_store_b64 v1, v[3:4]
.LBB183_9:
	s_or_b32 exec_lo, exec_lo, s13
	v_or_b32_e32 v1, 0x100, v0
	s_mov_b32 s13, exec_lo
	s_delay_alu instid0(VALU_DEP_1) | instskip(NEXT) | instid1(VALU_DEP_1)
	v_lshrrev_b32_e32 v1, s8, v1
	v_add_nc_u32_e32 v1, s12, v1
	s_delay_alu instid0(VALU_DEP_1)
	v_cmpx_gt_u32_e64 s14, v1
	s_cbranch_execz .LBB183_13
; %bb.10:
	v_mov_b32_e32 v2, 0
	s_delay_alu instid0(VALU_DEP_1) | instskip(NEXT) | instid1(VALU_DEP_1)
	v_lshlrev_b64 v[1:2], 3, v[1:2]
	v_add_co_u32 v1, vcc_lo, s15, v1
	s_delay_alu instid0(VALU_DEP_2) | instskip(SKIP_3) | instid1(VALU_DEP_1)
	v_add_co_ci_u32_e32 v2, vcc_lo, s17, v2, vcc_lo
	global_load_b64 v[1:2], v[1:2], off
	s_waitcnt vmcnt(0)
	v_lshlrev_b64 v[1:2], 3, v[1:2]
	v_add_co_u32 v1, vcc_lo, s0, v1
	s_delay_alu instid0(VALU_DEP_2) | instskip(SKIP_4) | instid1(VALU_DEP_1)
	v_add_co_ci_u32_e32 v2, vcc_lo, s1, v2, vcc_lo
	global_load_b128 v[1:4], v[1:2], off
	s_waitcnt vmcnt(0)
	v_sub_co_u32 v3, vcc_lo, v3, v1
	v_sub_co_ci_u32_e32 v4, vcc_lo, v4, v2, vcc_lo
	v_cmp_gt_i64_e32 vcc_lo, v[3:4], v[9:10]
	v_mov_b32_e32 v3, 0
	v_mov_b32_e32 v4, 0
	s_and_saveexec_b32 s18, vcc_lo
	s_cbranch_execz .LBB183_12
; %bb.11:
	v_sub_co_u32 v1, vcc_lo, v1, s16
	v_subrev_co_ci_u32_e32 v2, vcc_lo, 0, v2, vcc_lo
	s_delay_alu instid0(VALU_DEP_2) | instskip(NEXT) | instid1(VALU_DEP_2)
	v_add_co_u32 v1, vcc_lo, v1, v9
	v_add_co_ci_u32_e32 v2, vcc_lo, 0, v2, vcc_lo
	s_delay_alu instid0(VALU_DEP_1) | instskip(SKIP_1) | instid1(VALU_DEP_2)
	v_lshlrev_b64 v[3:4], 3, v[1:2]
	v_lshlrev_b64 v[1:2], 2, v[1:2]
	v_add_co_u32 v3, vcc_lo, s2, v3
	s_delay_alu instid0(VALU_DEP_3) | instskip(NEXT) | instid1(VALU_DEP_3)
	v_add_co_ci_u32_e32 v4, vcc_lo, s3, v4, vcc_lo
	v_add_co_u32 v1, vcc_lo, s4, v1
	s_delay_alu instid0(VALU_DEP_4)
	v_add_co_ci_u32_e32 v2, vcc_lo, s5, v2, vcc_lo
	global_load_b64 v[3:4], v[3:4], off
	global_load_b32 v11, v[1:2], off
	s_waitcnt vmcnt(1)
	v_sub_co_u32 v1, vcc_lo, v3, s16
	v_subrev_co_ci_u32_e32 v2, vcc_lo, 0, v4, vcc_lo
	s_waitcnt vmcnt(0)
	v_cvt_f64_f32_e32 v[3:4], v11
	s_delay_alu instid0(VALU_DEP_2) | instskip(NEXT) | instid1(VALU_DEP_1)
	v_lshlrev_b64 v[1:2], 3, v[1:2]
	v_add_co_u32 v1, vcc_lo, s6, v1
	s_delay_alu instid0(VALU_DEP_2) | instskip(SKIP_3) | instid1(VALU_DEP_1)
	v_add_co_ci_u32_e32 v2, vcc_lo, s7, v2, vcc_lo
	global_load_b64 v[1:2], v[1:2], off
	v_mul_f64 v[3:4], v[7:8], v[3:4]
	s_waitcnt vmcnt(0)
	v_mul_f64 v[3:4], v[3:4], v[1:2]
.LBB183_12:
	s_or_b32 exec_lo, exec_lo, s18
	v_lshlrev_b32_e32 v1, 3, v0
	ds_store_b64 v1, v[3:4] offset:2048
.LBB183_13:
	s_or_b32 exec_lo, exec_lo, s13
	v_or_b32_e32 v1, 0x200, v0
	s_mov_b32 s13, exec_lo
	s_delay_alu instid0(VALU_DEP_1) | instskip(NEXT) | instid1(VALU_DEP_1)
	v_lshrrev_b32_e32 v1, s8, v1
	v_add_nc_u32_e32 v1, s12, v1
	s_delay_alu instid0(VALU_DEP_1)
	v_cmpx_gt_u32_e64 s14, v1
	s_cbranch_execz .LBB183_17
; %bb.14:
	v_mov_b32_e32 v2, 0
	s_delay_alu instid0(VALU_DEP_1) | instskip(NEXT) | instid1(VALU_DEP_1)
	v_lshlrev_b64 v[1:2], 3, v[1:2]
	v_add_co_u32 v1, vcc_lo, s15, v1
	s_delay_alu instid0(VALU_DEP_2) | instskip(SKIP_3) | instid1(VALU_DEP_1)
	v_add_co_ci_u32_e32 v2, vcc_lo, s17, v2, vcc_lo
	global_load_b64 v[1:2], v[1:2], off
	s_waitcnt vmcnt(0)
	v_lshlrev_b64 v[1:2], 3, v[1:2]
	v_add_co_u32 v1, vcc_lo, s0, v1
	s_delay_alu instid0(VALU_DEP_2) | instskip(SKIP_4) | instid1(VALU_DEP_1)
	v_add_co_ci_u32_e32 v2, vcc_lo, s1, v2, vcc_lo
	global_load_b128 v[1:4], v[1:2], off
	s_waitcnt vmcnt(0)
	v_sub_co_u32 v3, vcc_lo, v3, v1
	v_sub_co_ci_u32_e32 v4, vcc_lo, v4, v2, vcc_lo
	v_cmp_gt_i64_e32 vcc_lo, v[3:4], v[9:10]
	v_mov_b32_e32 v3, 0
	v_mov_b32_e32 v4, 0
	s_and_saveexec_b32 s18, vcc_lo
	s_cbranch_execz .LBB183_16
; %bb.15:
	v_sub_co_u32 v1, vcc_lo, v1, s16
	v_subrev_co_ci_u32_e32 v2, vcc_lo, 0, v2, vcc_lo
	s_delay_alu instid0(VALU_DEP_2) | instskip(NEXT) | instid1(VALU_DEP_2)
	v_add_co_u32 v1, vcc_lo, v1, v9
	v_add_co_ci_u32_e32 v2, vcc_lo, 0, v2, vcc_lo
	s_delay_alu instid0(VALU_DEP_1) | instskip(SKIP_1) | instid1(VALU_DEP_2)
	v_lshlrev_b64 v[3:4], 3, v[1:2]
	v_lshlrev_b64 v[1:2], 2, v[1:2]
	v_add_co_u32 v3, vcc_lo, s2, v3
	s_delay_alu instid0(VALU_DEP_3) | instskip(NEXT) | instid1(VALU_DEP_3)
	v_add_co_ci_u32_e32 v4, vcc_lo, s3, v4, vcc_lo
	v_add_co_u32 v1, vcc_lo, s4, v1
	s_delay_alu instid0(VALU_DEP_4)
	v_add_co_ci_u32_e32 v2, vcc_lo, s5, v2, vcc_lo
	global_load_b64 v[3:4], v[3:4], off
	global_load_b32 v11, v[1:2], off
	s_waitcnt vmcnt(1)
	v_sub_co_u32 v1, vcc_lo, v3, s16
	v_subrev_co_ci_u32_e32 v2, vcc_lo, 0, v4, vcc_lo
	s_waitcnt vmcnt(0)
	v_cvt_f64_f32_e32 v[3:4], v11
	s_delay_alu instid0(VALU_DEP_2) | instskip(NEXT) | instid1(VALU_DEP_1)
	v_lshlrev_b64 v[1:2], 3, v[1:2]
	v_add_co_u32 v1, vcc_lo, s6, v1
	s_delay_alu instid0(VALU_DEP_2) | instskip(SKIP_3) | instid1(VALU_DEP_1)
	v_add_co_ci_u32_e32 v2, vcc_lo, s7, v2, vcc_lo
	global_load_b64 v[1:2], v[1:2], off
	v_mul_f64 v[3:4], v[7:8], v[3:4]
	s_waitcnt vmcnt(0)
	v_mul_f64 v[3:4], v[3:4], v[1:2]
.LBB183_16:
	s_or_b32 exec_lo, exec_lo, s18
	v_lshlrev_b32_e32 v1, 3, v0
	ds_store_b64 v1, v[3:4] offset:4096
.LBB183_17:
	s_or_b32 exec_lo, exec_lo, s13
	v_or_b32_e32 v1, 0x300, v0
	s_mov_b32 s13, exec_lo
	s_delay_alu instid0(VALU_DEP_1) | instskip(NEXT) | instid1(VALU_DEP_1)
	v_lshrrev_b32_e32 v1, s8, v1
	v_add_nc_u32_e32 v1, s12, v1
	s_delay_alu instid0(VALU_DEP_1)
	v_cmpx_gt_u32_e64 s14, v1
	s_cbranch_execz .LBB183_21
; %bb.18:
	v_mov_b32_e32 v2, 0
	s_delay_alu instid0(VALU_DEP_1) | instskip(NEXT) | instid1(VALU_DEP_1)
	v_lshlrev_b64 v[1:2], 3, v[1:2]
	v_add_co_u32 v1, vcc_lo, s15, v1
	s_delay_alu instid0(VALU_DEP_2) | instskip(SKIP_3) | instid1(VALU_DEP_1)
	v_add_co_ci_u32_e32 v2, vcc_lo, s17, v2, vcc_lo
	global_load_b64 v[1:2], v[1:2], off
	s_waitcnt vmcnt(0)
	v_lshlrev_b64 v[1:2], 3, v[1:2]
	v_add_co_u32 v1, vcc_lo, s0, v1
	s_delay_alu instid0(VALU_DEP_2) | instskip(SKIP_4) | instid1(VALU_DEP_1)
	v_add_co_ci_u32_e32 v2, vcc_lo, s1, v2, vcc_lo
	global_load_b128 v[1:4], v[1:2], off
	s_waitcnt vmcnt(0)
	v_sub_co_u32 v3, vcc_lo, v3, v1
	v_sub_co_ci_u32_e32 v4, vcc_lo, v4, v2, vcc_lo
	v_cmp_gt_i64_e32 vcc_lo, v[3:4], v[9:10]
	v_mov_b32_e32 v3, 0
	v_mov_b32_e32 v4, 0
	s_and_saveexec_b32 s0, vcc_lo
	s_cbranch_execz .LBB183_20
; %bb.19:
	v_sub_co_u32 v1, vcc_lo, v1, s16
	v_subrev_co_ci_u32_e32 v2, vcc_lo, 0, v2, vcc_lo
	s_delay_alu instid0(VALU_DEP_2) | instskip(NEXT) | instid1(VALU_DEP_2)
	v_add_co_u32 v1, vcc_lo, v1, v9
	v_add_co_ci_u32_e32 v2, vcc_lo, 0, v2, vcc_lo
	s_delay_alu instid0(VALU_DEP_1) | instskip(SKIP_1) | instid1(VALU_DEP_2)
	v_lshlrev_b64 v[3:4], 3, v[1:2]
	v_lshlrev_b64 v[1:2], 2, v[1:2]
	v_add_co_u32 v3, vcc_lo, s2, v3
	s_delay_alu instid0(VALU_DEP_3) | instskip(NEXT) | instid1(VALU_DEP_3)
	v_add_co_ci_u32_e32 v4, vcc_lo, s3, v4, vcc_lo
	v_add_co_u32 v1, vcc_lo, s4, v1
	s_delay_alu instid0(VALU_DEP_4)
	v_add_co_ci_u32_e32 v2, vcc_lo, s5, v2, vcc_lo
	global_load_b64 v[3:4], v[3:4], off
	global_load_b32 v9, v[1:2], off
	s_waitcnt vmcnt(1)
	v_sub_co_u32 v1, vcc_lo, v3, s16
	v_subrev_co_ci_u32_e32 v2, vcc_lo, 0, v4, vcc_lo
	s_waitcnt vmcnt(0)
	v_cvt_f64_f32_e32 v[3:4], v9
	s_delay_alu instid0(VALU_DEP_2) | instskip(NEXT) | instid1(VALU_DEP_1)
	v_lshlrev_b64 v[1:2], 3, v[1:2]
	v_add_co_u32 v1, vcc_lo, s6, v1
	s_delay_alu instid0(VALU_DEP_2) | instskip(SKIP_3) | instid1(VALU_DEP_1)
	v_add_co_ci_u32_e32 v2, vcc_lo, s7, v2, vcc_lo
	global_load_b64 v[1:2], v[1:2], off
	v_mul_f64 v[3:4], v[7:8], v[3:4]
	s_waitcnt vmcnt(0)
	v_mul_f64 v[3:4], v[3:4], v[1:2]
.LBB183_20:
	s_or_b32 exec_lo, exec_lo, s0
	v_lshlrev_b32_e32 v1, 3, v0
	ds_store_b64 v1, v[3:4] offset:6144
.LBB183_21:
	s_or_b32 exec_lo, exec_lo, s13
	s_cmp_lt_u32 s8, 11
	s_waitcnt lgkmcnt(0)
	s_barrier
	buffer_gl0_inv
	s_cbranch_scc0 .LBB183_30
; %bb.22:
	v_cmp_neq_f64_e32 vcc_lo, 0, v[5:6]
	s_mov_b32 s13, 0
	v_mov_b32_e32 v2, 0
	s_lshl_b64 s[2:3], s[12:13], 3
	s_sub_i32 s1, s14, s12
	s_add_u32 s2, s15, s2
	s_addc_u32 s3, s17, s3
	s_branch .LBB183_25
.LBB183_23:                             ;   in Loop: Header=BB183_25 Depth=1
	s_or_b32 exec_lo, exec_lo, s5
	s_delay_alu instid0(VALU_DEP_1) | instskip(NEXT) | instid1(VALU_DEP_1)
	v_add_co_u32 v7, s0, s10, v7
	v_add_co_ci_u32_e64 v8, s0, s11, v8, s0
	global_store_b64 v[7:8], v[3:4], off
.LBB183_24:                             ;   in Loop: Header=BB183_25 Depth=1
	s_or_b32 exec_lo, exec_lo, s4
	s_addk_i32 s13, 0x100
	s_delay_alu instid0(SALU_CYCLE_1)
	s_cmp_lt_u32 s13, s9
	s_cbranch_scc0 .LBB183_30
.LBB183_25:                             ; =>This Loop Header: Depth=1
                                        ;     Child Loop BB183_27 Depth 2
	v_add_nc_u32_e32 v1, s13, v0
	s_mov_b32 s4, exec_lo
	s_delay_alu instid0(VALU_DEP_1)
	v_cmpx_gt_u32_e64 s1, v1
	s_cbranch_execz .LBB183_24
; %bb.26:                               ;   in Loop: Header=BB183_25 Depth=1
	v_lshlrev_b64 v[3:4], 3, v[1:2]
	v_lshlrev_b32_e32 v1, s8, v1
	s_delay_alu instid0(VALU_DEP_2) | instskip(NEXT) | instid1(VALU_DEP_1)
	v_add_co_u32 v3, s0, s2, v3
	v_add_co_ci_u32_e64 v4, s0, s3, v4, s0
	s_mov_b32 s0, 1
	global_load_b64 v[7:8], v[3:4], off
	v_mov_b32_e32 v3, 0
	v_dual_mov_b32 v4, 0 :: v_dual_lshlrev_b32 v1, 3, v1
.LBB183_27:                             ;   Parent Loop BB183_25 Depth=1
                                        ; =>  This Inner Loop Header: Depth=2
	ds_load_b64 v[9:10], v1
	v_add_nc_u32_e32 v1, 8, v1
	s_lshr_b32 s5, s0, s8
	s_add_i32 s0, s0, 1
	s_cmp_lg_u32 s5, 0
	s_waitcnt lgkmcnt(0)
	v_add_f64 v[3:4], v[3:4], v[9:10]
	s_cbranch_scc0 .LBB183_27
; %bb.28:                               ;   in Loop: Header=BB183_25 Depth=1
	s_waitcnt vmcnt(0)
	v_lshlrev_b64 v[7:8], 3, v[7:8]
	s_and_saveexec_b32 s5, vcc_lo
	s_cbranch_execz .LBB183_23
; %bb.29:                               ;   in Loop: Header=BB183_25 Depth=1
	s_delay_alu instid0(VALU_DEP_1) | instskip(NEXT) | instid1(VALU_DEP_1)
	v_add_co_u32 v9, s0, s10, v7
	v_add_co_ci_u32_e64 v10, s0, s11, v8, s0
	global_load_b64 v[9:10], v[9:10], off
	s_waitcnt vmcnt(0)
	v_fma_f64 v[3:4], v[5:6], v[9:10], v[3:4]
	s_branch .LBB183_23
.LBB183_30:
	s_nop 0
	s_sendmsg sendmsg(MSG_DEALLOC_VGPRS)
	s_endpgm
	.section	.rodata,"a",@progbits
	.p2align	6, 0x0
	.amdhsa_kernel _ZN9rocsparseL30csrmvn_lrb_short_rows_2_kernelIllfdddEEvbT_PT0_S3_jNS_24const_host_device_scalarIT4_EEPKS1_PKS2_PKT1_PKT2_S6_PT3_21rocsparse_index_base_b
		.amdhsa_group_segment_fixed_size 8192
		.amdhsa_private_segment_fixed_size 0
		.amdhsa_kernarg_size 104
		.amdhsa_user_sgpr_count 15
		.amdhsa_user_sgpr_dispatch_ptr 0
		.amdhsa_user_sgpr_queue_ptr 0
		.amdhsa_user_sgpr_kernarg_segment_ptr 1
		.amdhsa_user_sgpr_dispatch_id 0
		.amdhsa_user_sgpr_private_segment_size 0
		.amdhsa_wavefront_size32 1
		.amdhsa_uses_dynamic_stack 0
		.amdhsa_enable_private_segment 0
		.amdhsa_system_sgpr_workgroup_id_x 1
		.amdhsa_system_sgpr_workgroup_id_y 0
		.amdhsa_system_sgpr_workgroup_id_z 0
		.amdhsa_system_sgpr_workgroup_info 0
		.amdhsa_system_vgpr_workitem_id 0
		.amdhsa_next_free_vgpr 12
		.amdhsa_next_free_sgpr 24
		.amdhsa_reserve_vcc 1
		.amdhsa_float_round_mode_32 0
		.amdhsa_float_round_mode_16_64 0
		.amdhsa_float_denorm_mode_32 3
		.amdhsa_float_denorm_mode_16_64 3
		.amdhsa_dx10_clamp 1
		.amdhsa_ieee_mode 1
		.amdhsa_fp16_overflow 0
		.amdhsa_workgroup_processor_mode 1
		.amdhsa_memory_ordered 1
		.amdhsa_forward_progress 0
		.amdhsa_shared_vgpr_count 0
		.amdhsa_exception_fp_ieee_invalid_op 0
		.amdhsa_exception_fp_denorm_src 0
		.amdhsa_exception_fp_ieee_div_zero 0
		.amdhsa_exception_fp_ieee_overflow 0
		.amdhsa_exception_fp_ieee_underflow 0
		.amdhsa_exception_fp_ieee_inexact 0
		.amdhsa_exception_int_div_zero 0
	.end_amdhsa_kernel
	.section	.text._ZN9rocsparseL30csrmvn_lrb_short_rows_2_kernelIllfdddEEvbT_PT0_S3_jNS_24const_host_device_scalarIT4_EEPKS1_PKS2_PKT1_PKT2_S6_PT3_21rocsparse_index_base_b,"axG",@progbits,_ZN9rocsparseL30csrmvn_lrb_short_rows_2_kernelIllfdddEEvbT_PT0_S3_jNS_24const_host_device_scalarIT4_EEPKS1_PKS2_PKT1_PKT2_S6_PT3_21rocsparse_index_base_b,comdat
.Lfunc_end183:
	.size	_ZN9rocsparseL30csrmvn_lrb_short_rows_2_kernelIllfdddEEvbT_PT0_S3_jNS_24const_host_device_scalarIT4_EEPKS1_PKS2_PKT1_PKT2_S6_PT3_21rocsparse_index_base_b, .Lfunc_end183-_ZN9rocsparseL30csrmvn_lrb_short_rows_2_kernelIllfdddEEvbT_PT0_S3_jNS_24const_host_device_scalarIT4_EEPKS1_PKS2_PKT1_PKT2_S6_PT3_21rocsparse_index_base_b
                                        ; -- End function
	.section	.AMDGPU.csdata,"",@progbits
; Kernel info:
; codeLenInByte = 1984
; NumSgprs: 26
; NumVgprs: 12
; ScratchSize: 0
; MemoryBound: 0
; FloatMode: 240
; IeeeMode: 1
; LDSByteSize: 8192 bytes/workgroup (compile time only)
; SGPRBlocks: 3
; VGPRBlocks: 1
; NumSGPRsForWavesPerEU: 26
; NumVGPRsForWavesPerEU: 12
; Occupancy: 16
; WaveLimiterHint : 1
; COMPUTE_PGM_RSRC2:SCRATCH_EN: 0
; COMPUTE_PGM_RSRC2:USER_SGPR: 15
; COMPUTE_PGM_RSRC2:TRAP_HANDLER: 0
; COMPUTE_PGM_RSRC2:TGID_X_EN: 1
; COMPUTE_PGM_RSRC2:TGID_Y_EN: 0
; COMPUTE_PGM_RSRC2:TGID_Z_EN: 0
; COMPUTE_PGM_RSRC2:TIDIG_COMP_CNT: 0
	.section	.text._ZN9rocsparseL41csrmvn_lrb_medium_rows_warp_reduce_kernelILj256ELj32EllfdddEEvbT1_lPT2_S3_jNS_24const_host_device_scalarIT6_EEPKS1_PKS2_PKT3_PKT4_S6_PT5_21rocsparse_index_base_b,"axG",@progbits,_ZN9rocsparseL41csrmvn_lrb_medium_rows_warp_reduce_kernelILj256ELj32EllfdddEEvbT1_lPT2_S3_jNS_24const_host_device_scalarIT6_EEPKS1_PKS2_PKT3_PKT4_S6_PT5_21rocsparse_index_base_b,comdat
	.globl	_ZN9rocsparseL41csrmvn_lrb_medium_rows_warp_reduce_kernelILj256ELj32EllfdddEEvbT1_lPT2_S3_jNS_24const_host_device_scalarIT6_EEPKS1_PKS2_PKT3_PKT4_S6_PT5_21rocsparse_index_base_b ; -- Begin function _ZN9rocsparseL41csrmvn_lrb_medium_rows_warp_reduce_kernelILj256ELj32EllfdddEEvbT1_lPT2_S3_jNS_24const_host_device_scalarIT6_EEPKS1_PKS2_PKT3_PKT4_S6_PT5_21rocsparse_index_base_b
	.p2align	8
	.type	_ZN9rocsparseL41csrmvn_lrb_medium_rows_warp_reduce_kernelILj256ELj32EllfdddEEvbT1_lPT2_S3_jNS_24const_host_device_scalarIT6_EEPKS1_PKS2_PKT3_PKT4_S6_PT5_21rocsparse_index_base_b,@function
_ZN9rocsparseL41csrmvn_lrb_medium_rows_warp_reduce_kernelILj256ELj32EllfdddEEvbT1_lPT2_S3_jNS_24const_host_device_scalarIT6_EEPKS1_PKS2_PKT3_PKT4_S6_PT5_21rocsparse_index_base_b: ; @_ZN9rocsparseL41csrmvn_lrb_medium_rows_warp_reduce_kernelILj256ELj32EllfdddEEvbT1_lPT2_S3_jNS_24const_host_device_scalarIT6_EEPKS1_PKS2_PKT3_PKT4_S6_PT5_21rocsparse_index_base_b
; %bb.0:
	s_clause 0x2
	s_load_b64 s[4:5], s[0:1], 0x68
	s_load_b64 s[6:7], s[0:1], 0x30
	;; [unrolled: 1-line block ×3, first 2 shown]
	s_waitcnt lgkmcnt(0)
	s_bitcmp1_b32 s5, 0
	v_dual_mov_b32 v5, s6 :: v_dual_mov_b32 v6, s7
	s_cselect_b32 s5, -1, 0
	s_delay_alu instid0(SALU_CYCLE_1)
	s_and_b32 vcc_lo, exec_lo, s5
	s_xor_b32 s5, s5, -1
	s_cbranch_vccnz .LBB184_2
; %bb.1:
	v_dual_mov_b32 v1, s6 :: v_dual_mov_b32 v2, s7
	flat_load_b64 v[5:6], v[1:2]
.LBB184_2:
	v_dual_mov_b32 v1, s2 :: v_dual_mov_b32 v2, s3
	s_and_not1_b32 vcc_lo, exec_lo, s5
	s_cbranch_vccnz .LBB184_4
; %bb.3:
	v_dual_mov_b32 v1, s2 :: v_dual_mov_b32 v2, s3
	flat_load_b64 v[1:2], v[1:2]
.LBB184_4:
	s_waitcnt vmcnt(0) lgkmcnt(0)
	v_cmp_neq_f64_e32 vcc_lo, 0, v[5:6]
	v_cmp_neq_f64_e64 s2, 1.0, v[1:2]
	s_delay_alu instid0(VALU_DEP_1) | instskip(NEXT) | instid1(SALU_CYCLE_1)
	s_or_b32 s2, vcc_lo, s2
	s_and_saveexec_b32 s3, s2
	s_cbranch_execz .LBB184_14
; %bb.5:
	s_load_b64 s[2:3], s[0:1], 0x10
	v_lshrrev_b32_e32 v3, 5, v0
	s_delay_alu instid0(VALU_DEP_1) | instskip(NEXT) | instid1(VALU_DEP_1)
	v_lshl_or_b32 v3, s15, 3, v3
	v_ashrrev_i32_e32 v4, 31, v3
	s_waitcnt lgkmcnt(0)
	s_delay_alu instid0(VALU_DEP_1)
	v_cmp_gt_i64_e32 vcc_lo, s[2:3], v[3:4]
	s_and_b32 exec_lo, exec_lo, vcc_lo
	s_cbranch_execz .LBB184_14
; %bb.6:
	s_clause 0x1
	s_load_b32 s6, s[0:1], 0x28
	s_load_b128 s[8:11], s[0:1], 0x18
	s_mov_b32 s7, 0
	v_lshlrev_b64 v[3:4], 3, v[3:4]
	v_and_b32_e32 v0, 31, v0
	s_waitcnt lgkmcnt(0)
	s_lshl_b64 s[2:3], s[6:7], 3
	s_delay_alu instid0(SALU_CYCLE_1) | instskip(SKIP_4) | instid1(SALU_CYCLE_1)
	s_add_u32 s2, s10, s2
	s_addc_u32 s3, s11, s3
	s_load_b64 s[2:3], s[2:3], 0x0
	s_waitcnt lgkmcnt(0)
	s_lshl_b64 s[2:3], s[2:3], 3
	s_add_u32 s2, s8, s2
	s_addc_u32 s3, s9, s3
	v_add_co_u32 v3, vcc_lo, s2, v3
	v_add_co_ci_u32_e32 v4, vcc_lo, s3, v4, vcc_lo
	s_load_b64 s[2:3], s[0:1], 0x38
	global_load_b64 v[3:4], v[3:4], off
	s_waitcnt vmcnt(0)
	v_lshlrev_b64 v[3:4], 3, v[3:4]
	s_waitcnt lgkmcnt(0)
	s_delay_alu instid0(VALU_DEP_1) | instskip(NEXT) | instid1(VALU_DEP_2)
	v_add_co_u32 v7, vcc_lo, s2, v3
	v_add_co_ci_u32_e32 v8, vcc_lo, s3, v4, vcc_lo
	s_load_b64 s[2:3], s[0:1], 0x60
	global_load_b128 v[9:12], v[7:8], off
	s_waitcnt vmcnt(0)
	v_sub_co_u32 v7, vcc_lo, v11, s4
	v_subrev_co_ci_u32_e32 v8, vcc_lo, 0, v12, vcc_lo
	v_mov_b32_e32 v11, 0
	v_sub_co_u32 v13, s5, v0, s4
	s_delay_alu instid0(VALU_DEP_1) | instskip(SKIP_1) | instid1(VALU_DEP_3)
	v_sub_co_ci_u32_e64 v14, null, 0, 0, s5
	v_mov_b32_e32 v12, 0
	v_add_co_u32 v9, vcc_lo, v9, v13
	s_delay_alu instid0(VALU_DEP_3) | instskip(SKIP_1) | instid1(VALU_DEP_1)
	v_add_co_ci_u32_e32 v10, vcc_lo, v10, v14, vcc_lo
	s_mov_b32 s5, exec_lo
	v_cmpx_lt_i64_e64 v[9:10], v[7:8]
	s_cbranch_execz .LBB184_10
; %bb.7:
	s_clause 0x1
	s_load_b128 s[12:15], s[0:1], 0x40
	s_load_b64 s[8:9], s[0:1], 0x50
	v_lshlrev_b64 v[13:14], 2, v[9:10]
	v_lshlrev_b64 v[15:16], 3, v[9:10]
	v_mov_b32_e32 v11, 0
	v_mov_b32_e32 v12, 0
	s_waitcnt lgkmcnt(0)
	s_delay_alu instid0(VALU_DEP_4)
	v_add_co_u32 v13, vcc_lo, s14, v13
	v_add_co_ci_u32_e32 v14, vcc_lo, s15, v14, vcc_lo
	v_add_co_u32 v15, vcc_lo, s12, v15
	v_add_co_ci_u32_e32 v16, vcc_lo, s13, v16, vcc_lo
	s_set_inst_prefetch_distance 0x1
	.p2align	6
.LBB184_8:                              ; =>This Inner Loop Header: Depth=1
	global_load_b64 v[17:18], v[15:16], off
	global_load_b32 v19, v[13:14], off
	v_add_co_u32 v15, s0, 0x100, v15
	s_delay_alu instid0(VALU_DEP_1)
	v_add_co_ci_u32_e64 v16, s0, 0, v16, s0
	s_waitcnt vmcnt(1)
	v_sub_co_u32 v17, vcc_lo, v17, s4
	v_subrev_co_ci_u32_e32 v18, vcc_lo, 0, v18, vcc_lo
	s_waitcnt vmcnt(0)
	v_cvt_f64_f32_e32 v[19:20], v19
	s_delay_alu instid0(VALU_DEP_2) | instskip(NEXT) | instid1(VALU_DEP_1)
	v_lshlrev_b64 v[17:18], 3, v[17:18]
	v_add_co_u32 v17, vcc_lo, s8, v17
	s_delay_alu instid0(VALU_DEP_2)
	v_add_co_ci_u32_e32 v18, vcc_lo, s9, v18, vcc_lo
	v_add_co_u32 v9, vcc_lo, v9, 32
	v_add_co_ci_u32_e32 v10, vcc_lo, 0, v10, vcc_lo
	global_load_b64 v[17:18], v[17:18], off
	v_add_co_u32 v13, vcc_lo, 0x80, v13
	v_add_co_ci_u32_e32 v14, vcc_lo, 0, v14, vcc_lo
	v_cmp_ge_i64_e32 vcc_lo, v[9:10], v[7:8]
	s_or_b32 s7, vcc_lo, s7
	v_mul_f64 v[19:20], v[5:6], v[19:20]
	s_waitcnt vmcnt(0)
	s_delay_alu instid0(VALU_DEP_1)
	v_fma_f64 v[11:12], v[19:20], v[17:18], v[11:12]
	s_and_not1_b32 exec_lo, exec_lo, s7
	s_cbranch_execnz .LBB184_8
; %bb.9:
	s_set_inst_prefetch_distance 0x2
	s_or_b32 exec_lo, exec_lo, s7
.LBB184_10:
	s_delay_alu instid0(SALU_CYCLE_1) | instskip(SKIP_1) | instid1(VALU_DEP_1)
	s_or_b32 exec_lo, exec_lo, s5
	v_mbcnt_lo_u32_b32 v9, -1, 0
	v_xor_b32_e32 v5, 16, v9
	v_xor_b32_e32 v7, 8, v9
	s_delay_alu instid0(VALU_DEP_2) | instskip(SKIP_1) | instid1(VALU_DEP_3)
	v_cmp_gt_i32_e32 vcc_lo, 32, v5
	v_cndmask_b32_e32 v5, v9, v5, vcc_lo
	v_cmp_gt_i32_e32 vcc_lo, 32, v7
	v_cndmask_b32_e32 v7, v9, v7, vcc_lo
	s_delay_alu instid0(VALU_DEP_1) | instskip(NEXT) | instid1(VALU_DEP_4)
	v_lshlrev_b32_e32 v8, 2, v7
	v_lshlrev_b32_e32 v6, 2, v5
	ds_bpermute_b32 v5, v6, v11
	ds_bpermute_b32 v6, v6, v12
	s_waitcnt lgkmcnt(0)
	v_add_f64 v[5:6], v[11:12], v[5:6]
	ds_bpermute_b32 v7, v8, v5
	ds_bpermute_b32 v8, v8, v6
	s_waitcnt lgkmcnt(0)
	v_add_f64 v[5:6], v[5:6], v[7:8]
	v_xor_b32_e32 v7, 4, v9
	s_delay_alu instid0(VALU_DEP_1) | instskip(SKIP_1) | instid1(VALU_DEP_1)
	v_cmp_gt_i32_e32 vcc_lo, 32, v7
	v_cndmask_b32_e32 v7, v9, v7, vcc_lo
	v_lshlrev_b32_e32 v8, 2, v7
	ds_bpermute_b32 v7, v8, v5
	ds_bpermute_b32 v8, v8, v6
	s_waitcnt lgkmcnt(0)
	v_add_f64 v[5:6], v[5:6], v[7:8]
	v_xor_b32_e32 v7, 2, v9
	s_delay_alu instid0(VALU_DEP_1) | instskip(SKIP_1) | instid1(VALU_DEP_1)
	v_cmp_gt_i32_e32 vcc_lo, 32, v7
	v_cndmask_b32_e32 v7, v9, v7, vcc_lo
	v_lshlrev_b32_e32 v8, 2, v7
	ds_bpermute_b32 v7, v8, v5
	ds_bpermute_b32 v8, v8, v6
	s_waitcnt lgkmcnt(0)
	v_add_f64 v[5:6], v[5:6], v[7:8]
	v_xor_b32_e32 v7, 1, v9
	s_delay_alu instid0(VALU_DEP_1) | instskip(SKIP_2) | instid1(VALU_DEP_2)
	v_cmp_gt_i32_e32 vcc_lo, 32, v7
	v_cndmask_b32_e32 v7, v9, v7, vcc_lo
	v_cmp_eq_u32_e32 vcc_lo, 31, v0
	v_lshlrev_b32_e32 v8, 2, v7
	ds_bpermute_b32 v7, v8, v5
	ds_bpermute_b32 v8, v8, v6
	s_and_b32 exec_lo, exec_lo, vcc_lo
	s_cbranch_execz .LBB184_14
; %bb.11:
	s_waitcnt lgkmcnt(0)
	v_add_f64 v[5:6], v[5:6], v[7:8]
	s_mov_b32 s0, exec_lo
	v_cmpx_neq_f64_e32 0, v[1:2]
	s_cbranch_execz .LBB184_13
; %bb.12:
	v_add_co_u32 v7, vcc_lo, s2, v3
	v_add_co_ci_u32_e32 v8, vcc_lo, s3, v4, vcc_lo
	global_load_b64 v[7:8], v[7:8], off
	s_waitcnt vmcnt(0)
	v_fma_f64 v[5:6], v[1:2], v[7:8], v[5:6]
.LBB184_13:
	s_or_b32 exec_lo, exec_lo, s0
	v_add_co_u32 v0, vcc_lo, s2, v3
	v_add_co_ci_u32_e32 v1, vcc_lo, s3, v4, vcc_lo
	global_store_b64 v[0:1], v[5:6], off
.LBB184_14:
	s_nop 0
	s_sendmsg sendmsg(MSG_DEALLOC_VGPRS)
	s_endpgm
	.section	.rodata,"a",@progbits
	.p2align	6, 0x0
	.amdhsa_kernel _ZN9rocsparseL41csrmvn_lrb_medium_rows_warp_reduce_kernelILj256ELj32EllfdddEEvbT1_lPT2_S3_jNS_24const_host_device_scalarIT6_EEPKS1_PKS2_PKT3_PKT4_S6_PT5_21rocsparse_index_base_b
		.amdhsa_group_segment_fixed_size 0
		.amdhsa_private_segment_fixed_size 0
		.amdhsa_kernarg_size 112
		.amdhsa_user_sgpr_count 15
		.amdhsa_user_sgpr_dispatch_ptr 0
		.amdhsa_user_sgpr_queue_ptr 0
		.amdhsa_user_sgpr_kernarg_segment_ptr 1
		.amdhsa_user_sgpr_dispatch_id 0
		.amdhsa_user_sgpr_private_segment_size 0
		.amdhsa_wavefront_size32 1
		.amdhsa_uses_dynamic_stack 0
		.amdhsa_enable_private_segment 0
		.amdhsa_system_sgpr_workgroup_id_x 1
		.amdhsa_system_sgpr_workgroup_id_y 0
		.amdhsa_system_sgpr_workgroup_id_z 0
		.amdhsa_system_sgpr_workgroup_info 0
		.amdhsa_system_vgpr_workitem_id 0
		.amdhsa_next_free_vgpr 21
		.amdhsa_next_free_sgpr 16
		.amdhsa_reserve_vcc 1
		.amdhsa_float_round_mode_32 0
		.amdhsa_float_round_mode_16_64 0
		.amdhsa_float_denorm_mode_32 3
		.amdhsa_float_denorm_mode_16_64 3
		.amdhsa_dx10_clamp 1
		.amdhsa_ieee_mode 1
		.amdhsa_fp16_overflow 0
		.amdhsa_workgroup_processor_mode 1
		.amdhsa_memory_ordered 1
		.amdhsa_forward_progress 0
		.amdhsa_shared_vgpr_count 0
		.amdhsa_exception_fp_ieee_invalid_op 0
		.amdhsa_exception_fp_denorm_src 0
		.amdhsa_exception_fp_ieee_div_zero 0
		.amdhsa_exception_fp_ieee_overflow 0
		.amdhsa_exception_fp_ieee_underflow 0
		.amdhsa_exception_fp_ieee_inexact 0
		.amdhsa_exception_int_div_zero 0
	.end_amdhsa_kernel
	.section	.text._ZN9rocsparseL41csrmvn_lrb_medium_rows_warp_reduce_kernelILj256ELj32EllfdddEEvbT1_lPT2_S3_jNS_24const_host_device_scalarIT6_EEPKS1_PKS2_PKT3_PKT4_S6_PT5_21rocsparse_index_base_b,"axG",@progbits,_ZN9rocsparseL41csrmvn_lrb_medium_rows_warp_reduce_kernelILj256ELj32EllfdddEEvbT1_lPT2_S3_jNS_24const_host_device_scalarIT6_EEPKS1_PKS2_PKT3_PKT4_S6_PT5_21rocsparse_index_base_b,comdat
.Lfunc_end184:
	.size	_ZN9rocsparseL41csrmvn_lrb_medium_rows_warp_reduce_kernelILj256ELj32EllfdddEEvbT1_lPT2_S3_jNS_24const_host_device_scalarIT6_EEPKS1_PKS2_PKT3_PKT4_S6_PT5_21rocsparse_index_base_b, .Lfunc_end184-_ZN9rocsparseL41csrmvn_lrb_medium_rows_warp_reduce_kernelILj256ELj32EllfdddEEvbT1_lPT2_S3_jNS_24const_host_device_scalarIT6_EEPKS1_PKS2_PKT3_PKT4_S6_PT5_21rocsparse_index_base_b
                                        ; -- End function
	.section	.AMDGPU.csdata,"",@progbits
; Kernel info:
; codeLenInByte = 1028
; NumSgprs: 18
; NumVgprs: 21
; ScratchSize: 0
; MemoryBound: 0
; FloatMode: 240
; IeeeMode: 1
; LDSByteSize: 0 bytes/workgroup (compile time only)
; SGPRBlocks: 2
; VGPRBlocks: 2
; NumSGPRsForWavesPerEU: 18
; NumVGPRsForWavesPerEU: 21
; Occupancy: 16
; WaveLimiterHint : 1
; COMPUTE_PGM_RSRC2:SCRATCH_EN: 0
; COMPUTE_PGM_RSRC2:USER_SGPR: 15
; COMPUTE_PGM_RSRC2:TRAP_HANDLER: 0
; COMPUTE_PGM_RSRC2:TGID_X_EN: 1
; COMPUTE_PGM_RSRC2:TGID_Y_EN: 0
; COMPUTE_PGM_RSRC2:TGID_Z_EN: 0
; COMPUTE_PGM_RSRC2:TIDIG_COMP_CNT: 0
	.section	.text._ZN9rocsparseL41csrmvn_lrb_medium_rows_warp_reduce_kernelILj256ELj64EllfdddEEvbT1_lPT2_S3_jNS_24const_host_device_scalarIT6_EEPKS1_PKS2_PKT3_PKT4_S6_PT5_21rocsparse_index_base_b,"axG",@progbits,_ZN9rocsparseL41csrmvn_lrb_medium_rows_warp_reduce_kernelILj256ELj64EllfdddEEvbT1_lPT2_S3_jNS_24const_host_device_scalarIT6_EEPKS1_PKS2_PKT3_PKT4_S6_PT5_21rocsparse_index_base_b,comdat
	.globl	_ZN9rocsparseL41csrmvn_lrb_medium_rows_warp_reduce_kernelILj256ELj64EllfdddEEvbT1_lPT2_S3_jNS_24const_host_device_scalarIT6_EEPKS1_PKS2_PKT3_PKT4_S6_PT5_21rocsparse_index_base_b ; -- Begin function _ZN9rocsparseL41csrmvn_lrb_medium_rows_warp_reduce_kernelILj256ELj64EllfdddEEvbT1_lPT2_S3_jNS_24const_host_device_scalarIT6_EEPKS1_PKS2_PKT3_PKT4_S6_PT5_21rocsparse_index_base_b
	.p2align	8
	.type	_ZN9rocsparseL41csrmvn_lrb_medium_rows_warp_reduce_kernelILj256ELj64EllfdddEEvbT1_lPT2_S3_jNS_24const_host_device_scalarIT6_EEPKS1_PKS2_PKT3_PKT4_S6_PT5_21rocsparse_index_base_b,@function
_ZN9rocsparseL41csrmvn_lrb_medium_rows_warp_reduce_kernelILj256ELj64EllfdddEEvbT1_lPT2_S3_jNS_24const_host_device_scalarIT6_EEPKS1_PKS2_PKT3_PKT4_S6_PT5_21rocsparse_index_base_b: ; @_ZN9rocsparseL41csrmvn_lrb_medium_rows_warp_reduce_kernelILj256ELj64EllfdddEEvbT1_lPT2_S3_jNS_24const_host_device_scalarIT6_EEPKS1_PKS2_PKT3_PKT4_S6_PT5_21rocsparse_index_base_b
; %bb.0:
	s_clause 0x2
	s_load_b64 s[4:5], s[0:1], 0x68
	s_load_b64 s[6:7], s[0:1], 0x30
	;; [unrolled: 1-line block ×3, first 2 shown]
	s_waitcnt lgkmcnt(0)
	s_bitcmp1_b32 s5, 0
	v_dual_mov_b32 v5, s6 :: v_dual_mov_b32 v6, s7
	s_cselect_b32 s5, -1, 0
	s_delay_alu instid0(SALU_CYCLE_1)
	s_and_b32 vcc_lo, exec_lo, s5
	s_xor_b32 s5, s5, -1
	s_cbranch_vccnz .LBB185_2
; %bb.1:
	v_dual_mov_b32 v1, s6 :: v_dual_mov_b32 v2, s7
	flat_load_b64 v[5:6], v[1:2]
.LBB185_2:
	v_dual_mov_b32 v1, s2 :: v_dual_mov_b32 v2, s3
	s_and_not1_b32 vcc_lo, exec_lo, s5
	s_cbranch_vccnz .LBB185_4
; %bb.3:
	v_dual_mov_b32 v1, s2 :: v_dual_mov_b32 v2, s3
	flat_load_b64 v[1:2], v[1:2]
.LBB185_4:
	s_waitcnt vmcnt(0) lgkmcnt(0)
	v_cmp_neq_f64_e32 vcc_lo, 0, v[5:6]
	v_cmp_neq_f64_e64 s2, 1.0, v[1:2]
	s_delay_alu instid0(VALU_DEP_1) | instskip(NEXT) | instid1(SALU_CYCLE_1)
	s_or_b32 s2, vcc_lo, s2
	s_and_saveexec_b32 s3, s2
	s_cbranch_execz .LBB185_14
; %bb.5:
	s_load_b64 s[2:3], s[0:1], 0x10
	v_lshrrev_b32_e32 v3, 6, v0
	s_delay_alu instid0(VALU_DEP_1) | instskip(NEXT) | instid1(VALU_DEP_1)
	v_lshl_or_b32 v3, s15, 2, v3
	v_ashrrev_i32_e32 v4, 31, v3
	s_waitcnt lgkmcnt(0)
	s_delay_alu instid0(VALU_DEP_1)
	v_cmp_gt_i64_e32 vcc_lo, s[2:3], v[3:4]
	s_and_b32 exec_lo, exec_lo, vcc_lo
	s_cbranch_execz .LBB185_14
; %bb.6:
	s_clause 0x1
	s_load_b32 s6, s[0:1], 0x28
	s_load_b128 s[8:11], s[0:1], 0x18
	s_mov_b32 s7, 0
	v_lshlrev_b64 v[3:4], 3, v[3:4]
	v_and_b32_e32 v0, 63, v0
	s_waitcnt lgkmcnt(0)
	s_lshl_b64 s[2:3], s[6:7], 3
	s_delay_alu instid0(SALU_CYCLE_1) | instskip(SKIP_4) | instid1(SALU_CYCLE_1)
	s_add_u32 s2, s10, s2
	s_addc_u32 s3, s11, s3
	s_load_b64 s[2:3], s[2:3], 0x0
	s_waitcnt lgkmcnt(0)
	s_lshl_b64 s[2:3], s[2:3], 3
	s_add_u32 s2, s8, s2
	s_addc_u32 s3, s9, s3
	v_add_co_u32 v3, vcc_lo, s2, v3
	v_add_co_ci_u32_e32 v4, vcc_lo, s3, v4, vcc_lo
	s_load_b64 s[2:3], s[0:1], 0x38
	global_load_b64 v[3:4], v[3:4], off
	s_waitcnt vmcnt(0)
	v_lshlrev_b64 v[3:4], 3, v[3:4]
	s_waitcnt lgkmcnt(0)
	s_delay_alu instid0(VALU_DEP_1) | instskip(NEXT) | instid1(VALU_DEP_2)
	v_add_co_u32 v7, vcc_lo, s2, v3
	v_add_co_ci_u32_e32 v8, vcc_lo, s3, v4, vcc_lo
	s_load_b64 s[2:3], s[0:1], 0x60
	global_load_b128 v[9:12], v[7:8], off
	s_waitcnt vmcnt(0)
	v_sub_co_u32 v7, vcc_lo, v11, s4
	v_subrev_co_ci_u32_e32 v8, vcc_lo, 0, v12, vcc_lo
	v_mov_b32_e32 v11, 0
	v_sub_co_u32 v13, s5, v0, s4
	s_delay_alu instid0(VALU_DEP_1) | instskip(SKIP_1) | instid1(VALU_DEP_3)
	v_sub_co_ci_u32_e64 v14, null, 0, 0, s5
	v_mov_b32_e32 v12, 0
	v_add_co_u32 v9, vcc_lo, v9, v13
	s_delay_alu instid0(VALU_DEP_3) | instskip(SKIP_1) | instid1(VALU_DEP_1)
	v_add_co_ci_u32_e32 v10, vcc_lo, v10, v14, vcc_lo
	s_mov_b32 s5, exec_lo
	v_cmpx_lt_i64_e64 v[9:10], v[7:8]
	s_cbranch_execz .LBB185_10
; %bb.7:
	s_clause 0x1
	s_load_b128 s[12:15], s[0:1], 0x40
	s_load_b64 s[8:9], s[0:1], 0x50
	v_lshlrev_b64 v[13:14], 2, v[9:10]
	v_lshlrev_b64 v[15:16], 3, v[9:10]
	v_mov_b32_e32 v11, 0
	v_mov_b32_e32 v12, 0
	s_waitcnt lgkmcnt(0)
	s_delay_alu instid0(VALU_DEP_4)
	v_add_co_u32 v13, vcc_lo, s14, v13
	v_add_co_ci_u32_e32 v14, vcc_lo, s15, v14, vcc_lo
	v_add_co_u32 v15, vcc_lo, s12, v15
	v_add_co_ci_u32_e32 v16, vcc_lo, s13, v16, vcc_lo
	s_set_inst_prefetch_distance 0x1
	.p2align	6
.LBB185_8:                              ; =>This Inner Loop Header: Depth=1
	global_load_b64 v[17:18], v[15:16], off
	global_load_b32 v19, v[13:14], off
	v_add_co_u32 v15, s0, 0x200, v15
	s_delay_alu instid0(VALU_DEP_1)
	v_add_co_ci_u32_e64 v16, s0, 0, v16, s0
	s_waitcnt vmcnt(1)
	v_sub_co_u32 v17, vcc_lo, v17, s4
	v_subrev_co_ci_u32_e32 v18, vcc_lo, 0, v18, vcc_lo
	s_waitcnt vmcnt(0)
	v_cvt_f64_f32_e32 v[19:20], v19
	s_delay_alu instid0(VALU_DEP_2) | instskip(NEXT) | instid1(VALU_DEP_1)
	v_lshlrev_b64 v[17:18], 3, v[17:18]
	v_add_co_u32 v17, vcc_lo, s8, v17
	s_delay_alu instid0(VALU_DEP_2)
	v_add_co_ci_u32_e32 v18, vcc_lo, s9, v18, vcc_lo
	v_add_co_u32 v9, vcc_lo, v9, 64
	v_add_co_ci_u32_e32 v10, vcc_lo, 0, v10, vcc_lo
	global_load_b64 v[17:18], v[17:18], off
	v_add_co_u32 v13, vcc_lo, 0x100, v13
	v_add_co_ci_u32_e32 v14, vcc_lo, 0, v14, vcc_lo
	v_cmp_ge_i64_e32 vcc_lo, v[9:10], v[7:8]
	s_or_b32 s7, vcc_lo, s7
	v_mul_f64 v[19:20], v[5:6], v[19:20]
	s_waitcnt vmcnt(0)
	s_delay_alu instid0(VALU_DEP_1)
	v_fma_f64 v[11:12], v[19:20], v[17:18], v[11:12]
	s_and_not1_b32 exec_lo, exec_lo, s7
	s_cbranch_execnz .LBB185_8
; %bb.9:
	s_set_inst_prefetch_distance 0x2
	s_or_b32 exec_lo, exec_lo, s7
.LBB185_10:
	s_delay_alu instid0(SALU_CYCLE_1) | instskip(SKIP_1) | instid1(VALU_DEP_1)
	s_or_b32 exec_lo, exec_lo, s5
	v_mbcnt_lo_u32_b32 v9, -1, 0
	v_or_b32_e32 v5, 32, v9
	v_xor_b32_e32 v7, 16, v9
	s_delay_alu instid0(VALU_DEP_2) | instskip(SKIP_1) | instid1(VALU_DEP_3)
	v_cmp_gt_i32_e32 vcc_lo, 32, v5
	v_cndmask_b32_e32 v5, v9, v5, vcc_lo
	v_cmp_gt_i32_e32 vcc_lo, 32, v7
	v_cndmask_b32_e32 v7, v9, v7, vcc_lo
	s_delay_alu instid0(VALU_DEP_1) | instskip(NEXT) | instid1(VALU_DEP_4)
	v_lshlrev_b32_e32 v8, 2, v7
	v_lshlrev_b32_e32 v6, 2, v5
	ds_bpermute_b32 v5, v6, v11
	ds_bpermute_b32 v6, v6, v12
	s_waitcnt lgkmcnt(0)
	v_add_f64 v[5:6], v[11:12], v[5:6]
	ds_bpermute_b32 v7, v8, v5
	ds_bpermute_b32 v8, v8, v6
	s_waitcnt lgkmcnt(0)
	v_add_f64 v[5:6], v[5:6], v[7:8]
	v_xor_b32_e32 v7, 8, v9
	s_delay_alu instid0(VALU_DEP_1) | instskip(SKIP_1) | instid1(VALU_DEP_1)
	v_cmp_gt_i32_e32 vcc_lo, 32, v7
	v_cndmask_b32_e32 v7, v9, v7, vcc_lo
	v_lshlrev_b32_e32 v8, 2, v7
	ds_bpermute_b32 v7, v8, v5
	ds_bpermute_b32 v8, v8, v6
	s_waitcnt lgkmcnt(0)
	v_add_f64 v[5:6], v[5:6], v[7:8]
	v_xor_b32_e32 v7, 4, v9
	s_delay_alu instid0(VALU_DEP_1) | instskip(SKIP_1) | instid1(VALU_DEP_1)
	v_cmp_gt_i32_e32 vcc_lo, 32, v7
	v_cndmask_b32_e32 v7, v9, v7, vcc_lo
	v_lshlrev_b32_e32 v8, 2, v7
	;; [unrolled: 9-line block ×3, first 2 shown]
	ds_bpermute_b32 v7, v8, v5
	ds_bpermute_b32 v8, v8, v6
	s_waitcnt lgkmcnt(0)
	v_add_f64 v[5:6], v[5:6], v[7:8]
	v_xor_b32_e32 v7, 1, v9
	s_delay_alu instid0(VALU_DEP_1) | instskip(SKIP_2) | instid1(VALU_DEP_2)
	v_cmp_gt_i32_e32 vcc_lo, 32, v7
	v_cndmask_b32_e32 v7, v9, v7, vcc_lo
	v_cmp_eq_u32_e32 vcc_lo, 63, v0
	v_lshlrev_b32_e32 v8, 2, v7
	ds_bpermute_b32 v7, v8, v5
	ds_bpermute_b32 v8, v8, v6
	s_and_b32 exec_lo, exec_lo, vcc_lo
	s_cbranch_execz .LBB185_14
; %bb.11:
	s_waitcnt lgkmcnt(0)
	v_add_f64 v[5:6], v[5:6], v[7:8]
	s_mov_b32 s0, exec_lo
	v_cmpx_neq_f64_e32 0, v[1:2]
	s_cbranch_execz .LBB185_13
; %bb.12:
	v_add_co_u32 v7, vcc_lo, s2, v3
	v_add_co_ci_u32_e32 v8, vcc_lo, s3, v4, vcc_lo
	global_load_b64 v[7:8], v[7:8], off
	s_waitcnt vmcnt(0)
	v_fma_f64 v[5:6], v[1:2], v[7:8], v[5:6]
.LBB185_13:
	s_or_b32 exec_lo, exec_lo, s0
	v_add_co_u32 v0, vcc_lo, s2, v3
	v_add_co_ci_u32_e32 v1, vcc_lo, s3, v4, vcc_lo
	global_store_b64 v[0:1], v[5:6], off
.LBB185_14:
	s_nop 0
	s_sendmsg sendmsg(MSG_DEALLOC_VGPRS)
	s_endpgm
	.section	.rodata,"a",@progbits
	.p2align	6, 0x0
	.amdhsa_kernel _ZN9rocsparseL41csrmvn_lrb_medium_rows_warp_reduce_kernelILj256ELj64EllfdddEEvbT1_lPT2_S3_jNS_24const_host_device_scalarIT6_EEPKS1_PKS2_PKT3_PKT4_S6_PT5_21rocsparse_index_base_b
		.amdhsa_group_segment_fixed_size 0
		.amdhsa_private_segment_fixed_size 0
		.amdhsa_kernarg_size 112
		.amdhsa_user_sgpr_count 15
		.amdhsa_user_sgpr_dispatch_ptr 0
		.amdhsa_user_sgpr_queue_ptr 0
		.amdhsa_user_sgpr_kernarg_segment_ptr 1
		.amdhsa_user_sgpr_dispatch_id 0
		.amdhsa_user_sgpr_private_segment_size 0
		.amdhsa_wavefront_size32 1
		.amdhsa_uses_dynamic_stack 0
		.amdhsa_enable_private_segment 0
		.amdhsa_system_sgpr_workgroup_id_x 1
		.amdhsa_system_sgpr_workgroup_id_y 0
		.amdhsa_system_sgpr_workgroup_id_z 0
		.amdhsa_system_sgpr_workgroup_info 0
		.amdhsa_system_vgpr_workitem_id 0
		.amdhsa_next_free_vgpr 21
		.amdhsa_next_free_sgpr 16
		.amdhsa_reserve_vcc 1
		.amdhsa_float_round_mode_32 0
		.amdhsa_float_round_mode_16_64 0
		.amdhsa_float_denorm_mode_32 3
		.amdhsa_float_denorm_mode_16_64 3
		.amdhsa_dx10_clamp 1
		.amdhsa_ieee_mode 1
		.amdhsa_fp16_overflow 0
		.amdhsa_workgroup_processor_mode 1
		.amdhsa_memory_ordered 1
		.amdhsa_forward_progress 0
		.amdhsa_shared_vgpr_count 0
		.amdhsa_exception_fp_ieee_invalid_op 0
		.amdhsa_exception_fp_denorm_src 0
		.amdhsa_exception_fp_ieee_div_zero 0
		.amdhsa_exception_fp_ieee_overflow 0
		.amdhsa_exception_fp_ieee_underflow 0
		.amdhsa_exception_fp_ieee_inexact 0
		.amdhsa_exception_int_div_zero 0
	.end_amdhsa_kernel
	.section	.text._ZN9rocsparseL41csrmvn_lrb_medium_rows_warp_reduce_kernelILj256ELj64EllfdddEEvbT1_lPT2_S3_jNS_24const_host_device_scalarIT6_EEPKS1_PKS2_PKT3_PKT4_S6_PT5_21rocsparse_index_base_b,"axG",@progbits,_ZN9rocsparseL41csrmvn_lrb_medium_rows_warp_reduce_kernelILj256ELj64EllfdddEEvbT1_lPT2_S3_jNS_24const_host_device_scalarIT6_EEPKS1_PKS2_PKT3_PKT4_S6_PT5_21rocsparse_index_base_b,comdat
.Lfunc_end185:
	.size	_ZN9rocsparseL41csrmvn_lrb_medium_rows_warp_reduce_kernelILj256ELj64EllfdddEEvbT1_lPT2_S3_jNS_24const_host_device_scalarIT6_EEPKS1_PKS2_PKT3_PKT4_S6_PT5_21rocsparse_index_base_b, .Lfunc_end185-_ZN9rocsparseL41csrmvn_lrb_medium_rows_warp_reduce_kernelILj256ELj64EllfdddEEvbT1_lPT2_S3_jNS_24const_host_device_scalarIT6_EEPKS1_PKS2_PKT3_PKT4_S6_PT5_21rocsparse_index_base_b
                                        ; -- End function
	.section	.AMDGPU.csdata,"",@progbits
; Kernel info:
; codeLenInByte = 1076
; NumSgprs: 18
; NumVgprs: 21
; ScratchSize: 0
; MemoryBound: 0
; FloatMode: 240
; IeeeMode: 1
; LDSByteSize: 0 bytes/workgroup (compile time only)
; SGPRBlocks: 2
; VGPRBlocks: 2
; NumSGPRsForWavesPerEU: 18
; NumVGPRsForWavesPerEU: 21
; Occupancy: 16
; WaveLimiterHint : 1
; COMPUTE_PGM_RSRC2:SCRATCH_EN: 0
; COMPUTE_PGM_RSRC2:USER_SGPR: 15
; COMPUTE_PGM_RSRC2:TRAP_HANDLER: 0
; COMPUTE_PGM_RSRC2:TGID_X_EN: 1
; COMPUTE_PGM_RSRC2:TGID_Y_EN: 0
; COMPUTE_PGM_RSRC2:TGID_Z_EN: 0
; COMPUTE_PGM_RSRC2:TIDIG_COMP_CNT: 0
	.section	.text._ZN9rocsparseL29csrmvn_lrb_medium_rows_kernelILj256EllfdddEEvbT0_PT1_S3_jNS_24const_host_device_scalarIT5_EEPKS1_PKS2_PKT2_PKT3_S6_PT4_21rocsparse_index_base_b,"axG",@progbits,_ZN9rocsparseL29csrmvn_lrb_medium_rows_kernelILj256EllfdddEEvbT0_PT1_S3_jNS_24const_host_device_scalarIT5_EEPKS1_PKS2_PKT2_PKT3_S6_PT4_21rocsparse_index_base_b,comdat
	.globl	_ZN9rocsparseL29csrmvn_lrb_medium_rows_kernelILj256EllfdddEEvbT0_PT1_S3_jNS_24const_host_device_scalarIT5_EEPKS1_PKS2_PKT2_PKT3_S6_PT4_21rocsparse_index_base_b ; -- Begin function _ZN9rocsparseL29csrmvn_lrb_medium_rows_kernelILj256EllfdddEEvbT0_PT1_S3_jNS_24const_host_device_scalarIT5_EEPKS1_PKS2_PKT2_PKT3_S6_PT4_21rocsparse_index_base_b
	.p2align	8
	.type	_ZN9rocsparseL29csrmvn_lrb_medium_rows_kernelILj256EllfdddEEvbT0_PT1_S3_jNS_24const_host_device_scalarIT5_EEPKS1_PKS2_PKT2_PKT3_S6_PT4_21rocsparse_index_base_b,@function
_ZN9rocsparseL29csrmvn_lrb_medium_rows_kernelILj256EllfdddEEvbT0_PT1_S3_jNS_24const_host_device_scalarIT5_EEPKS1_PKS2_PKT2_PKT3_S6_PT4_21rocsparse_index_base_b: ; @_ZN9rocsparseL29csrmvn_lrb_medium_rows_kernelILj256EllfdddEEvbT0_PT1_S3_jNS_24const_host_device_scalarIT5_EEPKS1_PKS2_PKT2_PKT3_S6_PT4_21rocsparse_index_base_b
; %bb.0:
	s_clause 0x2
	s_load_b64 s[6:7], s[0:1], 0x60
	s_load_b64 s[8:9], s[0:1], 0x28
	;; [unrolled: 1-line block ×3, first 2 shown]
	s_mov_b32 s4, s15
	s_waitcnt lgkmcnt(0)
	s_bitcmp1_b32 s7, 0
	v_dual_mov_b32 v3, s8 :: v_dual_mov_b32 v4, s9
	s_cselect_b32 s5, -1, 0
	s_delay_alu instid0(SALU_CYCLE_1)
	s_and_b32 vcc_lo, exec_lo, s5
	s_xor_b32 s5, s5, -1
	s_cbranch_vccnz .LBB186_2
; %bb.1:
	v_dual_mov_b32 v1, s8 :: v_dual_mov_b32 v2, s9
	flat_load_b64 v[3:4], v[1:2]
.LBB186_2:
	v_dual_mov_b32 v1, s2 :: v_dual_mov_b32 v2, s3
	s_and_not1_b32 vcc_lo, exec_lo, s5
	s_cbranch_vccnz .LBB186_4
; %bb.3:
	v_dual_mov_b32 v1, s2 :: v_dual_mov_b32 v2, s3
	flat_load_b64 v[1:2], v[1:2]
.LBB186_4:
	s_waitcnt vmcnt(0) lgkmcnt(0)
	v_cmp_neq_f64_e32 vcc_lo, 0, v[3:4]
	v_cmp_neq_f64_e64 s2, 1.0, v[1:2]
	s_delay_alu instid0(VALU_DEP_1) | instskip(NEXT) | instid1(SALU_CYCLE_1)
	s_or_b32 s2, vcc_lo, s2
	s_and_saveexec_b32 s3, s2
	s_cbranch_execz .LBB186_29
; %bb.5:
	s_clause 0x1
	s_load_b32 s8, s[0:1], 0x20
	s_load_b128 s[12:15], s[0:1], 0x10
	s_mov_b32 s9, 0
	v_mov_b32_e32 v7, 0
	v_mov_b32_e32 v8, 0
	s_waitcnt lgkmcnt(0)
	s_lshl_b64 s[2:3], s[8:9], 3
	s_delay_alu instid0(SALU_CYCLE_1)
	s_add_u32 s2, s14, s2
	s_addc_u32 s3, s15, s3
	s_ashr_i32 s5, s4, 31
	s_load_b64 s[2:3], s[2:3], 0x0
	s_waitcnt lgkmcnt(0)
	s_lshl_b64 s[2:3], s[2:3], 3
	s_delay_alu instid0(SALU_CYCLE_1) | instskip(SKIP_2) | instid1(SALU_CYCLE_1)
	s_add_u32 s7, s12, s2
	s_addc_u32 s8, s13, s3
	s_lshl_b64 s[2:3], s[4:5], 3
	s_add_u32 s2, s7, s2
	s_addc_u32 s3, s8, s3
	s_load_b64 s[2:3], s[2:3], 0x0
	s_load_b64 s[4:5], s[0:1], 0x30
	v_sub_co_u32 v5, s7, v0, s6
	s_delay_alu instid0(VALU_DEP_1) | instskip(SKIP_3) | instid1(SALU_CYCLE_1)
	v_sub_co_ci_u32_e64 v6, null, 0, 0, s7
	s_mov_b32 s7, exec_lo
	s_waitcnt lgkmcnt(0)
	s_lshl_b64 s[2:3], s[2:3], 3
	s_add_u32 s4, s4, s2
	s_addc_u32 s5, s5, s3
	s_load_b128 s[12:15], s[4:5], 0x0
	s_load_b64 s[4:5], s[0:1], 0x58
	s_waitcnt lgkmcnt(0)
	v_add_co_u32 v5, vcc_lo, s12, v5
	v_add_co_ci_u32_e32 v6, vcc_lo, s13, v6, vcc_lo
	s_sub_u32 s10, s14, s6
	s_subb_u32 s11, s15, 0
	s_delay_alu instid0(VALU_DEP_1) | instid1(SALU_CYCLE_1)
	v_cmpx_gt_i64_e64 s[10:11], v[5:6]
	s_cbranch_execz .LBB186_9
; %bb.6:
	s_clause 0x1
	s_load_b128 s[16:19], s[0:1], 0x38
	s_load_b64 s[12:13], s[0:1], 0x48
	v_lshlrev_b64 v[9:10], 2, v[5:6]
	v_lshlrev_b64 v[11:12], 3, v[5:6]
	v_mov_b32_e32 v7, 0
	v_mov_b32_e32 v8, 0
	s_waitcnt lgkmcnt(0)
	s_delay_alu instid0(VALU_DEP_4)
	v_add_co_u32 v9, vcc_lo, s18, v9
	v_add_co_ci_u32_e32 v10, vcc_lo, s19, v10, vcc_lo
	v_add_co_u32 v11, vcc_lo, s16, v11
	v_add_co_ci_u32_e32 v12, vcc_lo, s17, v12, vcc_lo
	s_set_inst_prefetch_distance 0x1
	.p2align	6
.LBB186_7:                              ; =>This Inner Loop Header: Depth=1
	global_load_b64 v[13:14], v[11:12], off
	global_load_b32 v15, v[9:10], off
	v_add_co_u32 v11, s0, 0x800, v11
	s_delay_alu instid0(VALU_DEP_1)
	v_add_co_ci_u32_e64 v12, s0, 0, v12, s0
	s_waitcnt vmcnt(1)
	v_sub_co_u32 v13, vcc_lo, v13, s6
	v_subrev_co_ci_u32_e32 v14, vcc_lo, 0, v14, vcc_lo
	s_waitcnt vmcnt(0)
	v_cvt_f64_f32_e32 v[15:16], v15
	s_delay_alu instid0(VALU_DEP_2) | instskip(NEXT) | instid1(VALU_DEP_1)
	v_lshlrev_b64 v[13:14], 3, v[13:14]
	v_add_co_u32 v13, vcc_lo, s12, v13
	s_delay_alu instid0(VALU_DEP_2)
	v_add_co_ci_u32_e32 v14, vcc_lo, s13, v14, vcc_lo
	v_add_co_u32 v5, vcc_lo, 0x100, v5
	v_add_co_ci_u32_e32 v6, vcc_lo, 0, v6, vcc_lo
	global_load_b64 v[13:14], v[13:14], off
	v_add_co_u32 v9, vcc_lo, 0x400, v9
	v_add_co_ci_u32_e32 v10, vcc_lo, 0, v10, vcc_lo
	v_cmp_le_i64_e32 vcc_lo, s[10:11], v[5:6]
	s_or_b32 s9, vcc_lo, s9
	v_mul_f64 v[15:16], v[3:4], v[15:16]
	s_waitcnt vmcnt(0)
	s_delay_alu instid0(VALU_DEP_1)
	v_fma_f64 v[7:8], v[15:16], v[13:14], v[7:8]
	s_and_not1_b32 exec_lo, exec_lo, s9
	s_cbranch_execnz .LBB186_7
; %bb.8:
	s_set_inst_prefetch_distance 0x2
	s_or_b32 exec_lo, exec_lo, s9
.LBB186_9:
	s_delay_alu instid0(SALU_CYCLE_1)
	s_or_b32 exec_lo, exec_lo, s7
	v_lshlrev_b32_e32 v3, 3, v0
	s_mov_b32 s0, exec_lo
	ds_store_b64 v3, v[7:8]
	s_waitcnt lgkmcnt(0)
	s_barrier
	buffer_gl0_inv
	v_cmpx_gt_u32_e32 0x80, v0
	s_cbranch_execz .LBB186_11
; %bb.10:
	ds_load_2addr_stride64_b64 v[4:7], v3 offset1:2
	s_waitcnt lgkmcnt(0)
	v_add_f64 v[4:5], v[4:5], v[6:7]
	ds_store_b64 v3, v[4:5]
.LBB186_11:
	s_or_b32 exec_lo, exec_lo, s0
	s_delay_alu instid0(SALU_CYCLE_1)
	s_mov_b32 s0, exec_lo
	s_waitcnt lgkmcnt(0)
	s_barrier
	buffer_gl0_inv
	v_cmpx_gt_u32_e32 64, v0
	s_cbranch_execz .LBB186_13
; %bb.12:
	ds_load_2addr_stride64_b64 v[4:7], v3 offset1:1
	s_waitcnt lgkmcnt(0)
	v_add_f64 v[4:5], v[4:5], v[6:7]
	ds_store_b64 v3, v[4:5]
.LBB186_13:
	s_or_b32 exec_lo, exec_lo, s0
	s_delay_alu instid0(SALU_CYCLE_1)
	s_mov_b32 s0, exec_lo
	s_waitcnt lgkmcnt(0)
	s_barrier
	buffer_gl0_inv
	v_cmpx_gt_u32_e32 32, v0
	s_cbranch_execz .LBB186_15
; %bb.14:
	ds_load_2addr_b64 v[4:7], v3 offset1:32
	s_waitcnt lgkmcnt(0)
	v_add_f64 v[4:5], v[4:5], v[6:7]
	ds_store_b64 v3, v[4:5]
.LBB186_15:
	s_or_b32 exec_lo, exec_lo, s0
	s_delay_alu instid0(SALU_CYCLE_1)
	s_mov_b32 s0, exec_lo
	s_waitcnt lgkmcnt(0)
	s_barrier
	buffer_gl0_inv
	v_cmpx_gt_u32_e32 16, v0
	s_cbranch_execz .LBB186_17
; %bb.16:
	ds_load_2addr_b64 v[4:7], v3 offset1:16
	s_waitcnt lgkmcnt(0)
	v_add_f64 v[4:5], v[4:5], v[6:7]
	ds_store_b64 v3, v[4:5]
.LBB186_17:
	;; [unrolled: 14-line block ×5, first 2 shown]
	s_or_b32 exec_lo, exec_lo, s0
	v_cmp_eq_u32_e32 vcc_lo, 0, v0
	s_waitcnt lgkmcnt(0)
	s_barrier
	buffer_gl0_inv
	s_and_saveexec_b32 s0, vcc_lo
	s_cbranch_execz .LBB186_25
; %bb.24:
	v_mov_b32_e32 v0, 0
	ds_load_b128 v[3:6], v0
	s_waitcnt lgkmcnt(0)
	v_add_f64 v[3:4], v[3:4], v[5:6]
	ds_store_b64 v0, v[3:4]
.LBB186_25:
	s_or_b32 exec_lo, exec_lo, s0
	s_waitcnt lgkmcnt(0)
	s_barrier
	buffer_gl0_inv
	s_and_b32 exec_lo, exec_lo, vcc_lo
	s_cbranch_execz .LBB186_29
; %bb.26:
	v_mov_b32_e32 v0, 0
	s_mov_b32 s0, exec_lo
	ds_load_b64 v[3:4], v0
	v_cmpx_neq_f64_e32 0, v[1:2]
	s_cbranch_execz .LBB186_28
; %bb.27:
	s_add_u32 s6, s4, s2
	s_addc_u32 s7, s5, s3
	s_load_b64 s[6:7], s[6:7], 0x0
	s_waitcnt lgkmcnt(0)
	v_fma_f64 v[3:4], v[1:2], s[6:7], v[3:4]
.LBB186_28:
	s_or_b32 exec_lo, exec_lo, s0
	s_add_u32 s0, s4, s2
	s_addc_u32 s1, s5, s3
	s_waitcnt lgkmcnt(0)
	global_store_b64 v0, v[3:4], s[0:1]
.LBB186_29:
	s_nop 0
	s_sendmsg sendmsg(MSG_DEALLOC_VGPRS)
	s_endpgm
	.section	.rodata,"a",@progbits
	.p2align	6, 0x0
	.amdhsa_kernel _ZN9rocsparseL29csrmvn_lrb_medium_rows_kernelILj256EllfdddEEvbT0_PT1_S3_jNS_24const_host_device_scalarIT5_EEPKS1_PKS2_PKT2_PKT3_S6_PT4_21rocsparse_index_base_b
		.amdhsa_group_segment_fixed_size 2048
		.amdhsa_private_segment_fixed_size 0
		.amdhsa_kernarg_size 104
		.amdhsa_user_sgpr_count 15
		.amdhsa_user_sgpr_dispatch_ptr 0
		.amdhsa_user_sgpr_queue_ptr 0
		.amdhsa_user_sgpr_kernarg_segment_ptr 1
		.amdhsa_user_sgpr_dispatch_id 0
		.amdhsa_user_sgpr_private_segment_size 0
		.amdhsa_wavefront_size32 1
		.amdhsa_uses_dynamic_stack 0
		.amdhsa_enable_private_segment 0
		.amdhsa_system_sgpr_workgroup_id_x 1
		.amdhsa_system_sgpr_workgroup_id_y 0
		.amdhsa_system_sgpr_workgroup_id_z 0
		.amdhsa_system_sgpr_workgroup_info 0
		.amdhsa_system_vgpr_workitem_id 0
		.amdhsa_next_free_vgpr 17
		.amdhsa_next_free_sgpr 20
		.amdhsa_reserve_vcc 1
		.amdhsa_float_round_mode_32 0
		.amdhsa_float_round_mode_16_64 0
		.amdhsa_float_denorm_mode_32 3
		.amdhsa_float_denorm_mode_16_64 3
		.amdhsa_dx10_clamp 1
		.amdhsa_ieee_mode 1
		.amdhsa_fp16_overflow 0
		.amdhsa_workgroup_processor_mode 1
		.amdhsa_memory_ordered 1
		.amdhsa_forward_progress 0
		.amdhsa_shared_vgpr_count 0
		.amdhsa_exception_fp_ieee_invalid_op 0
		.amdhsa_exception_fp_denorm_src 0
		.amdhsa_exception_fp_ieee_div_zero 0
		.amdhsa_exception_fp_ieee_overflow 0
		.amdhsa_exception_fp_ieee_underflow 0
		.amdhsa_exception_fp_ieee_inexact 0
		.amdhsa_exception_int_div_zero 0
	.end_amdhsa_kernel
	.section	.text._ZN9rocsparseL29csrmvn_lrb_medium_rows_kernelILj256EllfdddEEvbT0_PT1_S3_jNS_24const_host_device_scalarIT5_EEPKS1_PKS2_PKT2_PKT3_S6_PT4_21rocsparse_index_base_b,"axG",@progbits,_ZN9rocsparseL29csrmvn_lrb_medium_rows_kernelILj256EllfdddEEvbT0_PT1_S3_jNS_24const_host_device_scalarIT5_EEPKS1_PKS2_PKT2_PKT3_S6_PT4_21rocsparse_index_base_b,comdat
.Lfunc_end186:
	.size	_ZN9rocsparseL29csrmvn_lrb_medium_rows_kernelILj256EllfdddEEvbT0_PT1_S3_jNS_24const_host_device_scalarIT5_EEPKS1_PKS2_PKT2_PKT3_S6_PT4_21rocsparse_index_base_b, .Lfunc_end186-_ZN9rocsparseL29csrmvn_lrb_medium_rows_kernelILj256EllfdddEEvbT0_PT1_S3_jNS_24const_host_device_scalarIT5_EEPKS1_PKS2_PKT2_PKT3_S6_PT4_21rocsparse_index_base_b
                                        ; -- End function
	.section	.AMDGPU.csdata,"",@progbits
; Kernel info:
; codeLenInByte = 1260
; NumSgprs: 22
; NumVgprs: 17
; ScratchSize: 0
; MemoryBound: 0
; FloatMode: 240
; IeeeMode: 1
; LDSByteSize: 2048 bytes/workgroup (compile time only)
; SGPRBlocks: 2
; VGPRBlocks: 2
; NumSGPRsForWavesPerEU: 22
; NumVGPRsForWavesPerEU: 17
; Occupancy: 16
; WaveLimiterHint : 1
; COMPUTE_PGM_RSRC2:SCRATCH_EN: 0
; COMPUTE_PGM_RSRC2:USER_SGPR: 15
; COMPUTE_PGM_RSRC2:TRAP_HANDLER: 0
; COMPUTE_PGM_RSRC2:TGID_X_EN: 1
; COMPUTE_PGM_RSRC2:TGID_Y_EN: 0
; COMPUTE_PGM_RSRC2:TGID_Z_EN: 0
; COMPUTE_PGM_RSRC2:TIDIG_COMP_CNT: 0
	.section	.text._ZN9rocsparseL27csrmvn_lrb_long_rows_kernelIllfdddEEvbT_PjPT0_S4_jNS_24const_host_device_scalarIT4_EEPKS1_PKS3_PKT1_PKT2_S7_PT3_21rocsparse_index_base_b,"axG",@progbits,_ZN9rocsparseL27csrmvn_lrb_long_rows_kernelIllfdddEEvbT_PjPT0_S4_jNS_24const_host_device_scalarIT4_EEPKS1_PKS3_PKT1_PKT2_S7_PT3_21rocsparse_index_base_b,comdat
	.globl	_ZN9rocsparseL27csrmvn_lrb_long_rows_kernelIllfdddEEvbT_PjPT0_S4_jNS_24const_host_device_scalarIT4_EEPKS1_PKS3_PKT1_PKT2_S7_PT3_21rocsparse_index_base_b ; -- Begin function _ZN9rocsparseL27csrmvn_lrb_long_rows_kernelIllfdddEEvbT_PjPT0_S4_jNS_24const_host_device_scalarIT4_EEPKS1_PKS3_PKT1_PKT2_S7_PT3_21rocsparse_index_base_b
	.p2align	8
	.type	_ZN9rocsparseL27csrmvn_lrb_long_rows_kernelIllfdddEEvbT_PjPT0_S4_jNS_24const_host_device_scalarIT4_EEPKS1_PKS3_PKT1_PKT2_S7_PT3_21rocsparse_index_base_b,@function
_ZN9rocsparseL27csrmvn_lrb_long_rows_kernelIllfdddEEvbT_PjPT0_S4_jNS_24const_host_device_scalarIT4_EEPKS1_PKS3_PKT1_PKT2_S7_PT3_21rocsparse_index_base_b: ; @_ZN9rocsparseL27csrmvn_lrb_long_rows_kernelIllfdddEEvbT_PjPT0_S4_jNS_24const_host_device_scalarIT4_EEPKS1_PKS3_PKT1_PKT2_S7_PT3_21rocsparse_index_base_b
; %bb.0:
	s_clause 0x2
	s_load_b64 s[16:17], s[0:1], 0x68
	s_load_b64 s[4:5], s[0:1], 0x30
	;; [unrolled: 1-line block ×3, first 2 shown]
	s_mov_b32 s8, s15
	s_waitcnt lgkmcnt(0)
	s_bitcmp1_b32 s17, 0
	v_dual_mov_b32 v1, s4 :: v_dual_mov_b32 v2, s5
	s_cselect_b32 s6, -1, 0
	s_delay_alu instid0(SALU_CYCLE_1)
	s_and_b32 vcc_lo, exec_lo, s6
	s_xor_b32 s6, s6, -1
	s_cbranch_vccnz .LBB187_2
; %bb.1:
	v_dual_mov_b32 v1, s4 :: v_dual_mov_b32 v2, s5
	flat_load_b64 v[1:2], v[1:2]
.LBB187_2:
	v_dual_mov_b32 v6, s3 :: v_dual_mov_b32 v5, s2
	s_and_not1_b32 vcc_lo, exec_lo, s6
	s_cbranch_vccnz .LBB187_4
; %bb.3:
	v_dual_mov_b32 v4, s3 :: v_dual_mov_b32 v3, s2
	flat_load_b64 v[5:6], v[3:4]
.LBB187_4:
	s_waitcnt vmcnt(0) lgkmcnt(0)
	v_cmp_neq_f64_e32 vcc_lo, 0, v[1:2]
	v_cmp_neq_f64_e64 s2, 1.0, v[5:6]
	s_delay_alu instid0(VALU_DEP_1) | instskip(NEXT) | instid1(SALU_CYCLE_1)
	s_or_b32 s2, vcc_lo, s2
	s_and_saveexec_b32 s3, s2
	s_cbranch_execz .LBB187_39
; %bb.5:
	s_clause 0x1
	s_load_b32 s2, s[0:1], 0x28
	s_load_b64 s[4:5], s[0:1], 0x20
	s_mov_b32 s3, 0
	s_mov_b32 s21, exec_lo
	s_waitcnt lgkmcnt(0)
	s_lshl_b64 s[6:7], s[2:3], 3
	s_delay_alu instid0(SALU_CYCLE_1) | instskip(SKIP_4) | instid1(SALU_CYCLE_1)
	s_add_u32 s4, s4, s6
	s_addc_u32 s5, s5, s7
	s_lshl_b32 s2, -1, s2
	s_load_b64 s[10:11], s[4:5], 0x0
	s_not_b32 s2, s2
	s_mul_hi_u32 s2, s2, 0x2aaaaaab
	s_delay_alu instid0(SALU_CYCLE_1) | instskip(NEXT) | instid1(SALU_CYCLE_1)
	s_lshr_b32 s2, s2, 7
	s_add_i32 s9, s2, 1
	s_not_b32 s2, s2
	v_cvt_f32_u32_e32 v3, s9
	s_delay_alu instid0(VALU_DEP_1) | instskip(SKIP_2) | instid1(VALU_DEP_1)
	v_rcp_iflag_f32_e32 v3, v3
	s_waitcnt_depctr 0xfff
	v_mul_f32_e32 v3, 0x4f7ffffe, v3
	v_cvt_u32_f32_e32 v3, v3
	s_delay_alu instid0(VALU_DEP_1) | instskip(SKIP_2) | instid1(VALU_DEP_3)
	v_readfirstlane_b32 s6, v3
	v_mov_b32_e32 v3, 0
	v_mov_b32_e32 v4, 0
	s_mul_i32 s2, s2, s6
	s_delay_alu instid0(SALU_CYCLE_1) | instskip(NEXT) | instid1(SALU_CYCLE_1)
	s_mul_hi_u32 s2, s6, s2
	s_add_i32 s2, s6, s2
	s_load_b128 s[4:7], s[0:1], 0x10
	s_mul_hi_u32 s2, s8, s2
	s_delay_alu instid0(SALU_CYCLE_1) | instskip(SKIP_2) | instid1(SALU_CYCLE_1)
	s_mul_i32 s12, s2, s9
	s_add_i32 s13, s2, 1
	s_sub_i32 s12, s8, s12
	s_sub_i32 s14, s12, s9
	s_cmp_ge_u32 s12, s9
	s_cselect_b32 s2, s13, s2
	s_cselect_b32 s12, s14, s12
	s_add_i32 s13, s2, 1
	s_cmp_ge_u32 s12, s9
	s_cselect_b32 s2, s13, s2
	s_waitcnt lgkmcnt(0)
	s_lshl_b64 s[10:11], s[10:11], 3
	s_mul_i32 s9, s2, s9
	s_delay_alu instid0(SALU_CYCLE_1)
	s_sub_i32 s20, s8, s9
	s_add_u32 s6, s6, s10
	s_addc_u32 s7, s7, s11
	s_lshl_b64 s[2:3], s[2:3], 3
	v_or_b32_e32 v7, s20, v0
	s_add_u32 s2, s6, s2
	s_addc_u32 s3, s7, s3
	s_load_b64 s[2:3], s[2:3], 0x0
	s_load_b64 s[6:7], s[0:1], 0x38
	s_waitcnt lgkmcnt(0)
	s_lshl_b64 s[2:3], s[2:3], 3
	s_delay_alu instid0(SALU_CYCLE_1)
	s_add_u32 s10, s6, s2
	s_addc_u32 s11, s7, s3
	s_ashr_i32 s9, s8, 31
	s_sub_u32 s14, s8, s20
	s_subb_u32 s15, s9, 0
	s_lshl_b64 s[8:9], s[8:9], 2
	s_load_b64 s[6:7], s[0:1], 0x60
	s_add_u32 s12, s4, s8
	s_addc_u32 s13, s5, s9
	s_load_b128 s[8:11], s[10:11], 0x0
	s_load_b32 s17, s[12:13], 0x0
	v_cmpx_eq_u32_e32 0, v7
	s_cbranch_execz .LBB187_9
; %bb.6:
	v_add_f64 v[3:4], v[5:6], -1.0
	s_waitcnt lgkmcnt(0)
	s_add_u32 s18, s6, s2
	s_addc_u32 s19, s7, s3
	s_mov_b32 s22, exec_lo
	s_load_b64 s[18:19], s[18:19], 0x0
	v_mbcnt_lo_u32_b32 v5, s22, 0
	s_mov_b32 s23, exec_lo
	s_waitcnt vmcnt(0) expcnt(0) lgkmcnt(0)
	s_delay_alu instid0(VALU_DEP_1)
	v_cmpx_eq_u32_e32 0, v5
	s_cbranch_execz .LBB187_8
; %bb.7:
	s_lshl_b64 s[24:25], s[14:15], 2
	s_delay_alu instid0(SALU_CYCLE_1) | instskip(SKIP_2) | instid1(SALU_CYCLE_1)
	s_add_u32 s24, s4, s24
	s_addc_u32 s25, s5, s25
	s_bcnt1_i32_b32 s22, s22
	s_and_b32 s22, s22, 1
	s_delay_alu instid0(SALU_CYCLE_1)
	v_dual_mov_b32 v5, 0 :: v_dual_mov_b32 v6, s22
	global_atomic_xor_b32 v5, v6, s[24:25]
.LBB187_8:
	s_or_b32 exec_lo, exec_lo, s23
	s_delay_alu instid0(VALU_DEP_3)
	v_mul_f64 v[3:4], v[3:4], s[18:19]
.LBB187_9:
	s_or_b32 exec_lo, exec_lo, s21
	s_mul_i32 s19, s20, 0x300
	s_waitcnt lgkmcnt(0)
	s_sub_u32 s8, s8, s16
	s_mul_hi_u32 s18, s20, 0x300
	s_subb_u32 s9, s9, 0
	s_add_u32 s19, s8, s19
	s_addc_u32 s18, s9, s18
	s_sub_u32 s8, s10, s16
	s_subb_u32 s9, s11, 0
	s_add_u32 s10, s19, 0x300
	s_addc_u32 s11, s18, 0
	v_add_co_u32 v5, s19, s19, v0
	v_cmp_lt_i64_e64 s21, s[10:11], s[8:9]
	v_add_co_ci_u32_e64 v6, null, s18, 0, s19
	s_delay_alu instid0(VALU_DEP_2)
	s_and_b32 s18, s21, exec_lo
	s_cselect_b32 s9, s11, s9
	s_cselect_b32 s8, s10, s8
	s_mov_b32 s18, exec_lo
	v_cmpx_gt_i64_e64 s[8:9], v[5:6]
	s_cbranch_execz .LBB187_13
; %bb.10:
	s_clause 0x1
	s_load_b128 s[24:27], s[0:1], 0x40
	s_load_b64 s[10:11], s[0:1], 0x50
	v_lshlrev_b64 v[7:8], 2, v[5:6]
	v_lshlrev_b64 v[9:10], 3, v[5:6]
	s_mov_b32 s1, 0
	s_waitcnt lgkmcnt(0)
	s_delay_alu instid0(VALU_DEP_2) | instskip(NEXT) | instid1(VALU_DEP_3)
	v_add_co_u32 v7, vcc_lo, s26, v7
	v_add_co_ci_u32_e32 v8, vcc_lo, s27, v8, vcc_lo
	s_delay_alu instid0(VALU_DEP_3)
	v_add_co_u32 v9, vcc_lo, s24, v9
	v_add_co_ci_u32_e32 v10, vcc_lo, s25, v10, vcc_lo
	s_set_inst_prefetch_distance 0x1
	.p2align	6
.LBB187_11:                             ; =>This Inner Loop Header: Depth=1
	global_load_b64 v[11:12], v[9:10], off
	global_load_b32 v13, v[7:8], off
	v_add_co_u32 v9, s0, 0x800, v9
	s_delay_alu instid0(VALU_DEP_1)
	v_add_co_ci_u32_e64 v10, s0, 0, v10, s0
	s_waitcnt vmcnt(1)
	v_sub_co_u32 v11, vcc_lo, v11, s16
	v_subrev_co_ci_u32_e32 v12, vcc_lo, 0, v12, vcc_lo
	s_waitcnt vmcnt(0)
	v_cvt_f64_f32_e32 v[13:14], v13
	s_delay_alu instid0(VALU_DEP_2) | instskip(NEXT) | instid1(VALU_DEP_1)
	v_lshlrev_b64 v[11:12], 3, v[11:12]
	v_add_co_u32 v11, vcc_lo, s10, v11
	s_delay_alu instid0(VALU_DEP_2)
	v_add_co_ci_u32_e32 v12, vcc_lo, s11, v12, vcc_lo
	v_add_co_u32 v5, vcc_lo, 0x100, v5
	v_add_co_ci_u32_e32 v6, vcc_lo, 0, v6, vcc_lo
	global_load_b64 v[11:12], v[11:12], off
	v_add_co_u32 v7, vcc_lo, 0x400, v7
	v_add_co_ci_u32_e32 v8, vcc_lo, 0, v8, vcc_lo
	v_cmp_le_i64_e32 vcc_lo, s[8:9], v[5:6]
	s_or_b32 s1, vcc_lo, s1
	v_mul_f64 v[13:14], v[1:2], v[13:14]
	s_waitcnt vmcnt(0)
	s_delay_alu instid0(VALU_DEP_1)
	v_fma_f64 v[3:4], v[13:14], v[11:12], v[3:4]
	s_and_not1_b32 exec_lo, exec_lo, s1
	s_cbranch_execnz .LBB187_11
; %bb.12:
	s_set_inst_prefetch_distance 0x2
	s_or_b32 exec_lo, exec_lo, s1
.LBB187_13:
	s_delay_alu instid0(SALU_CYCLE_1)
	s_or_b32 exec_lo, exec_lo, s18
	v_lshlrev_b32_e32 v1, 3, v0
	s_mov_b32 s0, exec_lo
	ds_store_b64 v1, v[3:4]
	s_waitcnt lgkmcnt(0)
	s_waitcnt_vscnt null, 0x0
	s_barrier
	buffer_gl0_inv
	v_cmpx_gt_u32_e32 0x80, v0
	s_cbranch_execz .LBB187_15
; %bb.14:
	ds_load_2addr_stride64_b64 v[2:5], v1 offset1:2
	s_waitcnt lgkmcnt(0)
	v_add_f64 v[2:3], v[2:3], v[4:5]
	ds_store_b64 v1, v[2:3]
.LBB187_15:
	s_or_b32 exec_lo, exec_lo, s0
	s_delay_alu instid0(SALU_CYCLE_1)
	s_mov_b32 s0, exec_lo
	s_waitcnt lgkmcnt(0)
	s_barrier
	buffer_gl0_inv
	v_cmpx_gt_u32_e32 64, v0
	s_cbranch_execz .LBB187_17
; %bb.16:
	ds_load_2addr_stride64_b64 v[2:5], v1 offset1:1
	s_waitcnt lgkmcnt(0)
	v_add_f64 v[2:3], v[2:3], v[4:5]
	ds_store_b64 v1, v[2:3]
.LBB187_17:
	s_or_b32 exec_lo, exec_lo, s0
	s_delay_alu instid0(SALU_CYCLE_1)
	s_mov_b32 s0, exec_lo
	s_waitcnt lgkmcnt(0)
	s_barrier
	buffer_gl0_inv
	v_cmpx_gt_u32_e32 32, v0
	s_cbranch_execz .LBB187_19
; %bb.18:
	ds_load_2addr_b64 v[2:5], v1 offset1:32
	s_waitcnt lgkmcnt(0)
	v_add_f64 v[2:3], v[2:3], v[4:5]
	ds_store_b64 v1, v[2:3]
.LBB187_19:
	s_or_b32 exec_lo, exec_lo, s0
	s_delay_alu instid0(SALU_CYCLE_1)
	s_mov_b32 s0, exec_lo
	s_waitcnt lgkmcnt(0)
	s_barrier
	buffer_gl0_inv
	v_cmpx_gt_u32_e32 16, v0
	s_cbranch_execz .LBB187_21
; %bb.20:
	ds_load_2addr_b64 v[2:5], v1 offset1:16
	s_waitcnt lgkmcnt(0)
	v_add_f64 v[2:3], v[2:3], v[4:5]
	ds_store_b64 v1, v[2:3]
.LBB187_21:
	;; [unrolled: 14-line block ×5, first 2 shown]
	s_or_b32 exec_lo, exec_lo, s0
	v_cmp_eq_u32_e32 vcc_lo, 0, v0
	s_waitcnt lgkmcnt(0)
	s_barrier
	buffer_gl0_inv
	s_and_saveexec_b32 s0, vcc_lo
	s_cbranch_execz .LBB187_29
; %bb.28:
	v_mov_b32_e32 v4, 0
	ds_load_b128 v[0:3], v4
	s_waitcnt lgkmcnt(0)
	v_add_f64 v[0:1], v[0:1], v[2:3]
	ds_store_b64 v4, v[0:1]
.LBB187_29:
	s_or_b32 exec_lo, exec_lo, s0
	s_waitcnt lgkmcnt(0)
	s_barrier
	buffer_gl0_inv
	s_and_b32 exec_lo, exec_lo, vcc_lo
	s_cbranch_execz .LBB187_39
; %bb.30:
	s_cmp_eq_u32 s20, 0
	s_cbranch_scc1 .LBB187_36
; %bb.31:
	s_lshl_b64 s[0:1], s[14:15], 2
	v_mov_b32_e32 v0, 0
	s_add_u32 s0, s4, s0
	s_addc_u32 s1, s5, s1
	s_branch .LBB187_33
.LBB187_32:                             ;   in Loop: Header=BB187_33 Depth=1
	s_or_b32 exec_lo, exec_lo, s4
	s_waitcnt vmcnt(0)
	v_readfirstlane_b32 s4, v1
	s_delay_alu instid0(VALU_DEP_1)
	s_cmp_eq_u32 s4, s17
	s_cbranch_scc0 .LBB187_35
.LBB187_33:                             ; =>This Inner Loop Header: Depth=1
	v_mbcnt_lo_u32_b32 v1, exec_lo, 0
	s_delay_alu instid0(VALU_DEP_1)
	v_cmp_eq_u32_e32 vcc_lo, 0, v1
                                        ; implicit-def: $vgpr1
	s_and_saveexec_b32 s4, vcc_lo
	s_cbranch_execz .LBB187_32
; %bb.34:                               ;   in Loop: Header=BB187_33 Depth=1
	global_load_b32 v1, v0, s[0:1] glc
	s_branch .LBB187_32
.LBB187_35:
	v_mov_b32_e32 v0, 0
	global_load_b32 v1, v0, s[12:13]
	s_waitcnt vmcnt(0)
	v_xor_b32_e32 v1, 1, v1
	global_store_b32 v0, v1, s[12:13]
.LBB187_36:
	s_mov_b32 s4, exec_lo
	s_delay_alu instid0(SALU_CYCLE_1) | instskip(NEXT) | instid1(VALU_DEP_1)
	v_mbcnt_lo_u32_b32 v0, s4, 0
	v_cmp_eq_u32_e32 vcc_lo, 0, v0
	s_and_b32 s0, exec_lo, vcc_lo
	s_delay_alu instid0(SALU_CYCLE_1)
	s_mov_b32 exec_lo, s0
	s_cbranch_execz .LBB187_39
; %bb.37:
	v_mov_b32_e32 v6, 0
	s_add_u32 s0, s6, s2
	s_addc_u32 s1, s7, s3
	s_bcnt1_i32_b32 s2, s4
	s_delay_alu instid0(SALU_CYCLE_1)
	v_cvt_f64_u32_e32 v[0:1], s2
	global_load_b64 v[2:3], v6, s[0:1]
	ds_load_b64 v[4:5], v6
	s_mov_b32 s2, 0
	s_waitcnt lgkmcnt(0)
	v_mul_f64 v[4:5], v[4:5], v[0:1]
.LBB187_38:                             ; =>This Inner Loop Header: Depth=1
	s_waitcnt vmcnt(0)
	s_delay_alu instid0(VALU_DEP_1)
	v_add_f64 v[0:1], v[2:3], v[4:5]
	global_atomic_cmpswap_b64 v[0:1], v6, v[0:3], s[0:1] glc
	s_waitcnt vmcnt(0)
	v_cmp_eq_u64_e32 vcc_lo, v[0:1], v[2:3]
	v_dual_mov_b32 v3, v1 :: v_dual_mov_b32 v2, v0
	s_or_b32 s2, vcc_lo, s2
	s_delay_alu instid0(SALU_CYCLE_1)
	s_and_not1_b32 exec_lo, exec_lo, s2
	s_cbranch_execnz .LBB187_38
.LBB187_39:
	s_nop 0
	s_sendmsg sendmsg(MSG_DEALLOC_VGPRS)
	s_endpgm
	.section	.rodata,"a",@progbits
	.p2align	6, 0x0
	.amdhsa_kernel _ZN9rocsparseL27csrmvn_lrb_long_rows_kernelIllfdddEEvbT_PjPT0_S4_jNS_24const_host_device_scalarIT4_EEPKS1_PKS3_PKT1_PKT2_S7_PT3_21rocsparse_index_base_b
		.amdhsa_group_segment_fixed_size 2048
		.amdhsa_private_segment_fixed_size 0
		.amdhsa_kernarg_size 112
		.amdhsa_user_sgpr_count 15
		.amdhsa_user_sgpr_dispatch_ptr 0
		.amdhsa_user_sgpr_queue_ptr 0
		.amdhsa_user_sgpr_kernarg_segment_ptr 1
		.amdhsa_user_sgpr_dispatch_id 0
		.amdhsa_user_sgpr_private_segment_size 0
		.amdhsa_wavefront_size32 1
		.amdhsa_uses_dynamic_stack 0
		.amdhsa_enable_private_segment 0
		.amdhsa_system_sgpr_workgroup_id_x 1
		.amdhsa_system_sgpr_workgroup_id_y 0
		.amdhsa_system_sgpr_workgroup_id_z 0
		.amdhsa_system_sgpr_workgroup_info 0
		.amdhsa_system_vgpr_workitem_id 0
		.amdhsa_next_free_vgpr 15
		.amdhsa_next_free_sgpr 28
		.amdhsa_reserve_vcc 1
		.amdhsa_float_round_mode_32 0
		.amdhsa_float_round_mode_16_64 0
		.amdhsa_float_denorm_mode_32 3
		.amdhsa_float_denorm_mode_16_64 3
		.amdhsa_dx10_clamp 1
		.amdhsa_ieee_mode 1
		.amdhsa_fp16_overflow 0
		.amdhsa_workgroup_processor_mode 1
		.amdhsa_memory_ordered 1
		.amdhsa_forward_progress 0
		.amdhsa_shared_vgpr_count 0
		.amdhsa_exception_fp_ieee_invalid_op 0
		.amdhsa_exception_fp_denorm_src 0
		.amdhsa_exception_fp_ieee_div_zero 0
		.amdhsa_exception_fp_ieee_overflow 0
		.amdhsa_exception_fp_ieee_underflow 0
		.amdhsa_exception_fp_ieee_inexact 0
		.amdhsa_exception_int_div_zero 0
	.end_amdhsa_kernel
	.section	.text._ZN9rocsparseL27csrmvn_lrb_long_rows_kernelIllfdddEEvbT_PjPT0_S4_jNS_24const_host_device_scalarIT4_EEPKS1_PKS3_PKT1_PKT2_S7_PT3_21rocsparse_index_base_b,"axG",@progbits,_ZN9rocsparseL27csrmvn_lrb_long_rows_kernelIllfdddEEvbT_PjPT0_S4_jNS_24const_host_device_scalarIT4_EEPKS1_PKS3_PKT1_PKT2_S7_PT3_21rocsparse_index_base_b,comdat
.Lfunc_end187:
	.size	_ZN9rocsparseL27csrmvn_lrb_long_rows_kernelIllfdddEEvbT_PjPT0_S4_jNS_24const_host_device_scalarIT4_EEPKS1_PKS3_PKT1_PKT2_S7_PT3_21rocsparse_index_base_b, .Lfunc_end187-_ZN9rocsparseL27csrmvn_lrb_long_rows_kernelIllfdddEEvbT_PjPT0_S4_jNS_24const_host_device_scalarIT4_EEPKS1_PKS3_PKT1_PKT2_S7_PT3_21rocsparse_index_base_b
                                        ; -- End function
	.section	.AMDGPU.csdata,"",@progbits
; Kernel info:
; codeLenInByte = 1820
; NumSgprs: 30
; NumVgprs: 15
; ScratchSize: 0
; MemoryBound: 0
; FloatMode: 240
; IeeeMode: 1
; LDSByteSize: 2048 bytes/workgroup (compile time only)
; SGPRBlocks: 3
; VGPRBlocks: 1
; NumSGPRsForWavesPerEU: 30
; NumVGPRsForWavesPerEU: 15
; Occupancy: 16
; WaveLimiterHint : 1
; COMPUTE_PGM_RSRC2:SCRATCH_EN: 0
; COMPUTE_PGM_RSRC2:USER_SGPR: 15
; COMPUTE_PGM_RSRC2:TRAP_HANDLER: 0
; COMPUTE_PGM_RSRC2:TGID_X_EN: 1
; COMPUTE_PGM_RSRC2:TGID_Y_EN: 0
; COMPUTE_PGM_RSRC2:TGID_Z_EN: 0
; COMPUTE_PGM_RSRC2:TIDIG_COMP_CNT: 0
	.section	.text._ZN9rocsparseL28csrmvn_lrb_short_rows_kernelIiid21rocsparse_complex_numIdES2_S2_EEvbT_PT0_S5_jNS_24const_host_device_scalarIT4_EEPKS3_PKS4_PKT1_PKT2_S8_PT3_21rocsparse_index_base_b,"axG",@progbits,_ZN9rocsparseL28csrmvn_lrb_short_rows_kernelIiid21rocsparse_complex_numIdES2_S2_EEvbT_PT0_S5_jNS_24const_host_device_scalarIT4_EEPKS3_PKS4_PKT1_PKT2_S8_PT3_21rocsparse_index_base_b,comdat
	.globl	_ZN9rocsparseL28csrmvn_lrb_short_rows_kernelIiid21rocsparse_complex_numIdES2_S2_EEvbT_PT0_S5_jNS_24const_host_device_scalarIT4_EEPKS3_PKS4_PKT1_PKT2_S8_PT3_21rocsparse_index_base_b ; -- Begin function _ZN9rocsparseL28csrmvn_lrb_short_rows_kernelIiid21rocsparse_complex_numIdES2_S2_EEvbT_PT0_S5_jNS_24const_host_device_scalarIT4_EEPKS3_PKS4_PKT1_PKT2_S8_PT3_21rocsparse_index_base_b
	.p2align	8
	.type	_ZN9rocsparseL28csrmvn_lrb_short_rows_kernelIiid21rocsparse_complex_numIdES2_S2_EEvbT_PT0_S5_jNS_24const_host_device_scalarIT4_EEPKS3_PKS4_PKT1_PKT2_S8_PT3_21rocsparse_index_base_b,@function
_ZN9rocsparseL28csrmvn_lrb_short_rows_kernelIiid21rocsparse_complex_numIdES2_S2_EEvbT_PT0_S5_jNS_24const_host_device_scalarIT4_EEPKS3_PKS4_PKT1_PKT2_S8_PT3_21rocsparse_index_base_b: ; @_ZN9rocsparseL28csrmvn_lrb_short_rows_kernelIiid21rocsparse_complex_numIdES2_S2_EEvbT_PT0_S5_jNS_24const_host_device_scalarIT4_EEPKS3_PKS4_PKT1_PKT2_S8_PT3_21rocsparse_index_base_b
; %bb.0:
	s_clause 0x2
	s_load_b64 s[12:13], s[0:1], 0x68
	s_load_b128 s[8:11], s[0:1], 0x20
	s_load_b128 s[4:7], s[0:1], 0x50
	s_mov_b64 s[2:3], src_private_base
	v_mov_b32_e32 v1, 0
	s_waitcnt lgkmcnt(0)
	s_bitcmp1_b32 s13, 0
	v_dual_mov_b32 v3, s8 :: v_dual_mov_b32 v6, s5
	s_cselect_b32 s2, -1, 0
	v_mov_b32_e32 v4, s9
	s_and_b32 vcc_lo, s2, exec_lo
	s_cselect_b32 s13, s3, s9
	v_cndmask_b32_e64 v1, s8, v1, s2
	v_dual_mov_b32 v5, s4 :: v_dual_mov_b32 v2, s13
	s_clause 0x1
	scratch_store_b64 off, v[3:4], off
	scratch_store_b64 off, v[5:6], off offset:8
	v_dual_mov_b32 v8, s10 :: v_dual_mov_b32 v9, s11
	flat_load_b64 v[1:2], v[1:2]
	s_xor_b32 s10, s2, -1
	s_cbranch_vccnz .LBB188_2
; %bb.1:
	v_dual_mov_b32 v3, s8 :: v_dual_mov_b32 v4, s9
	flat_load_b64 v[8:9], v[3:4] offset:8
.LBB188_2:
	s_and_b32 s8, s2, exec_lo
	s_cselect_b32 s3, s3, s5
	s_delay_alu instid0(SALU_CYCLE_1) | instskip(SKIP_2) | instid1(VALU_DEP_2)
	v_dual_mov_b32 v3, 8 :: v_dual_mov_b32 v4, s3
	v_dual_mov_b32 v6, s6 :: v_dual_mov_b32 v7, s7
	s_and_not1_b32 vcc_lo, exec_lo, s10
	v_cndmask_b32_e64 v3, s4, v3, s2
	flat_load_b64 v[4:5], v[3:4]
	s_cbranch_vccnz .LBB188_4
; %bb.3:
	v_dual_mov_b32 v7, s5 :: v_dual_mov_b32 v6, s4
	flat_load_b64 v[6:7], v[6:7] offset:8
.LBB188_4:
	s_waitcnt vmcnt(1) lgkmcnt(1)
	v_cmp_eq_f64_e32 vcc_lo, 0, v[1:2]
	v_cmp_eq_f64_e64 s2, 0, v[8:9]
	s_delay_alu instid0(VALU_DEP_1)
	s_and_b32 s4, vcc_lo, s2
	s_mov_b32 s2, -1
	s_and_saveexec_b32 s3, s4
	s_cbranch_execz .LBB188_6
; %bb.5:
	s_waitcnt vmcnt(0) lgkmcnt(0)
	v_cmp_neq_f64_e32 vcc_lo, 1.0, v[4:5]
	v_cmp_neq_f64_e64 s2, 0, v[6:7]
	s_delay_alu instid0(VALU_DEP_1) | instskip(NEXT) | instid1(SALU_CYCLE_1)
	s_or_b32 s2, vcc_lo, s2
	s_or_not1_b32 s2, s2, exec_lo
.LBB188_6:
	s_or_b32 exec_lo, exec_lo, s3
	s_and_saveexec_b32 s3, s2
	s_cbranch_execz .LBB188_20
; %bb.7:
	s_clause 0x1
	s_load_b32 s2, s[0:1], 0x18
	s_load_b128 s[16:19], s[0:1], 0x8
	s_mov_b32 s3, 0
	s_delay_alu instid0(SALU_CYCLE_1) | instskip(SKIP_2) | instid1(SALU_CYCLE_1)
	s_mov_b32 s7, s3
	s_waitcnt lgkmcnt(0)
	s_lshl_b64 s[4:5], s[2:3], 2
	s_add_u32 s4, s18, s4
	s_addc_u32 s5, s19, s5
	s_add_i32 s6, s2, 1
	s_delay_alu instid0(SALU_CYCLE_1) | instskip(NEXT) | instid1(SALU_CYCLE_1)
	s_lshl_b64 s[6:7], s[6:7], 2
	s_add_u32 s6, s18, s6
	s_addc_u32 s7, s19, s7
	s_clause 0x1
	s_load_b32 s13, s[4:5], 0x0
	s_load_b32 s4, s[6:7], 0x0
	s_lshl_b32 s14, s15, 8
	s_delay_alu instid0(SALU_CYCLE_1) | instskip(SKIP_2) | instid1(SALU_CYCLE_1)
	s_add_i32 s5, s14, 0x100
	s_waitcnt lgkmcnt(0)
	s_sub_i32 s4, s4, s13
	s_min_u32 s15, s4, s5
	s_cmp_gt_u32 s2, 23
	s_cbranch_scc1 .LBB188_14
; %bb.8:
	v_mul_f64 v[10:11], 0x80000000, v[8:9]
	v_mul_f64 v[12:13], v[1:2], 0
	s_load_b256 s[4:11], s[0:1], 0x30
	v_bfe_u32 v3, v0, 0, s2
	v_lshl_add_u32 v23, v0, 4, 0
	v_mov_b32_e32 v15, 0
	s_lshl_b32 s18, 0x100, s2
	s_delay_alu instid0(VALU_DEP_3)
	v_subrev_nc_u32_e32 v22, s12, v3
	s_branch .LBB188_11
.LBB188_9:                              ;   in Loop: Header=BB188_11 Depth=1
	s_or_b32 exec_lo, exec_lo, s20
	ds_store_2addr_b64 v23, v[16:17], v[18:19] offset1:1
.LBB188_10:                             ;   in Loop: Header=BB188_11 Depth=1
	s_or_b32 exec_lo, exec_lo, s19
	v_add_nc_u32_e32 v23, 0x1000, v23
	s_addk_i32 s3, 0x100
	s_delay_alu instid0(SALU_CYCLE_1)
	s_cmp_ge_u32 s3, s18
	s_cbranch_scc1 .LBB188_14
.LBB188_11:                             ; =>This Inner Loop Header: Depth=1
	v_add_nc_u32_e32 v14, s3, v0
	s_mov_b32 s19, exec_lo
	s_delay_alu instid0(VALU_DEP_1) | instskip(NEXT) | instid1(VALU_DEP_1)
	v_lshrrev_b32_e32 v14, s2, v14
	v_add_nc_u32_e32 v14, s14, v14
	s_delay_alu instid0(VALU_DEP_1)
	v_cmpx_gt_u32_e64 s15, v14
	s_cbranch_execz .LBB188_10
; %bb.12:                               ;   in Loop: Header=BB188_11 Depth=1
	v_add_nc_u32_e32 v14, s13, v14
	s_mov_b32 s20, exec_lo
	s_delay_alu instid0(VALU_DEP_1) | instskip(NEXT) | instid1(VALU_DEP_1)
	v_lshlrev_b64 v[16:17], 2, v[14:15]
	v_add_co_u32 v16, vcc_lo, s16, v16
	s_delay_alu instid0(VALU_DEP_2) | instskip(SKIP_3) | instid1(VALU_DEP_1)
	v_add_co_ci_u32_e32 v17, vcc_lo, s17, v17, vcc_lo
	global_load_b32 v16, v[16:17], off
	s_waitcnt vmcnt(0)
	v_ashrrev_i32_e32 v17, 31, v16
	v_lshlrev_b64 v[16:17], 2, v[16:17]
	s_waitcnt lgkmcnt(0)
	s_delay_alu instid0(VALU_DEP_1) | instskip(NEXT) | instid1(VALU_DEP_2)
	v_add_co_u32 v16, vcc_lo, s4, v16
	v_add_co_ci_u32_e32 v17, vcc_lo, s5, v17, vcc_lo
	global_load_b64 v[20:21], v[16:17], off
	v_mov_b32_e32 v16, 0
	v_mov_b32_e32 v17, 0
	s_delay_alu instid0(VALU_DEP_1) | instskip(SKIP_2) | instid1(VALU_DEP_1)
	v_dual_mov_b32 v19, v17 :: v_dual_mov_b32 v18, v16
	s_waitcnt vmcnt(0)
	v_sub_nc_u32_e32 v14, v21, v20
	v_cmpx_lt_u32_e64 v3, v14
	s_cbranch_execz .LBB188_9
; %bb.13:                               ;   in Loop: Header=BB188_11 Depth=1
	v_add_nc_u32_e32 v14, v22, v20
	s_delay_alu instid0(VALU_DEP_1) | instskip(NEXT) | instid1(VALU_DEP_1)
	v_lshlrev_b64 v[16:17], 2, v[14:15]
	v_add_co_u32 v16, vcc_lo, s6, v16
	s_delay_alu instid0(VALU_DEP_2) | instskip(SKIP_2) | instid1(VALU_DEP_1)
	v_add_co_ci_u32_e32 v17, vcc_lo, s7, v17, vcc_lo
	global_load_b32 v18, v[16:17], off
	v_lshlrev_b64 v[16:17], 3, v[14:15]
	v_add_co_u32 v16, vcc_lo, s8, v16
	s_delay_alu instid0(VALU_DEP_2) | instskip(SKIP_3) | instid1(VALU_DEP_1)
	v_add_co_ci_u32_e32 v17, vcc_lo, s9, v17, vcc_lo
	global_load_b64 v[16:17], v[16:17], off
	s_waitcnt vmcnt(1)
	v_subrev_nc_u32_e32 v18, s12, v18
	v_ashrrev_i32_e32 v19, 31, v18
	s_delay_alu instid0(VALU_DEP_1) | instskip(SKIP_3) | instid1(VALU_DEP_3)
	v_lshlrev_b64 v[18:19], 4, v[18:19]
	s_waitcnt vmcnt(0)
	v_fma_f64 v[24:25], v[8:9], v[16:17], v[12:13]
	v_fma_f64 v[16:17], v[1:2], v[16:17], v[10:11]
	v_add_co_u32 v18, vcc_lo, s10, v18
	s_delay_alu instid0(VALU_DEP_4) | instskip(SKIP_4) | instid1(VALU_DEP_2)
	v_add_co_ci_u32_e32 v19, vcc_lo, s11, v19, vcc_lo
	global_load_b128 v[18:21], v[18:19], off
	s_waitcnt vmcnt(0)
	v_mul_f64 v[26:27], v[20:21], -v[24:25]
	v_mul_f64 v[20:21], v[16:17], v[20:21]
	v_fma_f64 v[16:17], v[16:17], v[18:19], v[26:27]
	s_delay_alu instid0(VALU_DEP_2)
	v_fma_f64 v[18:19], v[24:25], v[18:19], v[20:21]
	s_branch .LBB188_9
.LBB188_14:
	s_sub_i32 s3, s15, s14
	s_waitcnt vmcnt(0) lgkmcnt(0)
	s_waitcnt_vscnt null, 0x0
	v_cmp_gt_u32_e32 vcc_lo, s3, v0
	s_barrier
	buffer_gl0_inv
	s_and_b32 exec_lo, exec_lo, vcc_lo
	s_cbranch_execz .LBB188_20
; %bb.15:
	v_add3_u32 v1, s13, s14, v0
	v_mov_b32_e32 v2, 0
	s_load_b64 s[4:5], s[0:1], 0x60
	v_lshlrev_b32_e32 v0, s2, v0
	s_mov_b32 s0, 1
	s_delay_alu instid0(VALU_DEP_2) | instskip(NEXT) | instid1(VALU_DEP_1)
	v_lshlrev_b64 v[1:2], 2, v[1:2]
	v_add_co_u32 v1, vcc_lo, s16, v1
	s_delay_alu instid0(VALU_DEP_2) | instskip(SKIP_4) | instid1(VALU_DEP_2)
	v_add_co_ci_u32_e32 v2, vcc_lo, s17, v2, vcc_lo
	global_load_b32 v8, v[1:2], off
	v_mov_b32_e32 v2, 0
	v_mov_b32_e32 v3, 0
	v_lshl_add_u32 v9, v0, 4, 0
	v_dual_mov_b32 v0, v2 :: v_dual_mov_b32 v1, v3
.LBB188_16:                             ; =>This Inner Loop Header: Depth=1
	ds_load_2addr_b64 v[10:13], v9 offset1:1
	v_add_nc_u32_e32 v9, 16, v9
	s_lshr_b32 s1, s0, s2
	s_add_i32 s0, s0, 1
	s_cmp_lg_u32 s1, 0
	s_waitcnt lgkmcnt(0)
	v_add_f64 v[0:1], v[0:1], v[10:11]
	v_add_f64 v[2:3], v[2:3], v[12:13]
	s_cbranch_scc0 .LBB188_16
; %bb.17:
	v_cmp_neq_f64_e32 vcc_lo, 0, v[4:5]
	v_cmp_neq_f64_e64 s0, 0, v[6:7]
	s_waitcnt vmcnt(0)
	v_ashrrev_i32_e32 v9, 31, v8
	s_delay_alu instid0(VALU_DEP_1) | instskip(NEXT) | instid1(VALU_DEP_3)
	v_lshlrev_b64 v[8:9], 4, v[8:9]
	s_or_b32 s1, vcc_lo, s0
	s_delay_alu instid0(SALU_CYCLE_1)
	s_and_saveexec_b32 s0, s1
	s_cbranch_execz .LBB188_19
; %bb.18:
	s_delay_alu instid0(VALU_DEP_1) | instskip(NEXT) | instid1(VALU_DEP_2)
	v_add_co_u32 v10, vcc_lo, s4, v8
	v_add_co_ci_u32_e32 v11, vcc_lo, s5, v9, vcc_lo
	global_load_b128 v[10:13], v[10:11], off
	s_waitcnt vmcnt(0)
	v_fma_f64 v[0:1], v[4:5], v[10:11], v[0:1]
	v_fma_f64 v[2:3], v[6:7], v[10:11], v[2:3]
	s_delay_alu instid0(VALU_DEP_2) | instskip(NEXT) | instid1(VALU_DEP_2)
	v_fma_f64 v[0:1], -v[6:7], v[12:13], v[0:1]
	v_fma_f64 v[2:3], v[4:5], v[12:13], v[2:3]
.LBB188_19:
	s_or_b32 exec_lo, exec_lo, s0
	s_delay_alu instid0(VALU_DEP_1)
	v_add_co_u32 v4, vcc_lo, s4, v8
	v_add_co_ci_u32_e32 v5, vcc_lo, s5, v9, vcc_lo
	global_store_b128 v[4:5], v[0:3], off
.LBB188_20:
	s_endpgm
	.section	.rodata,"a",@progbits
	.p2align	6, 0x0
	.amdhsa_kernel _ZN9rocsparseL28csrmvn_lrb_short_rows_kernelIiid21rocsparse_complex_numIdES2_S2_EEvbT_PT0_S5_jNS_24const_host_device_scalarIT4_EEPKS3_PKS4_PKT1_PKT2_S8_PT3_21rocsparse_index_base_b
		.amdhsa_group_segment_fixed_size 0
		.amdhsa_private_segment_fixed_size 24
		.amdhsa_kernarg_size 112
		.amdhsa_user_sgpr_count 15
		.amdhsa_user_sgpr_dispatch_ptr 0
		.amdhsa_user_sgpr_queue_ptr 0
		.amdhsa_user_sgpr_kernarg_segment_ptr 1
		.amdhsa_user_sgpr_dispatch_id 0
		.amdhsa_user_sgpr_private_segment_size 0
		.amdhsa_wavefront_size32 1
		.amdhsa_uses_dynamic_stack 0
		.amdhsa_enable_private_segment 1
		.amdhsa_system_sgpr_workgroup_id_x 1
		.amdhsa_system_sgpr_workgroup_id_y 0
		.amdhsa_system_sgpr_workgroup_id_z 0
		.amdhsa_system_sgpr_workgroup_info 0
		.amdhsa_system_vgpr_workitem_id 0
		.amdhsa_next_free_vgpr 28
		.amdhsa_next_free_sgpr 21
		.amdhsa_reserve_vcc 1
		.amdhsa_float_round_mode_32 0
		.amdhsa_float_round_mode_16_64 0
		.amdhsa_float_denorm_mode_32 3
		.amdhsa_float_denorm_mode_16_64 3
		.amdhsa_dx10_clamp 1
		.amdhsa_ieee_mode 1
		.amdhsa_fp16_overflow 0
		.amdhsa_workgroup_processor_mode 1
		.amdhsa_memory_ordered 1
		.amdhsa_forward_progress 0
		.amdhsa_shared_vgpr_count 0
		.amdhsa_exception_fp_ieee_invalid_op 0
		.amdhsa_exception_fp_denorm_src 0
		.amdhsa_exception_fp_ieee_div_zero 0
		.amdhsa_exception_fp_ieee_overflow 0
		.amdhsa_exception_fp_ieee_underflow 0
		.amdhsa_exception_fp_ieee_inexact 0
		.amdhsa_exception_int_div_zero 0
	.end_amdhsa_kernel
	.section	.text._ZN9rocsparseL28csrmvn_lrb_short_rows_kernelIiid21rocsparse_complex_numIdES2_S2_EEvbT_PT0_S5_jNS_24const_host_device_scalarIT4_EEPKS3_PKS4_PKT1_PKT2_S8_PT3_21rocsparse_index_base_b,"axG",@progbits,_ZN9rocsparseL28csrmvn_lrb_short_rows_kernelIiid21rocsparse_complex_numIdES2_S2_EEvbT_PT0_S5_jNS_24const_host_device_scalarIT4_EEPKS3_PKS4_PKT1_PKT2_S8_PT3_21rocsparse_index_base_b,comdat
.Lfunc_end188:
	.size	_ZN9rocsparseL28csrmvn_lrb_short_rows_kernelIiid21rocsparse_complex_numIdES2_S2_EEvbT_PT0_S5_jNS_24const_host_device_scalarIT4_EEPKS3_PKS4_PKT1_PKT2_S8_PT3_21rocsparse_index_base_b, .Lfunc_end188-_ZN9rocsparseL28csrmvn_lrb_short_rows_kernelIiid21rocsparse_complex_numIdES2_S2_EEvbT_PT0_S5_jNS_24const_host_device_scalarIT4_EEPKS3_PKS4_PKT1_PKT2_S8_PT3_21rocsparse_index_base_b
                                        ; -- End function
	.section	.AMDGPU.csdata,"",@progbits
; Kernel info:
; codeLenInByte = 1184
; NumSgprs: 23
; NumVgprs: 28
; ScratchSize: 24
; MemoryBound: 0
; FloatMode: 240
; IeeeMode: 1
; LDSByteSize: 0 bytes/workgroup (compile time only)
; SGPRBlocks: 2
; VGPRBlocks: 3
; NumSGPRsForWavesPerEU: 23
; NumVGPRsForWavesPerEU: 28
; Occupancy: 16
; WaveLimiterHint : 1
; COMPUTE_PGM_RSRC2:SCRATCH_EN: 1
; COMPUTE_PGM_RSRC2:USER_SGPR: 15
; COMPUTE_PGM_RSRC2:TRAP_HANDLER: 0
; COMPUTE_PGM_RSRC2:TGID_X_EN: 1
; COMPUTE_PGM_RSRC2:TGID_Y_EN: 0
; COMPUTE_PGM_RSRC2:TGID_Z_EN: 0
; COMPUTE_PGM_RSRC2:TIDIG_COMP_CNT: 0
	.section	.text._ZN9rocsparseL30csrmvn_lrb_short_rows_2_kernelIiid21rocsparse_complex_numIdES2_S2_EEvbT_PT0_S5_jNS_24const_host_device_scalarIT4_EEPKS3_PKS4_PKT1_PKT2_S8_PT3_21rocsparse_index_base_b,"axG",@progbits,_ZN9rocsparseL30csrmvn_lrb_short_rows_2_kernelIiid21rocsparse_complex_numIdES2_S2_EEvbT_PT0_S5_jNS_24const_host_device_scalarIT4_EEPKS3_PKS4_PKT1_PKT2_S8_PT3_21rocsparse_index_base_b,comdat
	.globl	_ZN9rocsparseL30csrmvn_lrb_short_rows_2_kernelIiid21rocsparse_complex_numIdES2_S2_EEvbT_PT0_S5_jNS_24const_host_device_scalarIT4_EEPKS3_PKS4_PKT1_PKT2_S8_PT3_21rocsparse_index_base_b ; -- Begin function _ZN9rocsparseL30csrmvn_lrb_short_rows_2_kernelIiid21rocsparse_complex_numIdES2_S2_EEvbT_PT0_S5_jNS_24const_host_device_scalarIT4_EEPKS3_PKS4_PKT1_PKT2_S8_PT3_21rocsparse_index_base_b
	.p2align	8
	.type	_ZN9rocsparseL30csrmvn_lrb_short_rows_2_kernelIiid21rocsparse_complex_numIdES2_S2_EEvbT_PT0_S5_jNS_24const_host_device_scalarIT4_EEPKS3_PKS4_PKT1_PKT2_S8_PT3_21rocsparse_index_base_b,@function
_ZN9rocsparseL30csrmvn_lrb_short_rows_2_kernelIiid21rocsparse_complex_numIdES2_S2_EEvbT_PT0_S5_jNS_24const_host_device_scalarIT4_EEPKS3_PKS4_PKT1_PKT2_S8_PT3_21rocsparse_index_base_b: ; @_ZN9rocsparseL30csrmvn_lrb_short_rows_2_kernelIiid21rocsparse_complex_numIdES2_S2_EEvbT_PT0_S5_jNS_24const_host_device_scalarIT4_EEPKS3_PKS4_PKT1_PKT2_S8_PT3_21rocsparse_index_base_b
; %bb.0:
	s_clause 0x2
	s_load_b64 s[16:17], s[0:1], 0x68
	s_load_b128 s[8:11], s[0:1], 0x20
	s_load_b128 s[4:7], s[0:1], 0x50
	s_mov_b64 s[2:3], src_private_base
	v_mov_b32_e32 v1, 0
	s_waitcnt lgkmcnt(0)
	s_bitcmp1_b32 s17, 0
	v_dual_mov_b32 v3, s8 :: v_dual_mov_b32 v6, s5
	s_cselect_b32 s2, -1, 0
	v_mov_b32_e32 v4, s9
	s_and_b32 vcc_lo, s2, exec_lo
	s_cselect_b32 s12, s3, s9
	v_cndmask_b32_e64 v1, s8, v1, s2
	v_dual_mov_b32 v5, s4 :: v_dual_mov_b32 v2, s12
	s_clause 0x1
	scratch_store_b64 off, v[3:4], off
	scratch_store_b64 off, v[5:6], off offset:8
	v_dual_mov_b32 v12, s11 :: v_dual_mov_b32 v11, s10
	flat_load_b64 v[9:10], v[1:2]
	s_xor_b32 s10, s2, -1
	s_cbranch_vccnz .LBB189_2
; %bb.1:
	v_dual_mov_b32 v1, s8 :: v_dual_mov_b32 v2, s9
	flat_load_b64 v[11:12], v[1:2] offset:8
.LBB189_2:
	s_and_b32 s8, s2, exec_lo
	s_cselect_b32 s3, s3, s5
	s_delay_alu instid0(SALU_CYCLE_1) | instskip(SKIP_2) | instid1(VALU_DEP_2)
	v_dual_mov_b32 v1, 8 :: v_dual_mov_b32 v2, s3
	v_dual_mov_b32 v8, s7 :: v_dual_mov_b32 v7, s6
	s_and_not1_b32 vcc_lo, exec_lo, s10
	v_cndmask_b32_e64 v1, s4, v1, s2
	flat_load_b64 v[5:6], v[1:2]
	s_cbranch_vccnz .LBB189_4
; %bb.3:
	v_dual_mov_b32 v1, s4 :: v_dual_mov_b32 v2, s5
	flat_load_b64 v[7:8], v[1:2] offset:8
.LBB189_4:
	s_waitcnt vmcnt(1) lgkmcnt(1)
	v_cmp_eq_f64_e32 vcc_lo, 0, v[9:10]
	v_cmp_eq_f64_e64 s2, 0, v[11:12]
	s_delay_alu instid0(VALU_DEP_1)
	s_and_b32 s4, vcc_lo, s2
	s_mov_b32 s2, -1
	s_and_saveexec_b32 s3, s4
	s_cbranch_execz .LBB189_6
; %bb.5:
	s_waitcnt vmcnt(0) lgkmcnt(0)
	v_cmp_neq_f64_e32 vcc_lo, 1.0, v[5:6]
	v_cmp_neq_f64_e64 s2, 0, v[7:8]
	s_delay_alu instid0(VALU_DEP_1) | instskip(NEXT) | instid1(SALU_CYCLE_1)
	s_or_b32 s2, vcc_lo, s2
	s_or_not1_b32 s2, s2, exec_lo
.LBB189_6:
	s_or_b32 exec_lo, exec_lo, s3
	s_and_saveexec_b32 s3, s2
	s_cbranch_execz .LBB189_32
; %bb.7:
	s_clause 0x1
	s_load_b32 s12, s[0:1], 0x18
	s_load_b128 s[8:11], s[0:1], 0x8
	v_mul_f64 v[13:14], 0x80000000, v[11:12]
	v_mul_f64 v[15:16], v[9:10], 0
	s_mov_b32 s13, 0
	s_delay_alu instid0(SALU_CYCLE_1)
	s_mov_b32 s5, s13
	s_waitcnt lgkmcnt(0)
	s_lshl_b64 s[2:3], s[12:13], 2
	v_lshrrev_b32_e32 v1, s12, v0
	s_add_u32 s2, s10, s2
	s_addc_u32 s3, s11, s3
	s_add_i32 s4, s12, 1
	v_bfe_u32 v22, v0, 0, s12
	s_lshl_b64 s[4:5], s[4:5], 2
	s_delay_alu instid0(SALU_CYCLE_1)
	s_add_u32 s4, s10, s4
	s_addc_u32 s5, s11, s5
	s_clause 0x1
	s_load_b32 s14, s[2:3], 0x0
	s_load_b32 s17, s[4:5], 0x0
	s_clause 0x1
	s_load_b64 s[10:11], s[0:1], 0x60
	s_load_b256 s[0:7], s[0:1], 0x30
	s_lshr_b32 s13, 0x400, s12
	v_subrev_nc_u32_e32 v21, s16, v22
	s_mul_i32 s15, s13, s15
	s_delay_alu instid0(SALU_CYCLE_1) | instskip(SKIP_3) | instid1(SALU_CYCLE_1)
	v_add_nc_u32_e32 v1, s15, v1
	s_add_i32 s18, s15, s13
	s_waitcnt lgkmcnt(0)
	s_sub_i32 s17, s17, s14
	s_min_u32 s17, s17, s18
	s_mov_b32 s18, exec_lo
	v_cmpx_gt_u32_e64 s17, v1
	s_cbranch_execz .LBB189_11
; %bb.8:
	v_dual_mov_b32 v18, 0 :: v_dual_add_nc_u32 v17, s14, v1
	s_delay_alu instid0(VALU_DEP_1) | instskip(NEXT) | instid1(VALU_DEP_1)
	v_lshlrev_b64 v[1:2], 2, v[17:18]
	v_add_co_u32 v1, vcc_lo, s8, v1
	s_delay_alu instid0(VALU_DEP_2) | instskip(SKIP_3) | instid1(VALU_DEP_1)
	v_add_co_ci_u32_e32 v2, vcc_lo, s9, v2, vcc_lo
	global_load_b32 v1, v[1:2], off
	s_waitcnt vmcnt(0)
	v_ashrrev_i32_e32 v2, 31, v1
	v_lshlrev_b64 v[1:2], 2, v[1:2]
	s_delay_alu instid0(VALU_DEP_1) | instskip(NEXT) | instid1(VALU_DEP_2)
	v_add_co_u32 v1, vcc_lo, s0, v1
	v_add_co_ci_u32_e32 v2, vcc_lo, s1, v2, vcc_lo
	global_load_b64 v[19:20], v[1:2], off
	v_mov_b32_e32 v1, 0
	v_mov_b32_e32 v2, 0
	s_waitcnt vmcnt(0)
	v_sub_nc_u32_e32 v3, v20, v19
	s_delay_alu instid0(VALU_DEP_1) | instskip(NEXT) | instid1(VALU_DEP_3)
	v_cmp_lt_u32_e32 vcc_lo, v22, v3
	v_dual_mov_b32 v4, v2 :: v_dual_mov_b32 v3, v1
	s_and_saveexec_b32 s19, vcc_lo
	s_cbranch_execz .LBB189_10
; %bb.9:
	v_add_nc_u32_e32 v17, v19, v21
	s_delay_alu instid0(VALU_DEP_1) | instskip(NEXT) | instid1(VALU_DEP_1)
	v_lshlrev_b64 v[1:2], 2, v[17:18]
	v_add_co_u32 v1, vcc_lo, s2, v1
	s_delay_alu instid0(VALU_DEP_2) | instskip(SKIP_2) | instid1(VALU_DEP_1)
	v_add_co_ci_u32_e32 v2, vcc_lo, s3, v2, vcc_lo
	global_load_b32 v3, v[1:2], off
	v_lshlrev_b64 v[1:2], 3, v[17:18]
	v_add_co_u32 v1, vcc_lo, s4, v1
	s_delay_alu instid0(VALU_DEP_2) | instskip(SKIP_3) | instid1(VALU_DEP_1)
	v_add_co_ci_u32_e32 v2, vcc_lo, s5, v2, vcc_lo
	global_load_b64 v[1:2], v[1:2], off
	s_waitcnt vmcnt(1)
	v_subrev_nc_u32_e32 v3, s16, v3
	v_ashrrev_i32_e32 v4, 31, v3
	s_delay_alu instid0(VALU_DEP_1) | instskip(NEXT) | instid1(VALU_DEP_1)
	v_lshlrev_b64 v[3:4], 4, v[3:4]
	v_add_co_u32 v3, vcc_lo, s6, v3
	s_delay_alu instid0(VALU_DEP_2)
	v_add_co_ci_u32_e32 v4, vcc_lo, s7, v4, vcc_lo
	global_load_b128 v[17:20], v[3:4], off
	s_waitcnt vmcnt(1)
	v_fma_f64 v[3:4], v[11:12], v[1:2], v[15:16]
	v_fma_f64 v[1:2], v[9:10], v[1:2], v[13:14]
	s_waitcnt vmcnt(0)
	s_delay_alu instid0(VALU_DEP_2) | instskip(NEXT) | instid1(VALU_DEP_2)
	v_mul_f64 v[23:24], v[19:20], -v[3:4]
	v_mul_f64 v[19:20], v[1:2], v[19:20]
	s_delay_alu instid0(VALU_DEP_2) | instskip(NEXT) | instid1(VALU_DEP_2)
	v_fma_f64 v[1:2], v[1:2], v[17:18], v[23:24]
	v_fma_f64 v[3:4], v[3:4], v[17:18], v[19:20]
.LBB189_10:
	s_or_b32 exec_lo, exec_lo, s19
	v_lshlrev_b32_e32 v17, 4, v0
	ds_store_b128 v17, v[1:4]
.LBB189_11:
	s_or_b32 exec_lo, exec_lo, s18
	v_or_b32_e32 v1, 0x100, v0
	s_mov_b32 s18, exec_lo
	s_delay_alu instid0(VALU_DEP_1) | instskip(NEXT) | instid1(VALU_DEP_1)
	v_lshrrev_b32_e32 v1, s12, v1
	v_add_nc_u32_e32 v1, s15, v1
	s_delay_alu instid0(VALU_DEP_1)
	v_cmpx_gt_u32_e64 s17, v1
	s_cbranch_execz .LBB189_15
; %bb.12:
	v_dual_mov_b32 v18, 0 :: v_dual_add_nc_u32 v17, s14, v1
	s_delay_alu instid0(VALU_DEP_1) | instskip(NEXT) | instid1(VALU_DEP_1)
	v_lshlrev_b64 v[1:2], 2, v[17:18]
	v_add_co_u32 v1, vcc_lo, s8, v1
	s_delay_alu instid0(VALU_DEP_2) | instskip(SKIP_3) | instid1(VALU_DEP_1)
	v_add_co_ci_u32_e32 v2, vcc_lo, s9, v2, vcc_lo
	global_load_b32 v1, v[1:2], off
	s_waitcnt vmcnt(0)
	v_ashrrev_i32_e32 v2, 31, v1
	v_lshlrev_b64 v[1:2], 2, v[1:2]
	s_delay_alu instid0(VALU_DEP_1) | instskip(NEXT) | instid1(VALU_DEP_2)
	v_add_co_u32 v1, vcc_lo, s0, v1
	v_add_co_ci_u32_e32 v2, vcc_lo, s1, v2, vcc_lo
	global_load_b64 v[19:20], v[1:2], off
	v_mov_b32_e32 v1, 0
	v_mov_b32_e32 v2, 0
	s_waitcnt vmcnt(0)
	v_sub_nc_u32_e32 v3, v20, v19
	s_delay_alu instid0(VALU_DEP_1) | instskip(NEXT) | instid1(VALU_DEP_3)
	v_cmp_lt_u32_e32 vcc_lo, v22, v3
	v_dual_mov_b32 v4, v2 :: v_dual_mov_b32 v3, v1
	s_and_saveexec_b32 s19, vcc_lo
	s_cbranch_execz .LBB189_14
; %bb.13:
	v_add_nc_u32_e32 v17, v19, v21
	s_delay_alu instid0(VALU_DEP_1) | instskip(NEXT) | instid1(VALU_DEP_1)
	v_lshlrev_b64 v[1:2], 2, v[17:18]
	v_add_co_u32 v1, vcc_lo, s2, v1
	s_delay_alu instid0(VALU_DEP_2) | instskip(SKIP_2) | instid1(VALU_DEP_1)
	v_add_co_ci_u32_e32 v2, vcc_lo, s3, v2, vcc_lo
	global_load_b32 v3, v[1:2], off
	v_lshlrev_b64 v[1:2], 3, v[17:18]
	v_add_co_u32 v1, vcc_lo, s4, v1
	s_delay_alu instid0(VALU_DEP_2) | instskip(SKIP_3) | instid1(VALU_DEP_1)
	v_add_co_ci_u32_e32 v2, vcc_lo, s5, v2, vcc_lo
	global_load_b64 v[1:2], v[1:2], off
	s_waitcnt vmcnt(1)
	v_subrev_nc_u32_e32 v3, s16, v3
	v_ashrrev_i32_e32 v4, 31, v3
	s_delay_alu instid0(VALU_DEP_1) | instskip(NEXT) | instid1(VALU_DEP_1)
	v_lshlrev_b64 v[3:4], 4, v[3:4]
	v_add_co_u32 v3, vcc_lo, s6, v3
	s_delay_alu instid0(VALU_DEP_2)
	v_add_co_ci_u32_e32 v4, vcc_lo, s7, v4, vcc_lo
	global_load_b128 v[17:20], v[3:4], off
	s_waitcnt vmcnt(1)
	v_fma_f64 v[3:4], v[11:12], v[1:2], v[15:16]
	v_fma_f64 v[1:2], v[9:10], v[1:2], v[13:14]
	s_waitcnt vmcnt(0)
	s_delay_alu instid0(VALU_DEP_2) | instskip(NEXT) | instid1(VALU_DEP_2)
	v_mul_f64 v[23:24], v[19:20], -v[3:4]
	v_mul_f64 v[19:20], v[1:2], v[19:20]
	s_delay_alu instid0(VALU_DEP_2) | instskip(NEXT) | instid1(VALU_DEP_2)
	v_fma_f64 v[1:2], v[1:2], v[17:18], v[23:24]
	v_fma_f64 v[3:4], v[3:4], v[17:18], v[19:20]
.LBB189_14:
	s_or_b32 exec_lo, exec_lo, s19
	v_lshlrev_b32_e32 v17, 4, v0
	ds_store_b128 v17, v[1:4] offset:4096
.LBB189_15:
	s_or_b32 exec_lo, exec_lo, s18
	v_or_b32_e32 v1, 0x200, v0
	s_mov_b32 s18, exec_lo
	s_delay_alu instid0(VALU_DEP_1) | instskip(NEXT) | instid1(VALU_DEP_1)
	v_lshrrev_b32_e32 v1, s12, v1
	v_add_nc_u32_e32 v1, s15, v1
	s_delay_alu instid0(VALU_DEP_1)
	v_cmpx_gt_u32_e64 s17, v1
	s_cbranch_execz .LBB189_19
; %bb.16:
	v_dual_mov_b32 v18, 0 :: v_dual_add_nc_u32 v17, s14, v1
	s_delay_alu instid0(VALU_DEP_1) | instskip(NEXT) | instid1(VALU_DEP_1)
	v_lshlrev_b64 v[1:2], 2, v[17:18]
	v_add_co_u32 v1, vcc_lo, s8, v1
	s_delay_alu instid0(VALU_DEP_2) | instskip(SKIP_3) | instid1(VALU_DEP_1)
	v_add_co_ci_u32_e32 v2, vcc_lo, s9, v2, vcc_lo
	global_load_b32 v1, v[1:2], off
	s_waitcnt vmcnt(0)
	v_ashrrev_i32_e32 v2, 31, v1
	v_lshlrev_b64 v[1:2], 2, v[1:2]
	s_delay_alu instid0(VALU_DEP_1) | instskip(NEXT) | instid1(VALU_DEP_2)
	v_add_co_u32 v1, vcc_lo, s0, v1
	v_add_co_ci_u32_e32 v2, vcc_lo, s1, v2, vcc_lo
	global_load_b64 v[19:20], v[1:2], off
	v_mov_b32_e32 v1, 0
	v_mov_b32_e32 v2, 0
	s_waitcnt vmcnt(0)
	v_sub_nc_u32_e32 v3, v20, v19
	s_delay_alu instid0(VALU_DEP_1) | instskip(NEXT) | instid1(VALU_DEP_3)
	v_cmp_lt_u32_e32 vcc_lo, v22, v3
	v_dual_mov_b32 v4, v2 :: v_dual_mov_b32 v3, v1
	s_and_saveexec_b32 s19, vcc_lo
	s_cbranch_execz .LBB189_18
; %bb.17:
	v_add_nc_u32_e32 v17, v19, v21
	s_delay_alu instid0(VALU_DEP_1) | instskip(NEXT) | instid1(VALU_DEP_1)
	v_lshlrev_b64 v[1:2], 2, v[17:18]
	v_add_co_u32 v1, vcc_lo, s2, v1
	s_delay_alu instid0(VALU_DEP_2) | instskip(SKIP_2) | instid1(VALU_DEP_1)
	v_add_co_ci_u32_e32 v2, vcc_lo, s3, v2, vcc_lo
	global_load_b32 v3, v[1:2], off
	v_lshlrev_b64 v[1:2], 3, v[17:18]
	v_add_co_u32 v1, vcc_lo, s4, v1
	s_delay_alu instid0(VALU_DEP_2) | instskip(SKIP_3) | instid1(VALU_DEP_1)
	v_add_co_ci_u32_e32 v2, vcc_lo, s5, v2, vcc_lo
	global_load_b64 v[1:2], v[1:2], off
	s_waitcnt vmcnt(1)
	v_subrev_nc_u32_e32 v3, s16, v3
	v_ashrrev_i32_e32 v4, 31, v3
	s_delay_alu instid0(VALU_DEP_1) | instskip(NEXT) | instid1(VALU_DEP_1)
	v_lshlrev_b64 v[3:4], 4, v[3:4]
	v_add_co_u32 v3, vcc_lo, s6, v3
	s_delay_alu instid0(VALU_DEP_2)
	v_add_co_ci_u32_e32 v4, vcc_lo, s7, v4, vcc_lo
	global_load_b128 v[17:20], v[3:4], off
	s_waitcnt vmcnt(1)
	v_fma_f64 v[3:4], v[11:12], v[1:2], v[15:16]
	v_fma_f64 v[1:2], v[9:10], v[1:2], v[13:14]
	s_waitcnt vmcnt(0)
	s_delay_alu instid0(VALU_DEP_2) | instskip(NEXT) | instid1(VALU_DEP_2)
	v_mul_f64 v[23:24], v[19:20], -v[3:4]
	v_mul_f64 v[19:20], v[1:2], v[19:20]
	s_delay_alu instid0(VALU_DEP_2) | instskip(NEXT) | instid1(VALU_DEP_2)
	v_fma_f64 v[1:2], v[1:2], v[17:18], v[23:24]
	v_fma_f64 v[3:4], v[3:4], v[17:18], v[19:20]
.LBB189_18:
	s_or_b32 exec_lo, exec_lo, s19
	v_lshlrev_b32_e32 v17, 4, v0
	ds_store_b128 v17, v[1:4] offset:8192
.LBB189_19:
	s_or_b32 exec_lo, exec_lo, s18
	v_or_b32_e32 v1, 0x300, v0
	s_mov_b32 s18, exec_lo
	s_delay_alu instid0(VALU_DEP_1) | instskip(NEXT) | instid1(VALU_DEP_1)
	v_lshrrev_b32_e32 v1, s12, v1
	v_add_nc_u32_e32 v1, s15, v1
	s_delay_alu instid0(VALU_DEP_1)
	v_cmpx_gt_u32_e64 s17, v1
	s_cbranch_execz .LBB189_23
; %bb.20:
	v_dual_mov_b32 v18, 0 :: v_dual_add_nc_u32 v17, s14, v1
	s_delay_alu instid0(VALU_DEP_1) | instskip(NEXT) | instid1(VALU_DEP_1)
	v_lshlrev_b64 v[1:2], 2, v[17:18]
	v_add_co_u32 v1, vcc_lo, s8, v1
	s_delay_alu instid0(VALU_DEP_2) | instskip(SKIP_3) | instid1(VALU_DEP_1)
	v_add_co_ci_u32_e32 v2, vcc_lo, s9, v2, vcc_lo
	global_load_b32 v1, v[1:2], off
	s_waitcnt vmcnt(0)
	v_ashrrev_i32_e32 v2, 31, v1
	v_lshlrev_b64 v[1:2], 2, v[1:2]
	s_delay_alu instid0(VALU_DEP_1) | instskip(NEXT) | instid1(VALU_DEP_2)
	v_add_co_u32 v1, vcc_lo, s0, v1
	v_add_co_ci_u32_e32 v2, vcc_lo, s1, v2, vcc_lo
	global_load_b64 v[19:20], v[1:2], off
	v_mov_b32_e32 v1, 0
	v_mov_b32_e32 v2, 0
	s_waitcnt vmcnt(0)
	v_sub_nc_u32_e32 v3, v20, v19
	s_delay_alu instid0(VALU_DEP_1) | instskip(NEXT) | instid1(VALU_DEP_3)
	v_cmp_lt_u32_e32 vcc_lo, v22, v3
	v_dual_mov_b32 v4, v2 :: v_dual_mov_b32 v3, v1
	s_and_saveexec_b32 s0, vcc_lo
	s_cbranch_execz .LBB189_22
; %bb.21:
	v_add_nc_u32_e32 v17, v19, v21
	s_delay_alu instid0(VALU_DEP_1) | instskip(NEXT) | instid1(VALU_DEP_1)
	v_lshlrev_b64 v[1:2], 2, v[17:18]
	v_add_co_u32 v1, vcc_lo, s2, v1
	s_delay_alu instid0(VALU_DEP_2) | instskip(SKIP_2) | instid1(VALU_DEP_1)
	v_add_co_ci_u32_e32 v2, vcc_lo, s3, v2, vcc_lo
	global_load_b32 v3, v[1:2], off
	v_lshlrev_b64 v[1:2], 3, v[17:18]
	v_add_co_u32 v1, vcc_lo, s4, v1
	s_delay_alu instid0(VALU_DEP_2) | instskip(SKIP_3) | instid1(VALU_DEP_1)
	v_add_co_ci_u32_e32 v2, vcc_lo, s5, v2, vcc_lo
	global_load_b64 v[1:2], v[1:2], off
	s_waitcnt vmcnt(1)
	v_subrev_nc_u32_e32 v3, s16, v3
	v_ashrrev_i32_e32 v4, 31, v3
	s_delay_alu instid0(VALU_DEP_1) | instskip(NEXT) | instid1(VALU_DEP_1)
	v_lshlrev_b64 v[3:4], 4, v[3:4]
	v_add_co_u32 v3, vcc_lo, s6, v3
	s_delay_alu instid0(VALU_DEP_2)
	v_add_co_ci_u32_e32 v4, vcc_lo, s7, v4, vcc_lo
	global_load_b128 v[17:20], v[3:4], off
	s_waitcnt vmcnt(1)
	v_fma_f64 v[3:4], v[11:12], v[1:2], v[15:16]
	v_fma_f64 v[1:2], v[9:10], v[1:2], v[13:14]
	s_waitcnt vmcnt(0)
	s_delay_alu instid0(VALU_DEP_2) | instskip(NEXT) | instid1(VALU_DEP_2)
	v_mul_f64 v[9:10], v[19:20], -v[3:4]
	v_mul_f64 v[11:12], v[1:2], v[19:20]
	s_delay_alu instid0(VALU_DEP_2) | instskip(NEXT) | instid1(VALU_DEP_2)
	v_fma_f64 v[1:2], v[1:2], v[17:18], v[9:10]
	v_fma_f64 v[3:4], v[3:4], v[17:18], v[11:12]
.LBB189_22:
	s_or_b32 exec_lo, exec_lo, s0
	v_lshlrev_b32_e32 v9, 4, v0
	ds_store_b128 v9, v[1:4] offset:12288
.LBB189_23:
	s_or_b32 exec_lo, exec_lo, s18
	s_cmp_lt_u32 s12, 11
	s_waitcnt vmcnt(0) lgkmcnt(0)
	s_waitcnt_vscnt null, 0x0
	s_barrier
	buffer_gl0_inv
	s_cbranch_scc0 .LBB189_32
; %bb.24:
	v_cmp_neq_f64_e32 vcc_lo, 0, v[5:6]
	v_cmp_neq_f64_e64 s0, 0, v[7:8]
	v_mov_b32_e32 v10, 0
	s_sub_i32 s1, s17, s15
	s_add_i32 s14, s14, s15
	s_mov_b32 s2, 0
	s_delay_alu instid0(VALU_DEP_2)
	s_or_b32 s0, vcc_lo, s0
	s_branch .LBB189_27
.LBB189_25:                             ;   in Loop: Header=BB189_27 Depth=1
	s_or_b32 exec_lo, exec_lo, s4
	s_delay_alu instid0(VALU_DEP_1) | instskip(NEXT) | instid1(VALU_DEP_2)
	v_add_co_u32 v11, vcc_lo, s10, v11
	v_add_co_ci_u32_e32 v12, vcc_lo, s11, v12, vcc_lo
	global_store_b128 v[11:12], v[1:4], off
.LBB189_26:                             ;   in Loop: Header=BB189_27 Depth=1
	s_or_b32 exec_lo, exec_lo, s3
	s_addk_i32 s2, 0x100
	s_delay_alu instid0(SALU_CYCLE_1)
	s_cmp_lt_u32 s2, s13
	s_cbranch_scc0 .LBB189_32
.LBB189_27:                             ; =>This Loop Header: Depth=1
                                        ;     Child Loop BB189_29 Depth 2
	v_add_nc_u32_e32 v1, s2, v0
	s_mov_b32 s3, exec_lo
	s_delay_alu instid0(VALU_DEP_1)
	v_cmpx_gt_u32_e64 s1, v1
	s_cbranch_execz .LBB189_26
; %bb.28:                               ;   in Loop: Header=BB189_27 Depth=1
	v_add_nc_u32_e32 v9, s14, v1
	s_mov_b32 s4, 1
	s_delay_alu instid0(VALU_DEP_1) | instskip(NEXT) | instid1(VALU_DEP_1)
	v_lshlrev_b64 v[2:3], 2, v[9:10]
	v_add_co_u32 v2, vcc_lo, s8, v2
	s_delay_alu instid0(VALU_DEP_2) | instskip(SKIP_3) | instid1(VALU_DEP_1)
	v_add_co_ci_u32_e32 v3, vcc_lo, s9, v3, vcc_lo
	global_load_b32 v11, v[2:3], off
	v_mov_b32_e32 v3, 0
	v_dual_mov_b32 v4, 0 :: v_dual_lshlrev_b32 v1, s12, v1
	v_lshlrev_b32_e32 v9, 4, v1
	s_delay_alu instid0(VALU_DEP_2)
	v_dual_mov_b32 v1, v3 :: v_dual_mov_b32 v2, v4
.LBB189_29:                             ;   Parent Loop BB189_27 Depth=1
                                        ; =>  This Inner Loop Header: Depth=2
	ds_load_b128 v[12:15], v9
	v_add_nc_u32_e32 v9, 16, v9
	s_lshr_b32 s5, s4, s12
	s_add_i32 s4, s4, 1
	s_cmp_lg_u32 s5, 0
	s_waitcnt lgkmcnt(0)
	v_add_f64 v[1:2], v[1:2], v[12:13]
	v_add_f64 v[3:4], v[3:4], v[14:15]
	s_cbranch_scc0 .LBB189_29
; %bb.30:                               ;   in Loop: Header=BB189_27 Depth=1
	s_waitcnt vmcnt(0)
	v_ashrrev_i32_e32 v12, 31, v11
	s_delay_alu instid0(VALU_DEP_1)
	v_lshlrev_b64 v[11:12], 4, v[11:12]
	s_and_saveexec_b32 s4, s0
	s_cbranch_execz .LBB189_25
; %bb.31:                               ;   in Loop: Header=BB189_27 Depth=1
	s_delay_alu instid0(VALU_DEP_1) | instskip(NEXT) | instid1(VALU_DEP_2)
	v_add_co_u32 v13, vcc_lo, s10, v11
	v_add_co_ci_u32_e32 v14, vcc_lo, s11, v12, vcc_lo
	global_load_b128 v[13:16], v[13:14], off
	s_waitcnt vmcnt(0)
	v_fma_f64 v[1:2], v[5:6], v[13:14], v[1:2]
	v_fma_f64 v[3:4], v[7:8], v[13:14], v[3:4]
	s_delay_alu instid0(VALU_DEP_2) | instskip(NEXT) | instid1(VALU_DEP_2)
	v_fma_f64 v[1:2], -v[7:8], v[15:16], v[1:2]
	v_fma_f64 v[3:4], v[5:6], v[15:16], v[3:4]
	s_branch .LBB189_25
.LBB189_32:
	s_endpgm
	.section	.rodata,"a",@progbits
	.p2align	6, 0x0
	.amdhsa_kernel _ZN9rocsparseL30csrmvn_lrb_short_rows_2_kernelIiid21rocsparse_complex_numIdES2_S2_EEvbT_PT0_S5_jNS_24const_host_device_scalarIT4_EEPKS3_PKS4_PKT1_PKT2_S8_PT3_21rocsparse_index_base_b
		.amdhsa_group_segment_fixed_size 16384
		.amdhsa_private_segment_fixed_size 24
		.amdhsa_kernarg_size 112
		.amdhsa_user_sgpr_count 15
		.amdhsa_user_sgpr_dispatch_ptr 0
		.amdhsa_user_sgpr_queue_ptr 0
		.amdhsa_user_sgpr_kernarg_segment_ptr 1
		.amdhsa_user_sgpr_dispatch_id 0
		.amdhsa_user_sgpr_private_segment_size 0
		.amdhsa_wavefront_size32 1
		.amdhsa_uses_dynamic_stack 0
		.amdhsa_enable_private_segment 1
		.amdhsa_system_sgpr_workgroup_id_x 1
		.amdhsa_system_sgpr_workgroup_id_y 0
		.amdhsa_system_sgpr_workgroup_id_z 0
		.amdhsa_system_sgpr_workgroup_info 0
		.amdhsa_system_vgpr_workitem_id 0
		.amdhsa_next_free_vgpr 25
		.amdhsa_next_free_sgpr 20
		.amdhsa_reserve_vcc 1
		.amdhsa_float_round_mode_32 0
		.amdhsa_float_round_mode_16_64 0
		.amdhsa_float_denorm_mode_32 3
		.amdhsa_float_denorm_mode_16_64 3
		.amdhsa_dx10_clamp 1
		.amdhsa_ieee_mode 1
		.amdhsa_fp16_overflow 0
		.amdhsa_workgroup_processor_mode 1
		.amdhsa_memory_ordered 1
		.amdhsa_forward_progress 0
		.amdhsa_shared_vgpr_count 0
		.amdhsa_exception_fp_ieee_invalid_op 0
		.amdhsa_exception_fp_denorm_src 0
		.amdhsa_exception_fp_ieee_div_zero 0
		.amdhsa_exception_fp_ieee_overflow 0
		.amdhsa_exception_fp_ieee_underflow 0
		.amdhsa_exception_fp_ieee_inexact 0
		.amdhsa_exception_int_div_zero 0
	.end_amdhsa_kernel
	.section	.text._ZN9rocsparseL30csrmvn_lrb_short_rows_2_kernelIiid21rocsparse_complex_numIdES2_S2_EEvbT_PT0_S5_jNS_24const_host_device_scalarIT4_EEPKS3_PKS4_PKT1_PKT2_S8_PT3_21rocsparse_index_base_b,"axG",@progbits,_ZN9rocsparseL30csrmvn_lrb_short_rows_2_kernelIiid21rocsparse_complex_numIdES2_S2_EEvbT_PT0_S5_jNS_24const_host_device_scalarIT4_EEPKS3_PKS4_PKT1_PKT2_S8_PT3_21rocsparse_index_base_b,comdat
.Lfunc_end189:
	.size	_ZN9rocsparseL30csrmvn_lrb_short_rows_2_kernelIiid21rocsparse_complex_numIdES2_S2_EEvbT_PT0_S5_jNS_24const_host_device_scalarIT4_EEPKS3_PKS4_PKT1_PKT2_S8_PT3_21rocsparse_index_base_b, .Lfunc_end189-_ZN9rocsparseL30csrmvn_lrb_short_rows_2_kernelIiid21rocsparse_complex_numIdES2_S2_EEvbT_PT0_S5_jNS_24const_host_device_scalarIT4_EEPKS3_PKS4_PKT1_PKT2_S8_PT3_21rocsparse_index_base_b
                                        ; -- End function
	.section	.AMDGPU.csdata,"",@progbits
; Kernel info:
; codeLenInByte = 2276
; NumSgprs: 22
; NumVgprs: 25
; ScratchSize: 24
; MemoryBound: 0
; FloatMode: 240
; IeeeMode: 1
; LDSByteSize: 16384 bytes/workgroup (compile time only)
; SGPRBlocks: 2
; VGPRBlocks: 3
; NumSGPRsForWavesPerEU: 22
; NumVGPRsForWavesPerEU: 25
; Occupancy: 16
; WaveLimiterHint : 1
; COMPUTE_PGM_RSRC2:SCRATCH_EN: 1
; COMPUTE_PGM_RSRC2:USER_SGPR: 15
; COMPUTE_PGM_RSRC2:TRAP_HANDLER: 0
; COMPUTE_PGM_RSRC2:TGID_X_EN: 1
; COMPUTE_PGM_RSRC2:TGID_Y_EN: 0
; COMPUTE_PGM_RSRC2:TGID_Z_EN: 0
; COMPUTE_PGM_RSRC2:TIDIG_COMP_CNT: 0
	.section	.text._ZN9rocsparseL41csrmvn_lrb_medium_rows_warp_reduce_kernelILj256ELj32Eiid21rocsparse_complex_numIdES2_S2_EEvbT1_lPT2_S5_jNS_24const_host_device_scalarIT6_EEPKS3_PKS4_PKT3_PKT4_S8_PT5_21rocsparse_index_base_b,"axG",@progbits,_ZN9rocsparseL41csrmvn_lrb_medium_rows_warp_reduce_kernelILj256ELj32Eiid21rocsparse_complex_numIdES2_S2_EEvbT1_lPT2_S5_jNS_24const_host_device_scalarIT6_EEPKS3_PKS4_PKT3_PKT4_S8_PT5_21rocsparse_index_base_b,comdat
	.globl	_ZN9rocsparseL41csrmvn_lrb_medium_rows_warp_reduce_kernelILj256ELj32Eiid21rocsparse_complex_numIdES2_S2_EEvbT1_lPT2_S5_jNS_24const_host_device_scalarIT6_EEPKS3_PKS4_PKT3_PKT4_S8_PT5_21rocsparse_index_base_b ; -- Begin function _ZN9rocsparseL41csrmvn_lrb_medium_rows_warp_reduce_kernelILj256ELj32Eiid21rocsparse_complex_numIdES2_S2_EEvbT1_lPT2_S5_jNS_24const_host_device_scalarIT6_EEPKS3_PKS4_PKT3_PKT4_S8_PT5_21rocsparse_index_base_b
	.p2align	8
	.type	_ZN9rocsparseL41csrmvn_lrb_medium_rows_warp_reduce_kernelILj256ELj32Eiid21rocsparse_complex_numIdES2_S2_EEvbT1_lPT2_S5_jNS_24const_host_device_scalarIT6_EEPKS3_PKS4_PKT3_PKT4_S8_PT5_21rocsparse_index_base_b,@function
_ZN9rocsparseL41csrmvn_lrb_medium_rows_warp_reduce_kernelILj256ELj32Eiid21rocsparse_complex_numIdES2_S2_EEvbT1_lPT2_S5_jNS_24const_host_device_scalarIT6_EEPKS3_PKS4_PKT3_PKT4_S8_PT5_21rocsparse_index_base_b: ; @_ZN9rocsparseL41csrmvn_lrb_medium_rows_warp_reduce_kernelILj256ELj32Eiid21rocsparse_complex_numIdES2_S2_EEvbT1_lPT2_S5_jNS_24const_host_device_scalarIT6_EEPKS3_PKS4_PKT3_PKT4_S8_PT5_21rocsparse_index_base_b
; %bb.0:
	s_clause 0x1
	s_load_b64 s[12:13], s[2:3], 0x70
	s_load_b128 s[4:7], s[2:3], 0x28
	s_load_b64 s[16:17], s[0:1], 0x4
	s_mov_b64 s[0:1], src_shared_base
	v_and_b32_e32 v10, 0x3ff, v0
	s_load_b128 s[8:11], s[2:3], 0x58
	v_bfe_u32 v2, v0, 10, 10
	v_bfe_u32 v0, v0, 20, 10
	s_waitcnt lgkmcnt(0)
	s_bitcmp1_b32 s13, 0
	s_cselect_b32 s0, -1, 0
	s_delay_alu instid0(SALU_CYCLE_1) | instskip(SKIP_4) | instid1(SALU_CYCLE_1)
	s_and_b32 vcc_lo, s0, exec_lo
	s_cselect_b32 s13, s1, s5
	s_lshr_b32 s14, s16, 16
	v_mov_b32_e32 v6, s13
	s_mul_i32 s14, s14, s17
	v_mul_lo_u32 v1, s14, v10
	s_delay_alu instid0(VALU_DEP_1) | instskip(SKIP_1) | instid1(VALU_DEP_2)
	v_mad_u32_u24 v1, v2, s17, v1
	v_dual_mov_b32 v2, s8 :: v_dual_mov_b32 v3, s9
	v_add_lshl_u32 v4, v1, v0, 3
	v_dual_mov_b32 v0, s4 :: v_dual_mov_b32 v1, s5
	s_delay_alu instid0(VALU_DEP_2)
	v_add_nc_u32_e32 v5, 0x800, v4
	ds_store_2addr_stride64_b64 v4, v[2:3], v[0:1] offset1:4
	v_dual_mov_b32 v2, s6 :: v_dual_mov_b32 v3, s7
	v_cndmask_b32_e64 v5, s4, v5, s0
	s_xor_b32 s6, s0, -1
	flat_load_b64 v[0:1], v[5:6]
	s_cbranch_vccnz .LBB190_2
; %bb.1:
	v_dual_mov_b32 v2, s4 :: v_dual_mov_b32 v3, s5
	flat_load_b64 v[2:3], v[2:3] offset:8
.LBB190_2:
	s_and_b32 s4, s0, exec_lo
	s_cselect_b32 s1, s1, s9
	v_cndmask_b32_e64 v4, s8, v4, s0
	v_dual_mov_b32 v5, s1 :: v_dual_mov_b32 v6, s10
	v_mov_b32_e32 v7, s11
	s_and_not1_b32 vcc_lo, exec_lo, s6
	flat_load_b64 v[4:5], v[4:5]
	s_cbranch_vccnz .LBB190_4
; %bb.3:
	v_dual_mov_b32 v6, s8 :: v_dual_mov_b32 v7, s9
	flat_load_b64 v[6:7], v[6:7] offset:8
.LBB190_4:
	s_waitcnt vmcnt(1) lgkmcnt(1)
	v_cmp_eq_f64_e32 vcc_lo, 0, v[0:1]
	v_cmp_eq_f64_e64 s0, 0, v[2:3]
	s_delay_alu instid0(VALU_DEP_1)
	s_and_b32 s4, vcc_lo, s0
	s_mov_b32 s0, -1
	s_and_saveexec_b32 s1, s4
	s_cbranch_execz .LBB190_6
; %bb.5:
	s_waitcnt vmcnt(0) lgkmcnt(0)
	v_cmp_neq_f64_e32 vcc_lo, 1.0, v[4:5]
	v_cmp_neq_f64_e64 s0, 0, v[6:7]
	s_delay_alu instid0(VALU_DEP_1) | instskip(NEXT) | instid1(SALU_CYCLE_1)
	s_or_b32 s0, vcc_lo, s0
	s_or_not1_b32 s0, s0, exec_lo
.LBB190_6:
	s_or_b32 exec_lo, exec_lo, s1
	s_and_saveexec_b32 s1, s0
	s_cbranch_execz .LBB190_16
; %bb.7:
	s_load_b64 s[0:1], s[2:3], 0x8
	v_lshrrev_b32_e32 v8, 5, v10
	s_delay_alu instid0(VALU_DEP_1) | instskip(NEXT) | instid1(VALU_DEP_1)
	v_lshl_or_b32 v8, s15, 3, v8
	v_ashrrev_i32_e32 v9, 31, v8
	s_waitcnt lgkmcnt(0)
	s_delay_alu instid0(VALU_DEP_1)
	v_cmp_gt_i64_e32 vcc_lo, s[0:1], v[8:9]
	s_and_b32 exec_lo, exec_lo, vcc_lo
	s_cbranch_execz .LBB190_16
; %bb.8:
	s_clause 0x1
	s_load_b32 s6, s[2:3], 0x20
	s_load_b128 s[8:11], s[2:3], 0x10
	s_mov_b32 s7, 0
	v_and_b32_e32 v20, 31, v10
	s_load_b64 s[4:5], s[2:3], 0x68
	s_delay_alu instid0(VALU_DEP_1)
	v_subrev_nc_u32_e32 v14, s12, v20
	s_waitcnt lgkmcnt(0)
	s_lshl_b64 s[0:1], s[6:7], 2
	s_mov_b32 s6, exec_lo
	s_add_u32 s0, s10, s0
	s_addc_u32 s1, s11, s1
	s_load_b32 s0, s[0:1], 0x0
	s_waitcnt lgkmcnt(0)
	v_add_nc_u32_e32 v8, s0, v8
	s_load_b64 s[0:1], s[2:3], 0x38
	s_delay_alu instid0(VALU_DEP_1) | instskip(NEXT) | instid1(VALU_DEP_1)
	v_ashrrev_i32_e32 v9, 31, v8
	v_lshlrev_b64 v[8:9], 2, v[8:9]
	s_delay_alu instid0(VALU_DEP_1) | instskip(NEXT) | instid1(VALU_DEP_2)
	v_add_co_u32 v8, vcc_lo, s8, v8
	v_add_co_ci_u32_e32 v9, vcc_lo, s9, v9, vcc_lo
	global_load_b32 v8, v[8:9], off
	s_waitcnt vmcnt(0)
	v_ashrrev_i32_e32 v9, 31, v8
	s_delay_alu instid0(VALU_DEP_1) | instskip(SKIP_1) | instid1(VALU_DEP_1)
	v_lshlrev_b64 v[11:12], 2, v[8:9]
	s_waitcnt lgkmcnt(0)
	v_add_co_u32 v11, vcc_lo, s0, v11
	s_delay_alu instid0(VALU_DEP_2)
	v_add_co_ci_u32_e32 v12, vcc_lo, s1, v12, vcc_lo
	global_load_b64 v[12:13], v[11:12], off
	v_mov_b32_e32 v10, 0
	v_mov_b32_e32 v11, 0
	s_waitcnt vmcnt(0)
	v_subrev_nc_u32_e32 v21, s12, v13
	s_delay_alu instid0(VALU_DEP_2) | instskip(SKIP_1) | instid1(VALU_DEP_2)
	v_dual_mov_b32 v13, v11 :: v_dual_add_nc_u32 v14, v12, v14
	v_mov_b32_e32 v12, v10
	v_cmpx_lt_i32_e64 v14, v21
	s_cbranch_execz .LBB190_12
; %bb.9:
	v_mul_f64 v[16:17], 0x80000000, v[2:3]
	v_mul_f64 v[18:19], v[0:1], 0
	s_clause 0x1
	s_load_b64 s[8:9], s[2:3], 0x50
	s_load_b128 s[0:3], s[2:3], 0x40
	v_mov_b32_e32 v10, 0
	v_mov_b32_e32 v11, 0
	s_delay_alu instid0(VALU_DEP_1)
	v_dual_mov_b32 v13, v11 :: v_dual_mov_b32 v12, v10
	s_set_inst_prefetch_distance 0x1
	.p2align	6
.LBB190_10:                             ; =>This Inner Loop Header: Depth=1
	v_ashrrev_i32_e32 v15, 31, v14
	s_delay_alu instid0(VALU_DEP_1) | instskip(SKIP_1) | instid1(VALU_DEP_1)
	v_lshlrev_b64 v[22:23], 2, v[14:15]
	s_waitcnt lgkmcnt(0)
	v_add_co_u32 v22, vcc_lo, s0, v22
	s_delay_alu instid0(VALU_DEP_2) | instskip(SKIP_3) | instid1(VALU_DEP_2)
	v_add_co_ci_u32_e32 v23, vcc_lo, s1, v23, vcc_lo
	global_load_b32 v24, v[22:23], off
	v_lshlrev_b64 v[22:23], 3, v[14:15]
	v_add_nc_u32_e32 v14, 32, v14
	v_add_co_u32 v22, vcc_lo, s2, v22
	s_delay_alu instid0(VALU_DEP_3) | instskip(SKIP_3) | instid1(VALU_DEP_1)
	v_add_co_ci_u32_e32 v23, vcc_lo, s3, v23, vcc_lo
	global_load_b64 v[26:27], v[22:23], off
	s_waitcnt vmcnt(1)
	v_subrev_nc_u32_e32 v22, s12, v24
	v_ashrrev_i32_e32 v23, 31, v22
	s_delay_alu instid0(VALU_DEP_1) | instskip(SKIP_3) | instid1(VALU_DEP_3)
	v_lshlrev_b64 v[22:23], 4, v[22:23]
	s_waitcnt vmcnt(0)
	v_fma_f64 v[28:29], v[0:1], v[26:27], v[16:17]
	v_fma_f64 v[26:27], v[2:3], v[26:27], v[18:19]
	v_add_co_u32 v22, vcc_lo, s8, v22
	s_delay_alu instid0(VALU_DEP_4)
	v_add_co_ci_u32_e32 v23, vcc_lo, s9, v23, vcc_lo
	v_cmp_ge_i32_e32 vcc_lo, v14, v21
	global_load_b128 v[22:25], v[22:23], off
	s_or_b32 s7, vcc_lo, s7
	s_waitcnt vmcnt(0)
	v_fma_f64 v[12:13], v[28:29], v[22:23], v[12:13]
	v_fma_f64 v[10:11], v[26:27], v[22:23], v[10:11]
	s_delay_alu instid0(VALU_DEP_2) | instskip(NEXT) | instid1(VALU_DEP_2)
	v_fma_f64 v[12:13], -v[26:27], v[24:25], v[12:13]
	v_fma_f64 v[10:11], v[28:29], v[24:25], v[10:11]
	s_and_not1_b32 exec_lo, exec_lo, s7
	s_cbranch_execnz .LBB190_10
; %bb.11:
	s_set_inst_prefetch_distance 0x2
	s_or_b32 exec_lo, exec_lo, s7
.LBB190_12:
	s_delay_alu instid0(SALU_CYCLE_1) | instskip(SKIP_1) | instid1(VALU_DEP_1)
	s_or_b32 exec_lo, exec_lo, s6
	v_mbcnt_lo_u32_b32 v14, -1, 0
	v_xor_b32_e32 v0, 16, v14
	s_delay_alu instid0(VALU_DEP_1) | instskip(SKIP_1) | instid1(VALU_DEP_1)
	v_cmp_gt_i32_e32 vcc_lo, 32, v0
	v_cndmask_b32_e32 v0, v14, v0, vcc_lo
	v_lshlrev_b32_e32 v3, 2, v0
	ds_bpermute_b32 v0, v3, v12
	ds_bpermute_b32 v1, v3, v13
	;; [unrolled: 1-line block ×4, first 2 shown]
	s_waitcnt lgkmcnt(2)
	v_add_f64 v[0:1], v[12:13], v[0:1]
	s_waitcnt lgkmcnt(0)
	v_add_f64 v[2:3], v[10:11], v[2:3]
	v_xor_b32_e32 v10, 8, v14
	s_delay_alu instid0(VALU_DEP_1) | instskip(SKIP_1) | instid1(VALU_DEP_1)
	v_cmp_gt_i32_e32 vcc_lo, 32, v10
	v_cndmask_b32_e32 v10, v14, v10, vcc_lo
	v_lshlrev_b32_e32 v13, 2, v10
	ds_bpermute_b32 v10, v13, v0
	ds_bpermute_b32 v11, v13, v1
	;; [unrolled: 1-line block ×4, first 2 shown]
	s_waitcnt lgkmcnt(2)
	v_add_f64 v[0:1], v[0:1], v[10:11]
	v_xor_b32_e32 v10, 4, v14
	s_waitcnt lgkmcnt(0)
	v_add_f64 v[2:3], v[2:3], v[12:13]
	s_delay_alu instid0(VALU_DEP_2) | instskip(SKIP_1) | instid1(VALU_DEP_1)
	v_cmp_gt_i32_e32 vcc_lo, 32, v10
	v_cndmask_b32_e32 v10, v14, v10, vcc_lo
	v_lshlrev_b32_e32 v13, 2, v10
	ds_bpermute_b32 v10, v13, v0
	ds_bpermute_b32 v11, v13, v1
	ds_bpermute_b32 v12, v13, v2
	ds_bpermute_b32 v13, v13, v3
	s_waitcnt lgkmcnt(2)
	v_add_f64 v[0:1], v[0:1], v[10:11]
	v_xor_b32_e32 v10, 2, v14
	s_waitcnt lgkmcnt(0)
	v_add_f64 v[2:3], v[2:3], v[12:13]
	s_delay_alu instid0(VALU_DEP_2) | instskip(SKIP_1) | instid1(VALU_DEP_1)
	v_cmp_gt_i32_e32 vcc_lo, 32, v10
	v_cndmask_b32_e32 v10, v14, v10, vcc_lo
	v_lshlrev_b32_e32 v13, 2, v10
	ds_bpermute_b32 v10, v13, v0
	ds_bpermute_b32 v11, v13, v1
	;; [unrolled: 1-line block ×4, first 2 shown]
	s_waitcnt lgkmcnt(2)
	v_add_f64 v[0:1], v[0:1], v[10:11]
	v_xor_b32_e32 v10, 1, v14
	s_waitcnt lgkmcnt(0)
	v_add_f64 v[2:3], v[2:3], v[12:13]
	s_delay_alu instid0(VALU_DEP_2) | instskip(SKIP_2) | instid1(VALU_DEP_2)
	v_cmp_gt_i32_e32 vcc_lo, 32, v10
	v_cndmask_b32_e32 v10, v14, v10, vcc_lo
	v_cmp_eq_u32_e32 vcc_lo, 31, v20
	v_lshlrev_b32_e32 v13, 2, v10
	ds_bpermute_b32 v10, v13, v0
	ds_bpermute_b32 v11, v13, v1
	;; [unrolled: 1-line block ×4, first 2 shown]
	s_and_b32 exec_lo, exec_lo, vcc_lo
	s_cbranch_execz .LBB190_16
; %bb.13:
	v_cmp_neq_f64_e32 vcc_lo, 0, v[4:5]
	v_cmp_neq_f64_e64 s0, 0, v[6:7]
	s_waitcnt lgkmcnt(2)
	v_add_f64 v[0:1], v[0:1], v[10:11]
	s_waitcnt lgkmcnt(0)
	v_add_f64 v[2:3], v[2:3], v[12:13]
	v_lshlrev_b64 v[8:9], 4, v[8:9]
	s_delay_alu instid0(VALU_DEP_4) | instskip(NEXT) | instid1(SALU_CYCLE_1)
	s_or_b32 s1, vcc_lo, s0
	s_and_saveexec_b32 s0, s1
	s_cbranch_execz .LBB190_15
; %bb.14:
	s_delay_alu instid0(VALU_DEP_1) | instskip(NEXT) | instid1(VALU_DEP_2)
	v_add_co_u32 v10, vcc_lo, s4, v8
	v_add_co_ci_u32_e32 v11, vcc_lo, s5, v9, vcc_lo
	global_load_b128 v[10:13], v[10:11], off
	s_waitcnt vmcnt(0)
	v_fma_f64 v[0:1], v[4:5], v[10:11], v[0:1]
	v_fma_f64 v[2:3], v[6:7], v[10:11], v[2:3]
	s_delay_alu instid0(VALU_DEP_2) | instskip(NEXT) | instid1(VALU_DEP_2)
	v_fma_f64 v[0:1], -v[6:7], v[12:13], v[0:1]
	v_fma_f64 v[2:3], v[4:5], v[12:13], v[2:3]
.LBB190_15:
	s_or_b32 exec_lo, exec_lo, s0
	s_delay_alu instid0(VALU_DEP_1)
	v_add_co_u32 v4, vcc_lo, s4, v8
	v_add_co_ci_u32_e32 v5, vcc_lo, s5, v9, vcc_lo
	global_store_b128 v[4:5], v[0:3], off
.LBB190_16:
	s_nop 0
	s_sendmsg sendmsg(MSG_DEALLOC_VGPRS)
	s_endpgm
	.section	.rodata,"a",@progbits
	.p2align	6, 0x0
	.amdhsa_kernel _ZN9rocsparseL41csrmvn_lrb_medium_rows_warp_reduce_kernelILj256ELj32Eiid21rocsparse_complex_numIdES2_S2_EEvbT1_lPT2_S5_jNS_24const_host_device_scalarIT6_EEPKS3_PKS4_PKT3_PKT4_S8_PT5_21rocsparse_index_base_b
		.amdhsa_group_segment_fixed_size 4096
		.amdhsa_private_segment_fixed_size 0
		.amdhsa_kernarg_size 120
		.amdhsa_user_sgpr_count 15
		.amdhsa_user_sgpr_dispatch_ptr 1
		.amdhsa_user_sgpr_queue_ptr 0
		.amdhsa_user_sgpr_kernarg_segment_ptr 1
		.amdhsa_user_sgpr_dispatch_id 0
		.amdhsa_user_sgpr_private_segment_size 0
		.amdhsa_wavefront_size32 1
		.amdhsa_uses_dynamic_stack 0
		.amdhsa_enable_private_segment 0
		.amdhsa_system_sgpr_workgroup_id_x 1
		.amdhsa_system_sgpr_workgroup_id_y 0
		.amdhsa_system_sgpr_workgroup_id_z 0
		.amdhsa_system_sgpr_workgroup_info 0
		.amdhsa_system_vgpr_workitem_id 2
		.amdhsa_next_free_vgpr 30
		.amdhsa_next_free_sgpr 18
		.amdhsa_reserve_vcc 1
		.amdhsa_float_round_mode_32 0
		.amdhsa_float_round_mode_16_64 0
		.amdhsa_float_denorm_mode_32 3
		.amdhsa_float_denorm_mode_16_64 3
		.amdhsa_dx10_clamp 1
		.amdhsa_ieee_mode 1
		.amdhsa_fp16_overflow 0
		.amdhsa_workgroup_processor_mode 1
		.amdhsa_memory_ordered 1
		.amdhsa_forward_progress 0
		.amdhsa_shared_vgpr_count 0
		.amdhsa_exception_fp_ieee_invalid_op 0
		.amdhsa_exception_fp_denorm_src 0
		.amdhsa_exception_fp_ieee_div_zero 0
		.amdhsa_exception_fp_ieee_overflow 0
		.amdhsa_exception_fp_ieee_underflow 0
		.amdhsa_exception_fp_ieee_inexact 0
		.amdhsa_exception_int_div_zero 0
	.end_amdhsa_kernel
	.section	.text._ZN9rocsparseL41csrmvn_lrb_medium_rows_warp_reduce_kernelILj256ELj32Eiid21rocsparse_complex_numIdES2_S2_EEvbT1_lPT2_S5_jNS_24const_host_device_scalarIT6_EEPKS3_PKS4_PKT3_PKT4_S8_PT5_21rocsparse_index_base_b,"axG",@progbits,_ZN9rocsparseL41csrmvn_lrb_medium_rows_warp_reduce_kernelILj256ELj32Eiid21rocsparse_complex_numIdES2_S2_EEvbT1_lPT2_S5_jNS_24const_host_device_scalarIT6_EEPKS3_PKS4_PKT3_PKT4_S8_PT5_21rocsparse_index_base_b,comdat
.Lfunc_end190:
	.size	_ZN9rocsparseL41csrmvn_lrb_medium_rows_warp_reduce_kernelILj256ELj32Eiid21rocsparse_complex_numIdES2_S2_EEvbT1_lPT2_S5_jNS_24const_host_device_scalarIT6_EEPKS3_PKS4_PKT3_PKT4_S8_PT5_21rocsparse_index_base_b, .Lfunc_end190-_ZN9rocsparseL41csrmvn_lrb_medium_rows_warp_reduce_kernelILj256ELj32Eiid21rocsparse_complex_numIdES2_S2_EEvbT1_lPT2_S5_jNS_24const_host_device_scalarIT6_EEPKS3_PKS4_PKT3_PKT4_S8_PT5_21rocsparse_index_base_b
                                        ; -- End function
	.section	.AMDGPU.csdata,"",@progbits
; Kernel info:
; codeLenInByte = 1440
; NumSgprs: 20
; NumVgprs: 30
; ScratchSize: 0
; MemoryBound: 0
; FloatMode: 240
; IeeeMode: 1
; LDSByteSize: 4096 bytes/workgroup (compile time only)
; SGPRBlocks: 2
; VGPRBlocks: 3
; NumSGPRsForWavesPerEU: 20
; NumVGPRsForWavesPerEU: 30
; Occupancy: 16
; WaveLimiterHint : 1
; COMPUTE_PGM_RSRC2:SCRATCH_EN: 0
; COMPUTE_PGM_RSRC2:USER_SGPR: 15
; COMPUTE_PGM_RSRC2:TRAP_HANDLER: 0
; COMPUTE_PGM_RSRC2:TGID_X_EN: 1
; COMPUTE_PGM_RSRC2:TGID_Y_EN: 0
; COMPUTE_PGM_RSRC2:TGID_Z_EN: 0
; COMPUTE_PGM_RSRC2:TIDIG_COMP_CNT: 2
	.section	.text._ZN9rocsparseL41csrmvn_lrb_medium_rows_warp_reduce_kernelILj256ELj64Eiid21rocsparse_complex_numIdES2_S2_EEvbT1_lPT2_S5_jNS_24const_host_device_scalarIT6_EEPKS3_PKS4_PKT3_PKT4_S8_PT5_21rocsparse_index_base_b,"axG",@progbits,_ZN9rocsparseL41csrmvn_lrb_medium_rows_warp_reduce_kernelILj256ELj64Eiid21rocsparse_complex_numIdES2_S2_EEvbT1_lPT2_S5_jNS_24const_host_device_scalarIT6_EEPKS3_PKS4_PKT3_PKT4_S8_PT5_21rocsparse_index_base_b,comdat
	.globl	_ZN9rocsparseL41csrmvn_lrb_medium_rows_warp_reduce_kernelILj256ELj64Eiid21rocsparse_complex_numIdES2_S2_EEvbT1_lPT2_S5_jNS_24const_host_device_scalarIT6_EEPKS3_PKS4_PKT3_PKT4_S8_PT5_21rocsparse_index_base_b ; -- Begin function _ZN9rocsparseL41csrmvn_lrb_medium_rows_warp_reduce_kernelILj256ELj64Eiid21rocsparse_complex_numIdES2_S2_EEvbT1_lPT2_S5_jNS_24const_host_device_scalarIT6_EEPKS3_PKS4_PKT3_PKT4_S8_PT5_21rocsparse_index_base_b
	.p2align	8
	.type	_ZN9rocsparseL41csrmvn_lrb_medium_rows_warp_reduce_kernelILj256ELj64Eiid21rocsparse_complex_numIdES2_S2_EEvbT1_lPT2_S5_jNS_24const_host_device_scalarIT6_EEPKS3_PKS4_PKT3_PKT4_S8_PT5_21rocsparse_index_base_b,@function
_ZN9rocsparseL41csrmvn_lrb_medium_rows_warp_reduce_kernelILj256ELj64Eiid21rocsparse_complex_numIdES2_S2_EEvbT1_lPT2_S5_jNS_24const_host_device_scalarIT6_EEPKS3_PKS4_PKT3_PKT4_S8_PT5_21rocsparse_index_base_b: ; @_ZN9rocsparseL41csrmvn_lrb_medium_rows_warp_reduce_kernelILj256ELj64Eiid21rocsparse_complex_numIdES2_S2_EEvbT1_lPT2_S5_jNS_24const_host_device_scalarIT6_EEPKS3_PKS4_PKT3_PKT4_S8_PT5_21rocsparse_index_base_b
; %bb.0:
	s_clause 0x1
	s_load_b64 s[12:13], s[2:3], 0x70
	s_load_b128 s[4:7], s[2:3], 0x28
	s_load_b64 s[16:17], s[0:1], 0x4
	s_mov_b64 s[0:1], src_shared_base
	v_and_b32_e32 v10, 0x3ff, v0
	s_load_b128 s[8:11], s[2:3], 0x58
	v_bfe_u32 v2, v0, 10, 10
	v_bfe_u32 v0, v0, 20, 10
	s_waitcnt lgkmcnt(0)
	s_bitcmp1_b32 s13, 0
	s_cselect_b32 s0, -1, 0
	s_delay_alu instid0(SALU_CYCLE_1) | instskip(SKIP_4) | instid1(SALU_CYCLE_1)
	s_and_b32 vcc_lo, s0, exec_lo
	s_cselect_b32 s13, s1, s5
	s_lshr_b32 s14, s16, 16
	v_mov_b32_e32 v6, s13
	s_mul_i32 s14, s14, s17
	v_mul_lo_u32 v1, s14, v10
	s_delay_alu instid0(VALU_DEP_1) | instskip(SKIP_1) | instid1(VALU_DEP_2)
	v_mad_u32_u24 v1, v2, s17, v1
	v_dual_mov_b32 v2, s8 :: v_dual_mov_b32 v3, s9
	v_add_lshl_u32 v4, v1, v0, 3
	v_dual_mov_b32 v0, s4 :: v_dual_mov_b32 v1, s5
	s_delay_alu instid0(VALU_DEP_2)
	v_add_nc_u32_e32 v5, 0x800, v4
	ds_store_2addr_stride64_b64 v4, v[2:3], v[0:1] offset1:4
	v_dual_mov_b32 v2, s6 :: v_dual_mov_b32 v3, s7
	v_cndmask_b32_e64 v5, s4, v5, s0
	s_xor_b32 s6, s0, -1
	flat_load_b64 v[0:1], v[5:6]
	s_cbranch_vccnz .LBB191_2
; %bb.1:
	v_dual_mov_b32 v2, s4 :: v_dual_mov_b32 v3, s5
	flat_load_b64 v[2:3], v[2:3] offset:8
.LBB191_2:
	s_and_b32 s4, s0, exec_lo
	s_cselect_b32 s1, s1, s9
	v_cndmask_b32_e64 v4, s8, v4, s0
	v_dual_mov_b32 v5, s1 :: v_dual_mov_b32 v6, s10
	v_mov_b32_e32 v7, s11
	s_and_not1_b32 vcc_lo, exec_lo, s6
	flat_load_b64 v[4:5], v[4:5]
	s_cbranch_vccnz .LBB191_4
; %bb.3:
	v_dual_mov_b32 v6, s8 :: v_dual_mov_b32 v7, s9
	flat_load_b64 v[6:7], v[6:7] offset:8
.LBB191_4:
	s_waitcnt vmcnt(1) lgkmcnt(1)
	v_cmp_eq_f64_e32 vcc_lo, 0, v[0:1]
	v_cmp_eq_f64_e64 s0, 0, v[2:3]
	s_delay_alu instid0(VALU_DEP_1)
	s_and_b32 s4, vcc_lo, s0
	s_mov_b32 s0, -1
	s_and_saveexec_b32 s1, s4
	s_cbranch_execz .LBB191_6
; %bb.5:
	s_waitcnt vmcnt(0) lgkmcnt(0)
	v_cmp_neq_f64_e32 vcc_lo, 1.0, v[4:5]
	v_cmp_neq_f64_e64 s0, 0, v[6:7]
	s_delay_alu instid0(VALU_DEP_1) | instskip(NEXT) | instid1(SALU_CYCLE_1)
	s_or_b32 s0, vcc_lo, s0
	s_or_not1_b32 s0, s0, exec_lo
.LBB191_6:
	s_or_b32 exec_lo, exec_lo, s1
	s_and_saveexec_b32 s1, s0
	s_cbranch_execz .LBB191_16
; %bb.7:
	s_load_b64 s[0:1], s[2:3], 0x8
	v_lshrrev_b32_e32 v8, 6, v10
	s_delay_alu instid0(VALU_DEP_1) | instskip(NEXT) | instid1(VALU_DEP_1)
	v_lshl_or_b32 v8, s15, 2, v8
	v_ashrrev_i32_e32 v9, 31, v8
	s_waitcnt lgkmcnt(0)
	s_delay_alu instid0(VALU_DEP_1)
	v_cmp_gt_i64_e32 vcc_lo, s[0:1], v[8:9]
	s_and_b32 exec_lo, exec_lo, vcc_lo
	s_cbranch_execz .LBB191_16
; %bb.8:
	s_clause 0x1
	s_load_b32 s6, s[2:3], 0x20
	s_load_b128 s[8:11], s[2:3], 0x10
	s_mov_b32 s7, 0
	v_and_b32_e32 v20, 63, v10
	s_load_b64 s[4:5], s[2:3], 0x68
	s_delay_alu instid0(VALU_DEP_1)
	v_subrev_nc_u32_e32 v14, s12, v20
	s_waitcnt lgkmcnt(0)
	s_lshl_b64 s[0:1], s[6:7], 2
	s_mov_b32 s6, exec_lo
	s_add_u32 s0, s10, s0
	s_addc_u32 s1, s11, s1
	s_load_b32 s0, s[0:1], 0x0
	s_waitcnt lgkmcnt(0)
	v_add_nc_u32_e32 v8, s0, v8
	s_load_b64 s[0:1], s[2:3], 0x38
	s_delay_alu instid0(VALU_DEP_1) | instskip(NEXT) | instid1(VALU_DEP_1)
	v_ashrrev_i32_e32 v9, 31, v8
	v_lshlrev_b64 v[8:9], 2, v[8:9]
	s_delay_alu instid0(VALU_DEP_1) | instskip(NEXT) | instid1(VALU_DEP_2)
	v_add_co_u32 v8, vcc_lo, s8, v8
	v_add_co_ci_u32_e32 v9, vcc_lo, s9, v9, vcc_lo
	global_load_b32 v8, v[8:9], off
	s_waitcnt vmcnt(0)
	v_ashrrev_i32_e32 v9, 31, v8
	s_delay_alu instid0(VALU_DEP_1) | instskip(SKIP_1) | instid1(VALU_DEP_1)
	v_lshlrev_b64 v[11:12], 2, v[8:9]
	s_waitcnt lgkmcnt(0)
	v_add_co_u32 v11, vcc_lo, s0, v11
	s_delay_alu instid0(VALU_DEP_2)
	v_add_co_ci_u32_e32 v12, vcc_lo, s1, v12, vcc_lo
	global_load_b64 v[12:13], v[11:12], off
	v_mov_b32_e32 v10, 0
	v_mov_b32_e32 v11, 0
	s_waitcnt vmcnt(0)
	v_subrev_nc_u32_e32 v21, s12, v13
	s_delay_alu instid0(VALU_DEP_2) | instskip(SKIP_1) | instid1(VALU_DEP_2)
	v_dual_mov_b32 v13, v11 :: v_dual_add_nc_u32 v14, v12, v14
	v_mov_b32_e32 v12, v10
	v_cmpx_lt_i32_e64 v14, v21
	s_cbranch_execz .LBB191_12
; %bb.9:
	v_mul_f64 v[16:17], 0x80000000, v[2:3]
	v_mul_f64 v[18:19], v[0:1], 0
	s_clause 0x1
	s_load_b64 s[8:9], s[2:3], 0x50
	s_load_b128 s[0:3], s[2:3], 0x40
	v_mov_b32_e32 v10, 0
	v_mov_b32_e32 v11, 0
	s_delay_alu instid0(VALU_DEP_1)
	v_dual_mov_b32 v13, v11 :: v_dual_mov_b32 v12, v10
	s_set_inst_prefetch_distance 0x1
	.p2align	6
.LBB191_10:                             ; =>This Inner Loop Header: Depth=1
	v_ashrrev_i32_e32 v15, 31, v14
	s_delay_alu instid0(VALU_DEP_1) | instskip(SKIP_1) | instid1(VALU_DEP_1)
	v_lshlrev_b64 v[22:23], 2, v[14:15]
	s_waitcnt lgkmcnt(0)
	v_add_co_u32 v22, vcc_lo, s0, v22
	s_delay_alu instid0(VALU_DEP_2) | instskip(SKIP_3) | instid1(VALU_DEP_2)
	v_add_co_ci_u32_e32 v23, vcc_lo, s1, v23, vcc_lo
	global_load_b32 v24, v[22:23], off
	v_lshlrev_b64 v[22:23], 3, v[14:15]
	v_add_nc_u32_e32 v14, 64, v14
	v_add_co_u32 v22, vcc_lo, s2, v22
	s_delay_alu instid0(VALU_DEP_3) | instskip(SKIP_3) | instid1(VALU_DEP_1)
	v_add_co_ci_u32_e32 v23, vcc_lo, s3, v23, vcc_lo
	global_load_b64 v[26:27], v[22:23], off
	s_waitcnt vmcnt(1)
	v_subrev_nc_u32_e32 v22, s12, v24
	v_ashrrev_i32_e32 v23, 31, v22
	s_delay_alu instid0(VALU_DEP_1) | instskip(SKIP_3) | instid1(VALU_DEP_3)
	v_lshlrev_b64 v[22:23], 4, v[22:23]
	s_waitcnt vmcnt(0)
	v_fma_f64 v[28:29], v[0:1], v[26:27], v[16:17]
	v_fma_f64 v[26:27], v[2:3], v[26:27], v[18:19]
	v_add_co_u32 v22, vcc_lo, s8, v22
	s_delay_alu instid0(VALU_DEP_4)
	v_add_co_ci_u32_e32 v23, vcc_lo, s9, v23, vcc_lo
	v_cmp_ge_i32_e32 vcc_lo, v14, v21
	global_load_b128 v[22:25], v[22:23], off
	s_or_b32 s7, vcc_lo, s7
	s_waitcnt vmcnt(0)
	v_fma_f64 v[12:13], v[28:29], v[22:23], v[12:13]
	v_fma_f64 v[10:11], v[26:27], v[22:23], v[10:11]
	s_delay_alu instid0(VALU_DEP_2) | instskip(NEXT) | instid1(VALU_DEP_2)
	v_fma_f64 v[12:13], -v[26:27], v[24:25], v[12:13]
	v_fma_f64 v[10:11], v[28:29], v[24:25], v[10:11]
	s_and_not1_b32 exec_lo, exec_lo, s7
	s_cbranch_execnz .LBB191_10
; %bb.11:
	s_set_inst_prefetch_distance 0x2
	s_or_b32 exec_lo, exec_lo, s7
.LBB191_12:
	s_delay_alu instid0(SALU_CYCLE_1) | instskip(SKIP_1) | instid1(VALU_DEP_1)
	s_or_b32 exec_lo, exec_lo, s6
	v_mbcnt_lo_u32_b32 v14, -1, 0
	v_or_b32_e32 v0, 32, v14
	s_delay_alu instid0(VALU_DEP_1) | instskip(SKIP_1) | instid1(VALU_DEP_1)
	v_cmp_gt_i32_e32 vcc_lo, 32, v0
	v_cndmask_b32_e32 v0, v14, v0, vcc_lo
	v_lshlrev_b32_e32 v3, 2, v0
	ds_bpermute_b32 v0, v3, v12
	ds_bpermute_b32 v1, v3, v13
	;; [unrolled: 1-line block ×4, first 2 shown]
	s_waitcnt lgkmcnt(2)
	v_add_f64 v[0:1], v[12:13], v[0:1]
	s_waitcnt lgkmcnt(0)
	v_add_f64 v[2:3], v[10:11], v[2:3]
	v_xor_b32_e32 v10, 16, v14
	s_delay_alu instid0(VALU_DEP_1) | instskip(SKIP_1) | instid1(VALU_DEP_1)
	v_cmp_gt_i32_e32 vcc_lo, 32, v10
	v_cndmask_b32_e32 v10, v14, v10, vcc_lo
	v_lshlrev_b32_e32 v13, 2, v10
	ds_bpermute_b32 v10, v13, v0
	ds_bpermute_b32 v11, v13, v1
	ds_bpermute_b32 v12, v13, v2
	ds_bpermute_b32 v13, v13, v3
	s_waitcnt lgkmcnt(2)
	v_add_f64 v[0:1], v[0:1], v[10:11]
	v_xor_b32_e32 v10, 8, v14
	s_waitcnt lgkmcnt(0)
	v_add_f64 v[2:3], v[2:3], v[12:13]
	s_delay_alu instid0(VALU_DEP_2) | instskip(SKIP_1) | instid1(VALU_DEP_1)
	v_cmp_gt_i32_e32 vcc_lo, 32, v10
	v_cndmask_b32_e32 v10, v14, v10, vcc_lo
	v_lshlrev_b32_e32 v13, 2, v10
	ds_bpermute_b32 v10, v13, v0
	ds_bpermute_b32 v11, v13, v1
	ds_bpermute_b32 v12, v13, v2
	ds_bpermute_b32 v13, v13, v3
	s_waitcnt lgkmcnt(2)
	v_add_f64 v[0:1], v[0:1], v[10:11]
	v_xor_b32_e32 v10, 4, v14
	s_waitcnt lgkmcnt(0)
	v_add_f64 v[2:3], v[2:3], v[12:13]
	s_delay_alu instid0(VALU_DEP_2) | instskip(SKIP_1) | instid1(VALU_DEP_1)
	;; [unrolled: 13-line block ×3, first 2 shown]
	v_cmp_gt_i32_e32 vcc_lo, 32, v10
	v_cndmask_b32_e32 v10, v14, v10, vcc_lo
	v_lshlrev_b32_e32 v13, 2, v10
	ds_bpermute_b32 v10, v13, v0
	ds_bpermute_b32 v11, v13, v1
	;; [unrolled: 1-line block ×4, first 2 shown]
	s_waitcnt lgkmcnt(2)
	v_add_f64 v[0:1], v[0:1], v[10:11]
	v_xor_b32_e32 v10, 1, v14
	s_waitcnt lgkmcnt(0)
	v_add_f64 v[2:3], v[2:3], v[12:13]
	s_delay_alu instid0(VALU_DEP_2) | instskip(SKIP_2) | instid1(VALU_DEP_2)
	v_cmp_gt_i32_e32 vcc_lo, 32, v10
	v_cndmask_b32_e32 v10, v14, v10, vcc_lo
	v_cmp_eq_u32_e32 vcc_lo, 63, v20
	v_lshlrev_b32_e32 v13, 2, v10
	ds_bpermute_b32 v10, v13, v0
	ds_bpermute_b32 v11, v13, v1
	;; [unrolled: 1-line block ×4, first 2 shown]
	s_and_b32 exec_lo, exec_lo, vcc_lo
	s_cbranch_execz .LBB191_16
; %bb.13:
	v_cmp_neq_f64_e32 vcc_lo, 0, v[4:5]
	v_cmp_neq_f64_e64 s0, 0, v[6:7]
	s_waitcnt lgkmcnt(2)
	v_add_f64 v[0:1], v[0:1], v[10:11]
	s_waitcnt lgkmcnt(0)
	v_add_f64 v[2:3], v[2:3], v[12:13]
	v_lshlrev_b64 v[8:9], 4, v[8:9]
	s_delay_alu instid0(VALU_DEP_4) | instskip(NEXT) | instid1(SALU_CYCLE_1)
	s_or_b32 s1, vcc_lo, s0
	s_and_saveexec_b32 s0, s1
	s_cbranch_execz .LBB191_15
; %bb.14:
	s_delay_alu instid0(VALU_DEP_1) | instskip(NEXT) | instid1(VALU_DEP_2)
	v_add_co_u32 v10, vcc_lo, s4, v8
	v_add_co_ci_u32_e32 v11, vcc_lo, s5, v9, vcc_lo
	global_load_b128 v[10:13], v[10:11], off
	s_waitcnt vmcnt(0)
	v_fma_f64 v[0:1], v[4:5], v[10:11], v[0:1]
	v_fma_f64 v[2:3], v[6:7], v[10:11], v[2:3]
	s_delay_alu instid0(VALU_DEP_2) | instskip(NEXT) | instid1(VALU_DEP_2)
	v_fma_f64 v[0:1], -v[6:7], v[12:13], v[0:1]
	v_fma_f64 v[2:3], v[4:5], v[12:13], v[2:3]
.LBB191_15:
	s_or_b32 exec_lo, exec_lo, s0
	s_delay_alu instid0(VALU_DEP_1)
	v_add_co_u32 v4, vcc_lo, s4, v8
	v_add_co_ci_u32_e32 v5, vcc_lo, s5, v9, vcc_lo
	global_store_b128 v[4:5], v[0:3], off
.LBB191_16:
	s_nop 0
	s_sendmsg sendmsg(MSG_DEALLOC_VGPRS)
	s_endpgm
	.section	.rodata,"a",@progbits
	.p2align	6, 0x0
	.amdhsa_kernel _ZN9rocsparseL41csrmvn_lrb_medium_rows_warp_reduce_kernelILj256ELj64Eiid21rocsparse_complex_numIdES2_S2_EEvbT1_lPT2_S5_jNS_24const_host_device_scalarIT6_EEPKS3_PKS4_PKT3_PKT4_S8_PT5_21rocsparse_index_base_b
		.amdhsa_group_segment_fixed_size 4096
		.amdhsa_private_segment_fixed_size 0
		.amdhsa_kernarg_size 120
		.amdhsa_user_sgpr_count 15
		.amdhsa_user_sgpr_dispatch_ptr 1
		.amdhsa_user_sgpr_queue_ptr 0
		.amdhsa_user_sgpr_kernarg_segment_ptr 1
		.amdhsa_user_sgpr_dispatch_id 0
		.amdhsa_user_sgpr_private_segment_size 0
		.amdhsa_wavefront_size32 1
		.amdhsa_uses_dynamic_stack 0
		.amdhsa_enable_private_segment 0
		.amdhsa_system_sgpr_workgroup_id_x 1
		.amdhsa_system_sgpr_workgroup_id_y 0
		.amdhsa_system_sgpr_workgroup_id_z 0
		.amdhsa_system_sgpr_workgroup_info 0
		.amdhsa_system_vgpr_workitem_id 2
		.amdhsa_next_free_vgpr 30
		.amdhsa_next_free_sgpr 18
		.amdhsa_reserve_vcc 1
		.amdhsa_float_round_mode_32 0
		.amdhsa_float_round_mode_16_64 0
		.amdhsa_float_denorm_mode_32 3
		.amdhsa_float_denorm_mode_16_64 3
		.amdhsa_dx10_clamp 1
		.amdhsa_ieee_mode 1
		.amdhsa_fp16_overflow 0
		.amdhsa_workgroup_processor_mode 1
		.amdhsa_memory_ordered 1
		.amdhsa_forward_progress 0
		.amdhsa_shared_vgpr_count 0
		.amdhsa_exception_fp_ieee_invalid_op 0
		.amdhsa_exception_fp_denorm_src 0
		.amdhsa_exception_fp_ieee_div_zero 0
		.amdhsa_exception_fp_ieee_overflow 0
		.amdhsa_exception_fp_ieee_underflow 0
		.amdhsa_exception_fp_ieee_inexact 0
		.amdhsa_exception_int_div_zero 0
	.end_amdhsa_kernel
	.section	.text._ZN9rocsparseL41csrmvn_lrb_medium_rows_warp_reduce_kernelILj256ELj64Eiid21rocsparse_complex_numIdES2_S2_EEvbT1_lPT2_S5_jNS_24const_host_device_scalarIT6_EEPKS3_PKS4_PKT3_PKT4_S8_PT5_21rocsparse_index_base_b,"axG",@progbits,_ZN9rocsparseL41csrmvn_lrb_medium_rows_warp_reduce_kernelILj256ELj64Eiid21rocsparse_complex_numIdES2_S2_EEvbT1_lPT2_S5_jNS_24const_host_device_scalarIT6_EEPKS3_PKS4_PKT3_PKT4_S8_PT5_21rocsparse_index_base_b,comdat
.Lfunc_end191:
	.size	_ZN9rocsparseL41csrmvn_lrb_medium_rows_warp_reduce_kernelILj256ELj64Eiid21rocsparse_complex_numIdES2_S2_EEvbT1_lPT2_S5_jNS_24const_host_device_scalarIT6_EEPKS3_PKS4_PKT3_PKT4_S8_PT5_21rocsparse_index_base_b, .Lfunc_end191-_ZN9rocsparseL41csrmvn_lrb_medium_rows_warp_reduce_kernelILj256ELj64Eiid21rocsparse_complex_numIdES2_S2_EEvbT1_lPT2_S5_jNS_24const_host_device_scalarIT6_EEPKS3_PKS4_PKT3_PKT4_S8_PT5_21rocsparse_index_base_b
                                        ; -- End function
	.section	.AMDGPU.csdata,"",@progbits
; Kernel info:
; codeLenInByte = 1516
; NumSgprs: 20
; NumVgprs: 30
; ScratchSize: 0
; MemoryBound: 0
; FloatMode: 240
; IeeeMode: 1
; LDSByteSize: 4096 bytes/workgroup (compile time only)
; SGPRBlocks: 2
; VGPRBlocks: 3
; NumSGPRsForWavesPerEU: 20
; NumVGPRsForWavesPerEU: 30
; Occupancy: 16
; WaveLimiterHint : 1
; COMPUTE_PGM_RSRC2:SCRATCH_EN: 0
; COMPUTE_PGM_RSRC2:USER_SGPR: 15
; COMPUTE_PGM_RSRC2:TRAP_HANDLER: 0
; COMPUTE_PGM_RSRC2:TGID_X_EN: 1
; COMPUTE_PGM_RSRC2:TGID_Y_EN: 0
; COMPUTE_PGM_RSRC2:TGID_Z_EN: 0
; COMPUTE_PGM_RSRC2:TIDIG_COMP_CNT: 2
	.section	.text._ZN9rocsparseL29csrmvn_lrb_medium_rows_kernelILj256Eiid21rocsparse_complex_numIdES2_S2_EEvbT0_PT1_S5_jNS_24const_host_device_scalarIT5_EEPKS3_PKS4_PKT2_PKT3_S8_PT4_21rocsparse_index_base_b,"axG",@progbits,_ZN9rocsparseL29csrmvn_lrb_medium_rows_kernelILj256Eiid21rocsparse_complex_numIdES2_S2_EEvbT0_PT1_S5_jNS_24const_host_device_scalarIT5_EEPKS3_PKS4_PKT2_PKT3_S8_PT4_21rocsparse_index_base_b,comdat
	.globl	_ZN9rocsparseL29csrmvn_lrb_medium_rows_kernelILj256Eiid21rocsparse_complex_numIdES2_S2_EEvbT0_PT1_S5_jNS_24const_host_device_scalarIT5_EEPKS3_PKS4_PKT2_PKT3_S8_PT4_21rocsparse_index_base_b ; -- Begin function _ZN9rocsparseL29csrmvn_lrb_medium_rows_kernelILj256Eiid21rocsparse_complex_numIdES2_S2_EEvbT0_PT1_S5_jNS_24const_host_device_scalarIT5_EEPKS3_PKS4_PKT2_PKT3_S8_PT4_21rocsparse_index_base_b
	.p2align	8
	.type	_ZN9rocsparseL29csrmvn_lrb_medium_rows_kernelILj256Eiid21rocsparse_complex_numIdES2_S2_EEvbT0_PT1_S5_jNS_24const_host_device_scalarIT5_EEPKS3_PKS4_PKT2_PKT3_S8_PT4_21rocsparse_index_base_b,@function
_ZN9rocsparseL29csrmvn_lrb_medium_rows_kernelILj256Eiid21rocsparse_complex_numIdES2_S2_EEvbT0_PT1_S5_jNS_24const_host_device_scalarIT5_EEPKS3_PKS4_PKT2_PKT3_S8_PT4_21rocsparse_index_base_b: ; @_ZN9rocsparseL29csrmvn_lrb_medium_rows_kernelILj256Eiid21rocsparse_complex_numIdES2_S2_EEvbT0_PT1_S5_jNS_24const_host_device_scalarIT5_EEPKS3_PKS4_PKT2_PKT3_S8_PT4_21rocsparse_index_base_b
; %bb.0:
	s_clause 0x1
	s_load_b64 s[12:13], s[2:3], 0x68
	s_load_b128 s[4:7], s[2:3], 0x20
	s_load_b64 s[16:17], s[0:1], 0x4
	s_mov_b64 s[0:1], src_shared_base
	v_and_b32_e32 v18, 0x3ff, v0
	s_load_b128 s[8:11], s[2:3], 0x50
	v_bfe_u32 v2, v0, 10, 10
	v_bfe_u32 v0, v0, 20, 10
	s_waitcnt lgkmcnt(0)
	s_bitcmp1_b32 s13, 0
	v_mov_b32_e32 v11, s7
	s_cselect_b32 s0, -1, 0
	v_mov_b32_e32 v10, s6
	s_and_b32 vcc_lo, s0, exec_lo
	s_cselect_b32 s13, s1, s5
	s_lshr_b32 s14, s16, 16
	s_xor_b32 s6, s0, -1
	s_mul_i32 s14, s14, s17
	v_mov_b32_e32 v5, s13
	v_mul_lo_u32 v1, s14, v18
	s_delay_alu instid0(VALU_DEP_1) | instskip(SKIP_1) | instid1(VALU_DEP_2)
	v_mad_u32_u24 v1, v2, s17, v1
	v_dual_mov_b32 v2, s8 :: v_dual_mov_b32 v3, s9
	v_add_lshl_u32 v6, v1, v0, 3
	v_dual_mov_b32 v0, s4 :: v_dual_mov_b32 v1, s5
	s_delay_alu instid0(VALU_DEP_2)
	v_add_nc_u32_e32 v4, 0x1800, v6
	ds_store_2addr_stride64_b64 v6, v[2:3], v[0:1] offset0:8 offset1:12
	v_add_nc_u32_e32 v0, 0x1000, v6
	v_cndmask_b32_e64 v4, s4, v4, s0
	flat_load_b64 v[8:9], v[4:5]
	s_cbranch_vccnz .LBB192_2
; %bb.1:
	v_dual_mov_b32 v1, s4 :: v_dual_mov_b32 v2, s5
	flat_load_b64 v[10:11], v[1:2] offset:8
.LBB192_2:
	s_and_b32 s4, s0, exec_lo
	s_cselect_b32 s1, s1, s9
	v_cndmask_b32_e64 v0, s8, v0, s0
	v_dual_mov_b32 v1, s1 :: v_dual_mov_b32 v6, s10
	v_mov_b32_e32 v7, s11
	s_and_not1_b32 vcc_lo, exec_lo, s6
	flat_load_b64 v[4:5], v[0:1]
	s_cbranch_vccnz .LBB192_4
; %bb.3:
	v_dual_mov_b32 v0, s8 :: v_dual_mov_b32 v1, s9
	flat_load_b64 v[6:7], v[0:1] offset:8
.LBB192_4:
	s_waitcnt vmcnt(1) lgkmcnt(1)
	v_cmp_eq_f64_e32 vcc_lo, 0, v[8:9]
	v_cmp_eq_f64_e64 s0, 0, v[10:11]
	s_delay_alu instid0(VALU_DEP_1)
	s_and_b32 s4, vcc_lo, s0
	s_mov_b32 s0, -1
	s_and_saveexec_b32 s1, s4
	s_cbranch_execz .LBB192_6
; %bb.5:
	s_waitcnt vmcnt(0) lgkmcnt(0)
	v_cmp_neq_f64_e32 vcc_lo, 1.0, v[4:5]
	v_cmp_neq_f64_e64 s0, 0, v[6:7]
	s_delay_alu instid0(VALU_DEP_1) | instskip(NEXT) | instid1(SALU_CYCLE_1)
	s_or_b32 s0, vcc_lo, s0
	s_or_not1_b32 s0, s0, exec_lo
.LBB192_6:
	s_or_b32 exec_lo, exec_lo, s1
	s_and_saveexec_b32 s1, s0
	s_cbranch_execz .LBB192_31
; %bb.7:
	s_clause 0x1
	s_load_b32 s8, s[2:3], 0x18
	s_load_b128 s[4:7], s[2:3], 0x8
	s_mov_b32 s9, 0
	v_mov_b32_e32 v2, 0
	v_subrev_nc_u32_e32 v0, s12, v18
	s_waitcnt lgkmcnt(0)
	s_lshl_b64 s[0:1], s[8:9], 2
	s_mov_b32 s8, exec_lo
	s_add_u32 s0, s6, s0
	s_addc_u32 s1, s7, s1
	s_load_b32 s0, s[0:1], 0x0
	s_waitcnt lgkmcnt(0)
	s_add_i32 s0, s0, s15
	s_delay_alu instid0(SALU_CYCLE_1) | instskip(NEXT) | instid1(SALU_CYCLE_1)
	s_ashr_i32 s1, s0, 31
	s_lshl_b64 s[0:1], s[0:1], 2
	s_delay_alu instid0(SALU_CYCLE_1)
	s_add_u32 s0, s4, s0
	s_addc_u32 s1, s5, s1
	s_load_b32 s4, s[0:1], 0x0
	s_load_b64 s[0:1], s[2:3], 0x30
	s_waitcnt lgkmcnt(0)
	s_ashr_i32 s5, s4, 31
	s_delay_alu instid0(SALU_CYCLE_1) | instskip(NEXT) | instid1(SALU_CYCLE_1)
	s_lshl_b64 s[6:7], s[4:5], 2
	s_add_u32 s0, s0, s6
	s_addc_u32 s1, s1, s7
	s_load_b64 s[0:1], s[0:1], 0x0
	s_load_b64 s[6:7], s[2:3], 0x60
	s_waitcnt lgkmcnt(0)
	v_dual_mov_b32 v3, 0 :: v_dual_add_nc_u32 v12, s0, v0
	s_delay_alu instid0(VALU_DEP_1)
	v_dual_mov_b32 v0, v2 :: v_dual_mov_b32 v1, v3
	s_sub_i32 s13, s1, s12
	s_delay_alu instid0(VALU_DEP_2) | instid1(SALU_CYCLE_1)
	v_cmpx_gt_i32_e64 s13, v12
	s_cbranch_execz .LBB192_11
; %bb.8:
	v_mul_f64 v[14:15], 0x80000000, v[10:11]
	v_mul_f64 v[16:17], v[8:9], 0
	s_clause 0x1
	s_load_b64 s[10:11], s[2:3], 0x48
	s_load_b128 s[0:3], s[2:3], 0x38
	v_mov_b32_e32 v2, 0
	v_mov_b32_e32 v3, 0
	s_delay_alu instid0(VALU_DEP_1)
	v_dual_mov_b32 v0, v2 :: v_dual_mov_b32 v1, v3
	s_set_inst_prefetch_distance 0x1
	.p2align	6
.LBB192_9:                              ; =>This Inner Loop Header: Depth=1
	v_ashrrev_i32_e32 v13, 31, v12
	s_delay_alu instid0(VALU_DEP_1) | instskip(SKIP_1) | instid1(VALU_DEP_1)
	v_lshlrev_b64 v[19:20], 2, v[12:13]
	s_waitcnt lgkmcnt(0)
	v_add_co_u32 v19, vcc_lo, s0, v19
	s_delay_alu instid0(VALU_DEP_2) | instskip(SKIP_3) | instid1(VALU_DEP_2)
	v_add_co_ci_u32_e32 v20, vcc_lo, s1, v20, vcc_lo
	global_load_b32 v21, v[19:20], off
	v_lshlrev_b64 v[19:20], 3, v[12:13]
	v_add_nc_u32_e32 v12, 0x100, v12
	v_add_co_u32 v19, vcc_lo, s2, v19
	s_delay_alu instid0(VALU_DEP_3) | instskip(SKIP_3) | instid1(VALU_DEP_1)
	v_add_co_ci_u32_e32 v20, vcc_lo, s3, v20, vcc_lo
	global_load_b64 v[23:24], v[19:20], off
	s_waitcnt vmcnt(1)
	v_subrev_nc_u32_e32 v19, s12, v21
	v_ashrrev_i32_e32 v20, 31, v19
	s_delay_alu instid0(VALU_DEP_1) | instskip(SKIP_3) | instid1(VALU_DEP_3)
	v_lshlrev_b64 v[19:20], 4, v[19:20]
	s_waitcnt vmcnt(0)
	v_fma_f64 v[25:26], v[8:9], v[23:24], v[14:15]
	v_fma_f64 v[23:24], v[10:11], v[23:24], v[16:17]
	v_add_co_u32 v19, vcc_lo, s10, v19
	s_delay_alu instid0(VALU_DEP_4)
	v_add_co_ci_u32_e32 v20, vcc_lo, s11, v20, vcc_lo
	v_cmp_le_i32_e32 vcc_lo, s13, v12
	global_load_b128 v[19:22], v[19:20], off
	s_or_b32 s9, vcc_lo, s9
	s_waitcnt vmcnt(0)
	v_fma_f64 v[0:1], v[25:26], v[19:20], v[0:1]
	v_fma_f64 v[2:3], v[23:24], v[19:20], v[2:3]
	s_delay_alu instid0(VALU_DEP_2) | instskip(NEXT) | instid1(VALU_DEP_2)
	v_fma_f64 v[0:1], -v[23:24], v[21:22], v[0:1]
	v_fma_f64 v[2:3], v[25:26], v[21:22], v[2:3]
	s_and_not1_b32 exec_lo, exec_lo, s9
	s_cbranch_execnz .LBB192_9
; %bb.10:
	s_set_inst_prefetch_distance 0x2
	s_or_b32 exec_lo, exec_lo, s9
.LBB192_11:
	s_delay_alu instid0(SALU_CYCLE_1)
	s_or_b32 exec_lo, exec_lo, s8
	v_lshlrev_b32_e32 v8, 4, v18
	s_mov_b32 s0, exec_lo
	ds_store_b128 v8, v[0:3]
	s_waitcnt vmcnt(0) lgkmcnt(0)
	s_barrier
	buffer_gl0_inv
	v_cmpx_gt_u32_e32 0x80, v18
	s_cbranch_execz .LBB192_13
; %bb.12:
	ds_load_b128 v[0:3], v8 offset:2048
	ds_load_b128 v[9:12], v8
	s_waitcnt lgkmcnt(0)
	v_add_f64 v[0:1], v[0:1], v[9:10]
	v_add_f64 v[2:3], v[2:3], v[11:12]
	ds_store_b128 v8, v[0:3]
.LBB192_13:
	s_or_b32 exec_lo, exec_lo, s0
	s_delay_alu instid0(SALU_CYCLE_1)
	s_mov_b32 s0, exec_lo
	s_waitcnt lgkmcnt(0)
	s_barrier
	buffer_gl0_inv
	v_cmpx_gt_u32_e32 64, v18
	s_cbranch_execz .LBB192_15
; %bb.14:
	ds_load_b128 v[0:3], v8 offset:1024
	ds_load_b128 v[9:12], v8
	s_waitcnt lgkmcnt(0)
	v_add_f64 v[0:1], v[0:1], v[9:10]
	v_add_f64 v[2:3], v[2:3], v[11:12]
	ds_store_b128 v8, v[0:3]
.LBB192_15:
	s_or_b32 exec_lo, exec_lo, s0
	s_delay_alu instid0(SALU_CYCLE_1)
	s_mov_b32 s0, exec_lo
	s_waitcnt lgkmcnt(0)
	;; [unrolled: 16-line block ×6, first 2 shown]
	s_barrier
	buffer_gl0_inv
	v_cmpx_gt_u32_e32 2, v18
	s_cbranch_execz .LBB192_25
; %bb.24:
	ds_load_b128 v[0:3], v8
	ds_load_b128 v[9:12], v8 offset:32
	s_waitcnt lgkmcnt(0)
	v_add_f64 v[0:1], v[9:10], v[0:1]
	v_add_f64 v[2:3], v[11:12], v[2:3]
	ds_store_b128 v8, v[0:3]
.LBB192_25:
	s_or_b32 exec_lo, exec_lo, s0
	v_cmp_eq_u32_e32 vcc_lo, 0, v18
	s_waitcnt lgkmcnt(0)
	s_barrier
	buffer_gl0_inv
	s_and_saveexec_b32 s0, vcc_lo
	s_cbranch_execz .LBB192_27
; %bb.26:
	v_mov_b32_e32 v12, 0
	ds_load_b128 v[0:3], v12
	ds_load_b128 v[8:11], v12 offset:16
	s_waitcnt lgkmcnt(0)
	v_add_f64 v[0:1], v[8:9], v[0:1]
	v_add_f64 v[2:3], v[10:11], v[2:3]
	ds_store_b128 v12, v[0:3]
.LBB192_27:
	s_or_b32 exec_lo, exec_lo, s0
	s_waitcnt lgkmcnt(0)
	s_barrier
	buffer_gl0_inv
	s_and_b32 exec_lo, exec_lo, vcc_lo
	s_cbranch_execz .LBB192_31
; %bb.28:
	v_cmp_neq_f64_e32 vcc_lo, 0, v[4:5]
	v_cmp_neq_f64_e64 s0, 0, v[6:7]
	v_mov_b32_e32 v8, 0
	ds_load_b128 v[0:3], v8
	s_or_b32 s1, vcc_lo, s0
	s_delay_alu instid0(SALU_CYCLE_1)
	s_and_saveexec_b32 s0, s1
	s_cbranch_execz .LBB192_30
; %bb.29:
	s_lshl_b64 s[2:3], s[4:5], 4
	s_delay_alu instid0(SALU_CYCLE_1)
	s_add_u32 s2, s6, s2
	s_addc_u32 s3, s7, s3
	s_load_b128 s[8:11], s[2:3], 0x0
	s_waitcnt lgkmcnt(0)
	v_fma_f64 v[0:1], v[4:5], s[8:9], v[0:1]
	v_fma_f64 v[2:3], v[6:7], s[8:9], v[2:3]
	s_delay_alu instid0(VALU_DEP_2) | instskip(NEXT) | instid1(VALU_DEP_2)
	v_fma_f64 v[0:1], -v[6:7], s[10:11], v[0:1]
	v_fma_f64 v[2:3], v[4:5], s[10:11], v[2:3]
.LBB192_30:
	s_or_b32 exec_lo, exec_lo, s0
	s_lshl_b64 s[0:1], s[4:5], 4
	s_delay_alu instid0(SALU_CYCLE_1)
	s_add_u32 s0, s6, s0
	s_addc_u32 s1, s7, s1
	s_waitcnt lgkmcnt(0)
	global_store_b128 v8, v[0:3], s[0:1]
.LBB192_31:
	s_nop 0
	s_sendmsg sendmsg(MSG_DEALLOC_VGPRS)
	s_endpgm
	.section	.rodata,"a",@progbits
	.p2align	6, 0x0
	.amdhsa_kernel _ZN9rocsparseL29csrmvn_lrb_medium_rows_kernelILj256Eiid21rocsparse_complex_numIdES2_S2_EEvbT0_PT1_S5_jNS_24const_host_device_scalarIT5_EEPKS3_PKS4_PKT2_PKT3_S8_PT4_21rocsparse_index_base_b
		.amdhsa_group_segment_fixed_size 8192
		.amdhsa_private_segment_fixed_size 0
		.amdhsa_kernarg_size 112
		.amdhsa_user_sgpr_count 15
		.amdhsa_user_sgpr_dispatch_ptr 1
		.amdhsa_user_sgpr_queue_ptr 0
		.amdhsa_user_sgpr_kernarg_segment_ptr 1
		.amdhsa_user_sgpr_dispatch_id 0
		.amdhsa_user_sgpr_private_segment_size 0
		.amdhsa_wavefront_size32 1
		.amdhsa_uses_dynamic_stack 0
		.amdhsa_enable_private_segment 0
		.amdhsa_system_sgpr_workgroup_id_x 1
		.amdhsa_system_sgpr_workgroup_id_y 0
		.amdhsa_system_sgpr_workgroup_id_z 0
		.amdhsa_system_sgpr_workgroup_info 0
		.amdhsa_system_vgpr_workitem_id 2
		.amdhsa_next_free_vgpr 27
		.amdhsa_next_free_sgpr 18
		.amdhsa_reserve_vcc 1
		.amdhsa_float_round_mode_32 0
		.amdhsa_float_round_mode_16_64 0
		.amdhsa_float_denorm_mode_32 3
		.amdhsa_float_denorm_mode_16_64 3
		.amdhsa_dx10_clamp 1
		.amdhsa_ieee_mode 1
		.amdhsa_fp16_overflow 0
		.amdhsa_workgroup_processor_mode 1
		.amdhsa_memory_ordered 1
		.amdhsa_forward_progress 0
		.amdhsa_shared_vgpr_count 0
		.amdhsa_exception_fp_ieee_invalid_op 0
		.amdhsa_exception_fp_denorm_src 0
		.amdhsa_exception_fp_ieee_div_zero 0
		.amdhsa_exception_fp_ieee_overflow 0
		.amdhsa_exception_fp_ieee_underflow 0
		.amdhsa_exception_fp_ieee_inexact 0
		.amdhsa_exception_int_div_zero 0
	.end_amdhsa_kernel
	.section	.text._ZN9rocsparseL29csrmvn_lrb_medium_rows_kernelILj256Eiid21rocsparse_complex_numIdES2_S2_EEvbT0_PT1_S5_jNS_24const_host_device_scalarIT5_EEPKS3_PKS4_PKT2_PKT3_S8_PT4_21rocsparse_index_base_b,"axG",@progbits,_ZN9rocsparseL29csrmvn_lrb_medium_rows_kernelILj256Eiid21rocsparse_complex_numIdES2_S2_EEvbT0_PT1_S5_jNS_24const_host_device_scalarIT5_EEPKS3_PKS4_PKT2_PKT3_S8_PT4_21rocsparse_index_base_b,comdat
.Lfunc_end192:
	.size	_ZN9rocsparseL29csrmvn_lrb_medium_rows_kernelILj256Eiid21rocsparse_complex_numIdES2_S2_EEvbT0_PT1_S5_jNS_24const_host_device_scalarIT5_EEPKS3_PKS4_PKT2_PKT3_S8_PT4_21rocsparse_index_base_b, .Lfunc_end192-_ZN9rocsparseL29csrmvn_lrb_medium_rows_kernelILj256Eiid21rocsparse_complex_numIdES2_S2_EEvbT0_PT1_S5_jNS_24const_host_device_scalarIT5_EEPKS3_PKS4_PKT2_PKT3_S8_PT4_21rocsparse_index_base_b
                                        ; -- End function
	.section	.AMDGPU.csdata,"",@progbits
; Kernel info:
; codeLenInByte = 1656
; NumSgprs: 20
; NumVgprs: 27
; ScratchSize: 0
; MemoryBound: 0
; FloatMode: 240
; IeeeMode: 1
; LDSByteSize: 8192 bytes/workgroup (compile time only)
; SGPRBlocks: 2
; VGPRBlocks: 3
; NumSGPRsForWavesPerEU: 20
; NumVGPRsForWavesPerEU: 27
; Occupancy: 16
; WaveLimiterHint : 1
; COMPUTE_PGM_RSRC2:SCRATCH_EN: 0
; COMPUTE_PGM_RSRC2:USER_SGPR: 15
; COMPUTE_PGM_RSRC2:TRAP_HANDLER: 0
; COMPUTE_PGM_RSRC2:TGID_X_EN: 1
; COMPUTE_PGM_RSRC2:TGID_Y_EN: 0
; COMPUTE_PGM_RSRC2:TGID_Z_EN: 0
; COMPUTE_PGM_RSRC2:TIDIG_COMP_CNT: 2
	.section	.text._ZN9rocsparseL27csrmvn_lrb_long_rows_kernelIiid21rocsparse_complex_numIdES2_S2_EEvbT_PjPT0_S6_jNS_24const_host_device_scalarIT4_EEPKS3_PKS5_PKT1_PKT2_S9_PT3_21rocsparse_index_base_b,"axG",@progbits,_ZN9rocsparseL27csrmvn_lrb_long_rows_kernelIiid21rocsparse_complex_numIdES2_S2_EEvbT_PjPT0_S6_jNS_24const_host_device_scalarIT4_EEPKS3_PKS5_PKT1_PKT2_S9_PT3_21rocsparse_index_base_b,comdat
	.globl	_ZN9rocsparseL27csrmvn_lrb_long_rows_kernelIiid21rocsparse_complex_numIdES2_S2_EEvbT_PjPT0_S6_jNS_24const_host_device_scalarIT4_EEPKS3_PKS5_PKT1_PKT2_S9_PT3_21rocsparse_index_base_b ; -- Begin function _ZN9rocsparseL27csrmvn_lrb_long_rows_kernelIiid21rocsparse_complex_numIdES2_S2_EEvbT_PjPT0_S6_jNS_24const_host_device_scalarIT4_EEPKS3_PKS5_PKT1_PKT2_S9_PT3_21rocsparse_index_base_b
	.p2align	8
	.type	_ZN9rocsparseL27csrmvn_lrb_long_rows_kernelIiid21rocsparse_complex_numIdES2_S2_EEvbT_PjPT0_S6_jNS_24const_host_device_scalarIT4_EEPKS3_PKS5_PKT1_PKT2_S9_PT3_21rocsparse_index_base_b,@function
_ZN9rocsparseL27csrmvn_lrb_long_rows_kernelIiid21rocsparse_complex_numIdES2_S2_EEvbT_PjPT0_S6_jNS_24const_host_device_scalarIT4_EEPKS3_PKS5_PKT1_PKT2_S9_PT3_21rocsparse_index_base_b: ; @_ZN9rocsparseL27csrmvn_lrb_long_rows_kernelIiid21rocsparse_complex_numIdES2_S2_EEvbT_PjPT0_S6_jNS_24const_host_device_scalarIT4_EEPKS3_PKS5_PKT1_PKT2_S9_PT3_21rocsparse_index_base_b
; %bb.0:
	s_mov_b32 s12, s15
	s_clause 0x1
	s_load_b64 s[18:19], s[2:3], 0x70
	s_load_b128 s[4:7], s[2:3], 0x28
	s_load_b64 s[14:15], s[0:1], 0x4
	s_mov_b64 s[0:1], src_shared_base
	v_and_b32_e32 v14, 0x3ff, v0
	s_load_b128 s[8:11], s[2:3], 0x58
	v_bfe_u32 v2, v0, 10, 10
	v_bfe_u32 v0, v0, 20, 10
	s_waitcnt lgkmcnt(0)
	s_bitcmp1_b32 s19, 0
	s_cselect_b32 s0, -1, 0
	s_delay_alu instid0(SALU_CYCLE_1) | instskip(SKIP_4) | instid1(SALU_CYCLE_1)
	s_and_b32 vcc_lo, s0, exec_lo
	s_cselect_b32 s13, s1, s5
	s_lshr_b32 s14, s14, 16
	v_mov_b32_e32 v5, s13
	s_mul_i32 s14, s14, s15
	v_mul_lo_u32 v1, s14, v14
	s_delay_alu instid0(VALU_DEP_1) | instskip(SKIP_1) | instid1(VALU_DEP_2)
	v_mad_u32_u24 v1, v2, s15, v1
	v_dual_mov_b32 v2, s8 :: v_dual_mov_b32 v3, s9
	v_add_lshl_u32 v6, v1, v0, 3
	v_dual_mov_b32 v0, s4 :: v_dual_mov_b32 v1, s5
	s_delay_alu instid0(VALU_DEP_2)
	v_add_nc_u32_e32 v4, 0x1800, v6
	ds_store_2addr_stride64_b64 v6, v[2:3], v[0:1] offset0:8 offset1:12
	v_add_nc_u32_e32 v0, 0x1000, v6
	v_mov_b32_e32 v6, s6
	v_cndmask_b32_e64 v4, s4, v4, s0
	v_mov_b32_e32 v7, s7
	s_xor_b32 s6, s0, -1
	flat_load_b64 v[4:5], v[4:5]
	s_cbranch_vccnz .LBB193_2
; %bb.1:
	v_dual_mov_b32 v1, s4 :: v_dual_mov_b32 v2, s5
	flat_load_b64 v[6:7], v[1:2] offset:8
.LBB193_2:
	s_and_b32 s4, s0, exec_lo
	s_cselect_b32 s1, s1, s9
	v_cndmask_b32_e64 v0, s8, v0, s0
	v_dual_mov_b32 v1, s1 :: v_dual_mov_b32 v8, s10
	v_mov_b32_e32 v9, s11
	s_and_not1_b32 vcc_lo, exec_lo, s6
	flat_load_b64 v[10:11], v[0:1]
	s_cbranch_vccnz .LBB193_4
; %bb.3:
	v_dual_mov_b32 v0, s8 :: v_dual_mov_b32 v1, s9
	flat_load_b64 v[8:9], v[0:1] offset:8
.LBB193_4:
	s_waitcnt vmcnt(1) lgkmcnt(1)
	v_cmp_eq_f64_e32 vcc_lo, 0, v[4:5]
	v_cmp_eq_f64_e64 s0, 0, v[6:7]
	s_delay_alu instid0(VALU_DEP_1)
	s_and_b32 s4, vcc_lo, s0
	s_mov_b32 s0, -1
	s_and_saveexec_b32 s1, s4
	s_cbranch_execz .LBB193_6
; %bb.5:
	s_waitcnt vmcnt(0) lgkmcnt(0)
	v_cmp_neq_f64_e32 vcc_lo, 1.0, v[10:11]
	v_cmp_neq_f64_e64 s0, 0, v[8:9]
	s_delay_alu instid0(VALU_DEP_1) | instskip(NEXT) | instid1(SALU_CYCLE_1)
	s_or_b32 s0, vcc_lo, s0
	s_or_not1_b32 s0, s0, exec_lo
.LBB193_6:
	s_or_b32 exec_lo, exec_lo, s1
	s_and_saveexec_b32 s1, s0
	s_cbranch_execz .LBB193_44
; %bb.7:
	s_clause 0x1
	s_load_b32 s0, s[2:3], 0x20
	s_load_b64 s[4:5], s[2:3], 0x18
	s_mov_b32 s1, 0
	s_waitcnt lgkmcnt(0)
	s_lshl_b64 s[6:7], s[0:1], 2
	s_delay_alu instid0(SALU_CYCLE_1)
	s_add_u32 s4, s4, s6
	s_addc_u32 s5, s5, s7
	s_lshl_b32 s0, -1, s0
	s_load_b32 s9, s[4:5], 0x0
	s_not_b32 s0, s0
	s_load_b128 s[4:7], s[2:3], 0x8
	s_mul_hi_u32 s0, s0, 0x2aaaaaab
	s_delay_alu instid0(SALU_CYCLE_1) | instskip(NEXT) | instid1(SALU_CYCLE_1)
	s_lshr_b32 s0, s0, 7
	s_add_i32 s8, s0, 1
	s_not_b32 s0, s0
	v_cvt_f32_u32_e32 v0, s8
	s_delay_alu instid0(VALU_DEP_1) | instskip(SKIP_2) | instid1(VALU_DEP_1)
	v_rcp_iflag_f32_e32 v0, v0
	s_waitcnt_depctr 0xfff
	v_mul_f32_e32 v0, 0x4f7ffffe, v0
	v_cvt_u32_f32_e32 v0, v0
	s_delay_alu instid0(VALU_DEP_1) | instskip(SKIP_2) | instid1(VALU_DEP_3)
	v_readfirstlane_b32 s1, v0
	v_mov_b32_e32 v0, 0
	v_mov_b32_e32 v1, 0
	s_mul_i32 s0, s0, s1
	s_delay_alu instid0(SALU_CYCLE_1) | instskip(NEXT) | instid1(SALU_CYCLE_1)
	s_mul_hi_u32 s0, s1, s0
	s_add_i32 s1, s1, s0
	s_delay_alu instid0(SALU_CYCLE_1) | instskip(NEXT) | instid1(SALU_CYCLE_1)
	s_mul_hi_u32 s0, s12, s1
	s_mul_i32 s1, s0, s8
	s_add_i32 s10, s0, 1
	s_sub_i32 s1, s12, s1
	s_delay_alu instid0(SALU_CYCLE_1)
	s_sub_i32 s11, s1, s8
	s_cmp_ge_u32 s1, s8
	s_cselect_b32 s0, s10, s0
	s_cselect_b32 s1, s11, s1
	s_add_i32 s10, s0, 1
	s_cmp_ge_u32 s1, s8
	s_cselect_b32 s10, s10, s0
	s_waitcnt lgkmcnt(0)
	s_add_i32 s0, s10, s9
	s_mul_i32 s16, s10, s8
	s_ashr_i32 s1, s0, 31
	s_sub_i32 s20, s12, s16
	s_lshl_b64 s[0:1], s[0:1], 2
	v_or_b32_e32 v2, s20, v14
	s_add_u32 s0, s6, s0
	s_addc_u32 s1, s7, s1
	s_load_b32 s6, s[0:1], 0x0
	s_load_b64 s[0:1], s[2:3], 0x38
	v_cmp_eq_u32_e32 vcc_lo, 0, v2
	v_dual_mov_b32 v3, v1 :: v_dual_mov_b32 v2, v0
	s_waitcnt lgkmcnt(0)
	s_ashr_i32 s7, s6, 31
	s_delay_alu instid0(SALU_CYCLE_1) | instskip(NEXT) | instid1(SALU_CYCLE_1)
	s_lshl_b64 s[8:9], s[6:7], 2
	s_add_u32 s0, s0, s8
	s_addc_u32 s1, s1, s9
	s_ashr_i32 s13, s12, 31
	s_delay_alu instid0(SALU_CYCLE_1)
	s_lshl_b64 s[8:9], s[12:13], 2
	s_load_b64 s[12:13], s[2:3], 0x68
	s_add_u32 s14, s4, s8
	s_addc_u32 s15, s5, s9
	s_load_b64 s[0:1], s[0:1], 0x0
	s_load_b32 s19, s[14:15], 0x0
	s_and_saveexec_b32 s21, vcc_lo
	s_cbranch_execz .LBB193_11
; %bb.8:
	s_waitcnt vmcnt(0)
	v_add_f64 v[0:1], v[10:11], -1.0
	s_lshl_b64 s[8:9], s[6:7], 4
	s_mov_b32 s22, exec_lo
	s_waitcnt lgkmcnt(0)
	s_add_u32 s8, s12, s8
	s_addc_u32 s9, s13, s9
	v_mbcnt_lo_u32_b32 v12, s22, 0
	s_load_b128 s[8:11], s[8:9], 0x0
	s_waitcnt vmcnt(0) expcnt(0) lgkmcnt(0)
	v_mul_f64 v[2:3], s[10:11], -v[8:9]
	s_delay_alu instid0(VALU_DEP_3)
	v_mul_f64 v[10:11], v[0:1], s[10:11]
	s_mov_b32 s10, exec_lo
	v_cmpx_eq_u32_e32 0, v12
	s_cbranch_execz .LBB193_10
; %bb.9:
	s_ashr_i32 s17, s16, 31
	s_delay_alu instid0(SALU_CYCLE_1) | instskip(NEXT) | instid1(SALU_CYCLE_1)
	s_lshl_b64 s[24:25], s[16:17], 2
	s_add_u32 s24, s4, s24
	s_addc_u32 s25, s5, s25
	s_bcnt1_i32_b32 s11, s22
	s_delay_alu instid0(SALU_CYCLE_1) | instskip(NEXT) | instid1(SALU_CYCLE_1)
	s_and_b32 s11, s11, 1
	v_dual_mov_b32 v12, 0 :: v_dual_mov_b32 v13, s11
	global_atomic_xor_b32 v12, v13, s[24:25]
.LBB193_10:
	s_or_b32 exec_lo, exec_lo, s10
	s_delay_alu instid0(VALU_DEP_3) | instskip(NEXT) | instid1(VALU_DEP_3)
	v_fma_f64 v[0:1], v[0:1], s[8:9], v[2:3]
	v_fma_f64 v[2:3], v[8:9], s[8:9], v[10:11]
.LBB193_11:
	s_or_b32 exec_lo, exec_lo, s21
	s_mul_i32 s8, s20, 0x300
	s_waitcnt lgkmcnt(0)
	s_sub_i32 s1, s1, s18
	s_sub_i32 s8, s8, s18
	s_mov_b32 s10, exec_lo
	s_add_i32 s0, s8, s0
	s_waitcnt vmcnt(0)
	v_add_nc_u32_e32 v8, s0, v14
	s_addk_i32 s0, 0x300
	s_delay_alu instid0(SALU_CYCLE_1)
	s_min_i32 s11, s0, s1
	s_delay_alu instid0(VALU_DEP_1) | instid1(SALU_CYCLE_1)
	v_cmpx_gt_i32_e64 s11, v8
	s_cbranch_execz .LBB193_15
; %bb.12:
	v_mul_f64 v[10:11], 0x80000000, v[6:7]
	v_mul_f64 v[12:13], v[4:5], 0
	s_clause 0x1
	s_load_b64 s[8:9], s[2:3], 0x50
	s_load_b128 s[0:3], s[2:3], 0x40
	s_mov_b32 s17, 0
	s_set_inst_prefetch_distance 0x1
	.p2align	6
.LBB193_13:                             ; =>This Inner Loop Header: Depth=1
	v_ashrrev_i32_e32 v9, 31, v8
	s_delay_alu instid0(VALU_DEP_1) | instskip(SKIP_1) | instid1(VALU_DEP_1)
	v_lshlrev_b64 v[15:16], 2, v[8:9]
	s_waitcnt lgkmcnt(0)
	v_add_co_u32 v15, vcc_lo, s0, v15
	s_delay_alu instid0(VALU_DEP_2) | instskip(SKIP_3) | instid1(VALU_DEP_2)
	v_add_co_ci_u32_e32 v16, vcc_lo, s1, v16, vcc_lo
	global_load_b32 v17, v[15:16], off
	v_lshlrev_b64 v[15:16], 3, v[8:9]
	v_add_nc_u32_e32 v8, 0x100, v8
	v_add_co_u32 v15, vcc_lo, s2, v15
	s_delay_alu instid0(VALU_DEP_3) | instskip(SKIP_3) | instid1(VALU_DEP_1)
	v_add_co_ci_u32_e32 v16, vcc_lo, s3, v16, vcc_lo
	global_load_b64 v[19:20], v[15:16], off
	s_waitcnt vmcnt(1)
	v_subrev_nc_u32_e32 v15, s18, v17
	v_ashrrev_i32_e32 v16, 31, v15
	s_delay_alu instid0(VALU_DEP_1) | instskip(SKIP_3) | instid1(VALU_DEP_3)
	v_lshlrev_b64 v[15:16], 4, v[15:16]
	s_waitcnt vmcnt(0)
	v_fma_f64 v[21:22], v[4:5], v[19:20], v[10:11]
	v_fma_f64 v[19:20], v[6:7], v[19:20], v[12:13]
	v_add_co_u32 v15, vcc_lo, s8, v15
	s_delay_alu instid0(VALU_DEP_4)
	v_add_co_ci_u32_e32 v16, vcc_lo, s9, v16, vcc_lo
	v_cmp_le_i32_e32 vcc_lo, s11, v8
	global_load_b128 v[15:18], v[15:16], off
	s_or_b32 s17, vcc_lo, s17
	s_waitcnt vmcnt(0)
	v_fma_f64 v[0:1], v[21:22], v[15:16], v[0:1]
	v_fma_f64 v[2:3], v[19:20], v[15:16], v[2:3]
	s_delay_alu instid0(VALU_DEP_2) | instskip(NEXT) | instid1(VALU_DEP_2)
	v_fma_f64 v[0:1], -v[19:20], v[17:18], v[0:1]
	v_fma_f64 v[2:3], v[21:22], v[17:18], v[2:3]
	s_and_not1_b32 exec_lo, exec_lo, s17
	s_cbranch_execnz .LBB193_13
; %bb.14:
	s_set_inst_prefetch_distance 0x2
	s_or_b32 exec_lo, exec_lo, s17
.LBB193_15:
	s_delay_alu instid0(SALU_CYCLE_1)
	s_or_b32 exec_lo, exec_lo, s10
	v_lshlrev_b32_e32 v4, 4, v14
	s_mov_b32 s0, exec_lo
	ds_store_b128 v4, v[0:3]
	s_waitcnt lgkmcnt(0)
	s_waitcnt_vscnt null, 0x0
	s_barrier
	buffer_gl0_inv
	v_cmpx_gt_u32_e32 0x80, v14
	s_cbranch_execz .LBB193_17
; %bb.16:
	ds_load_b128 v[0:3], v4 offset:2048
	ds_load_b128 v[5:8], v4
	s_waitcnt lgkmcnt(0)
	v_add_f64 v[0:1], v[0:1], v[5:6]
	v_add_f64 v[2:3], v[2:3], v[7:8]
	ds_store_b128 v4, v[0:3]
.LBB193_17:
	s_or_b32 exec_lo, exec_lo, s0
	s_delay_alu instid0(SALU_CYCLE_1)
	s_mov_b32 s0, exec_lo
	s_waitcnt lgkmcnt(0)
	s_barrier
	buffer_gl0_inv
	v_cmpx_gt_u32_e32 64, v14
	s_cbranch_execz .LBB193_19
; %bb.18:
	ds_load_b128 v[0:3], v4 offset:1024
	ds_load_b128 v[5:8], v4
	s_waitcnt lgkmcnt(0)
	v_add_f64 v[0:1], v[0:1], v[5:6]
	v_add_f64 v[2:3], v[2:3], v[7:8]
	ds_store_b128 v4, v[0:3]
.LBB193_19:
	s_or_b32 exec_lo, exec_lo, s0
	s_delay_alu instid0(SALU_CYCLE_1)
	s_mov_b32 s0, exec_lo
	s_waitcnt lgkmcnt(0)
	;; [unrolled: 16-line block ×6, first 2 shown]
	s_barrier
	buffer_gl0_inv
	v_cmpx_gt_u32_e32 2, v14
	s_cbranch_execz .LBB193_29
; %bb.28:
	ds_load_b128 v[0:3], v4
	ds_load_b128 v[5:8], v4 offset:32
	s_waitcnt lgkmcnt(0)
	v_add_f64 v[0:1], v[5:6], v[0:1]
	v_add_f64 v[2:3], v[7:8], v[2:3]
	ds_store_b128 v4, v[0:3]
.LBB193_29:
	s_or_b32 exec_lo, exec_lo, s0
	v_cmp_eq_u32_e32 vcc_lo, 0, v14
	s_waitcnt lgkmcnt(0)
	s_barrier
	buffer_gl0_inv
	s_and_saveexec_b32 s0, vcc_lo
	s_cbranch_execz .LBB193_31
; %bb.30:
	v_mov_b32_e32 v8, 0
	ds_load_b128 v[0:3], v8
	ds_load_b128 v[4:7], v8 offset:16
	s_waitcnt lgkmcnt(0)
	v_add_f64 v[0:1], v[4:5], v[0:1]
	v_add_f64 v[2:3], v[6:7], v[2:3]
	ds_store_b128 v8, v[0:3]
.LBB193_31:
	s_or_b32 exec_lo, exec_lo, s0
	s_waitcnt lgkmcnt(0)
	s_barrier
	buffer_gl0_inv
	s_and_b32 exec_lo, exec_lo, vcc_lo
	s_cbranch_execz .LBB193_44
; %bb.32:
	s_cmp_eq_u32 s20, 0
	s_cbranch_scc1 .LBB193_38
; %bb.33:
	s_ashr_i32 s17, s16, 31
	v_mov_b32_e32 v0, 0
	s_lshl_b64 s[0:1], s[16:17], 2
	s_delay_alu instid0(SALU_CYCLE_1)
	s_add_u32 s0, s4, s0
	s_addc_u32 s1, s5, s1
	s_branch .LBB193_35
.LBB193_34:                             ;   in Loop: Header=BB193_35 Depth=1
	s_or_b32 exec_lo, exec_lo, s2
	s_waitcnt vmcnt(0)
	v_readfirstlane_b32 s2, v1
	s_delay_alu instid0(VALU_DEP_1)
	s_cmp_eq_u32 s2, s19
	s_cbranch_scc0 .LBB193_37
.LBB193_35:                             ; =>This Inner Loop Header: Depth=1
	v_mbcnt_lo_u32_b32 v1, exec_lo, 0
	s_delay_alu instid0(VALU_DEP_1)
	v_cmp_eq_u32_e32 vcc_lo, 0, v1
                                        ; implicit-def: $vgpr1
	s_and_saveexec_b32 s2, vcc_lo
	s_cbranch_execz .LBB193_34
; %bb.36:                               ;   in Loop: Header=BB193_35 Depth=1
	global_load_b32 v1, v0, s[0:1] glc
	s_branch .LBB193_34
.LBB193_37:
	v_mov_b32_e32 v0, 0
	global_load_b32 v1, v0, s[14:15]
	s_waitcnt vmcnt(0)
	v_xor_b32_e32 v1, 1, v1
	global_store_b32 v0, v1, s[14:15]
.LBB193_38:
	v_mov_b32_e32 v8, 0
	s_mov_b32 s3, exec_lo
	s_lshl_b64 s[0:1], s[6:7], 4
	v_mbcnt_lo_u32_b32 v4, s3, 0
	s_add_u32 s0, s12, s0
	ds_load_b128 v[0:3], v8
	s_addc_u32 s1, s13, s1
	s_mov_b32 s2, exec_lo
	v_cmpx_eq_u32_e32 0, v4
	s_cbranch_execz .LBB193_41
; %bb.39:
	global_load_b64 v[6:7], v8, s[0:1]
	s_bcnt1_i32_b32 s3, s3
	s_delay_alu instid0(SALU_CYCLE_1) | instskip(SKIP_2) | instid1(VALU_DEP_1)
	v_cvt_f64_u32_e32 v[4:5], s3
	s_mov_b32 s3, 0
	s_waitcnt lgkmcnt(0)
	v_mul_f64 v[0:1], v[0:1], v[4:5]
.LBB193_40:                             ; =>This Inner Loop Header: Depth=1
	s_waitcnt vmcnt(0)
	s_delay_alu instid0(VALU_DEP_1)
	v_add_f64 v[4:5], v[6:7], v[0:1]
	global_atomic_cmpswap_b64 v[4:5], v8, v[4:7], s[0:1] glc
	s_waitcnt vmcnt(0)
	v_cmp_eq_u64_e32 vcc_lo, v[4:5], v[6:7]
	v_dual_mov_b32 v7, v5 :: v_dual_mov_b32 v6, v4
	s_or_b32 s3, vcc_lo, s3
	s_delay_alu instid0(SALU_CYCLE_1)
	s_and_not1_b32 exec_lo, exec_lo, s3
	s_cbranch_execnz .LBB193_40
.LBB193_41:
	s_or_b32 exec_lo, exec_lo, s2
	s_delay_alu instid0(SALU_CYCLE_1) | instskip(SKIP_3) | instid1(VALU_DEP_1)
	s_mov_b32 s3, exec_lo
	s_mov_b32 s2, 0
	s_waitcnt lgkmcnt(0)
	v_mbcnt_lo_u32_b32 v0, s3, 0
	v_cmp_eq_u32_e32 vcc_lo, 0, v0
	s_and_b32 s4, exec_lo, vcc_lo
	s_delay_alu instid0(SALU_CYCLE_1)
	s_mov_b32 exec_lo, s4
	s_cbranch_execz .LBB193_44
; %bb.42:
	v_mov_b32_e32 v6, 0
	s_bcnt1_i32_b32 s3, s3
	s_delay_alu instid0(SALU_CYCLE_1)
	v_cvt_f64_u32_e32 v[0:1], s3
	global_load_b64 v[4:5], v6, s[0:1] offset:8
	v_mul_f64 v[0:1], v[2:3], v[0:1]
.LBB193_43:                             ; =>This Inner Loop Header: Depth=1
	s_waitcnt vmcnt(0)
	s_delay_alu instid0(VALU_DEP_1)
	v_add_f64 v[2:3], v[4:5], v[0:1]
	global_atomic_cmpswap_b64 v[2:3], v6, v[2:5], s[0:1] offset:8 glc
	s_waitcnt vmcnt(0)
	v_cmp_eq_u64_e32 vcc_lo, v[2:3], v[4:5]
	v_dual_mov_b32 v5, v3 :: v_dual_mov_b32 v4, v2
	s_or_b32 s2, vcc_lo, s2
	s_delay_alu instid0(SALU_CYCLE_1)
	s_and_not1_b32 exec_lo, exec_lo, s2
	s_cbranch_execnz .LBB193_43
.LBB193_44:
	s_nop 0
	s_sendmsg sendmsg(MSG_DEALLOC_VGPRS)
	s_endpgm
	.section	.rodata,"a",@progbits
	.p2align	6, 0x0
	.amdhsa_kernel _ZN9rocsparseL27csrmvn_lrb_long_rows_kernelIiid21rocsparse_complex_numIdES2_S2_EEvbT_PjPT0_S6_jNS_24const_host_device_scalarIT4_EEPKS3_PKS5_PKT1_PKT2_S9_PT3_21rocsparse_index_base_b
		.amdhsa_group_segment_fixed_size 8192
		.amdhsa_private_segment_fixed_size 0
		.amdhsa_kernarg_size 120
		.amdhsa_user_sgpr_count 15
		.amdhsa_user_sgpr_dispatch_ptr 1
		.amdhsa_user_sgpr_queue_ptr 0
		.amdhsa_user_sgpr_kernarg_segment_ptr 1
		.amdhsa_user_sgpr_dispatch_id 0
		.amdhsa_user_sgpr_private_segment_size 0
		.amdhsa_wavefront_size32 1
		.amdhsa_uses_dynamic_stack 0
		.amdhsa_enable_private_segment 0
		.amdhsa_system_sgpr_workgroup_id_x 1
		.amdhsa_system_sgpr_workgroup_id_y 0
		.amdhsa_system_sgpr_workgroup_id_z 0
		.amdhsa_system_sgpr_workgroup_info 0
		.amdhsa_system_vgpr_workitem_id 2
		.amdhsa_next_free_vgpr 23
		.amdhsa_next_free_sgpr 26
		.amdhsa_reserve_vcc 1
		.amdhsa_float_round_mode_32 0
		.amdhsa_float_round_mode_16_64 0
		.amdhsa_float_denorm_mode_32 3
		.amdhsa_float_denorm_mode_16_64 3
		.amdhsa_dx10_clamp 1
		.amdhsa_ieee_mode 1
		.amdhsa_fp16_overflow 0
		.amdhsa_workgroup_processor_mode 1
		.amdhsa_memory_ordered 1
		.amdhsa_forward_progress 0
		.amdhsa_shared_vgpr_count 0
		.amdhsa_exception_fp_ieee_invalid_op 0
		.amdhsa_exception_fp_denorm_src 0
		.amdhsa_exception_fp_ieee_div_zero 0
		.amdhsa_exception_fp_ieee_overflow 0
		.amdhsa_exception_fp_ieee_underflow 0
		.amdhsa_exception_fp_ieee_inexact 0
		.amdhsa_exception_int_div_zero 0
	.end_amdhsa_kernel
	.section	.text._ZN9rocsparseL27csrmvn_lrb_long_rows_kernelIiid21rocsparse_complex_numIdES2_S2_EEvbT_PjPT0_S6_jNS_24const_host_device_scalarIT4_EEPKS3_PKS5_PKT1_PKT2_S9_PT3_21rocsparse_index_base_b,"axG",@progbits,_ZN9rocsparseL27csrmvn_lrb_long_rows_kernelIiid21rocsparse_complex_numIdES2_S2_EEvbT_PjPT0_S6_jNS_24const_host_device_scalarIT4_EEPKS3_PKS5_PKT1_PKT2_S9_PT3_21rocsparse_index_base_b,comdat
.Lfunc_end193:
	.size	_ZN9rocsparseL27csrmvn_lrb_long_rows_kernelIiid21rocsparse_complex_numIdES2_S2_EEvbT_PjPT0_S6_jNS_24const_host_device_scalarIT4_EEPKS3_PKS5_PKT1_PKT2_S9_PT3_21rocsparse_index_base_b, .Lfunc_end193-_ZN9rocsparseL27csrmvn_lrb_long_rows_kernelIiid21rocsparse_complex_numIdES2_S2_EEvbT_PjPT0_S6_jNS_24const_host_device_scalarIT4_EEPKS3_PKS5_PKT1_PKT2_S9_PT3_21rocsparse_index_base_b
                                        ; -- End function
	.section	.AMDGPU.csdata,"",@progbits
; Kernel info:
; codeLenInByte = 2292
; NumSgprs: 28
; NumVgprs: 23
; ScratchSize: 0
; MemoryBound: 0
; FloatMode: 240
; IeeeMode: 1
; LDSByteSize: 8192 bytes/workgroup (compile time only)
; SGPRBlocks: 3
; VGPRBlocks: 2
; NumSGPRsForWavesPerEU: 28
; NumVGPRsForWavesPerEU: 23
; Occupancy: 16
; WaveLimiterHint : 1
; COMPUTE_PGM_RSRC2:SCRATCH_EN: 0
; COMPUTE_PGM_RSRC2:USER_SGPR: 15
; COMPUTE_PGM_RSRC2:TRAP_HANDLER: 0
; COMPUTE_PGM_RSRC2:TGID_X_EN: 1
; COMPUTE_PGM_RSRC2:TGID_Y_EN: 0
; COMPUTE_PGM_RSRC2:TGID_Z_EN: 0
; COMPUTE_PGM_RSRC2:TIDIG_COMP_CNT: 2
	.section	.text._ZN9rocsparseL28csrmvn_lrb_short_rows_kernelIlid21rocsparse_complex_numIdES2_S2_EEvbT_PT0_S5_jNS_24const_host_device_scalarIT4_EEPKS3_PKS4_PKT1_PKT2_S8_PT3_21rocsparse_index_base_b,"axG",@progbits,_ZN9rocsparseL28csrmvn_lrb_short_rows_kernelIlid21rocsparse_complex_numIdES2_S2_EEvbT_PT0_S5_jNS_24const_host_device_scalarIT4_EEPKS3_PKS4_PKT1_PKT2_S8_PT3_21rocsparse_index_base_b,comdat
	.globl	_ZN9rocsparseL28csrmvn_lrb_short_rows_kernelIlid21rocsparse_complex_numIdES2_S2_EEvbT_PT0_S5_jNS_24const_host_device_scalarIT4_EEPKS3_PKS4_PKT1_PKT2_S8_PT3_21rocsparse_index_base_b ; -- Begin function _ZN9rocsparseL28csrmvn_lrb_short_rows_kernelIlid21rocsparse_complex_numIdES2_S2_EEvbT_PT0_S5_jNS_24const_host_device_scalarIT4_EEPKS3_PKS4_PKT1_PKT2_S8_PT3_21rocsparse_index_base_b
	.p2align	8
	.type	_ZN9rocsparseL28csrmvn_lrb_short_rows_kernelIlid21rocsparse_complex_numIdES2_S2_EEvbT_PT0_S5_jNS_24const_host_device_scalarIT4_EEPKS3_PKS4_PKT1_PKT2_S8_PT3_21rocsparse_index_base_b,@function
_ZN9rocsparseL28csrmvn_lrb_short_rows_kernelIlid21rocsparse_complex_numIdES2_S2_EEvbT_PT0_S5_jNS_24const_host_device_scalarIT4_EEPKS3_PKS4_PKT1_PKT2_S8_PT3_21rocsparse_index_base_b: ; @_ZN9rocsparseL28csrmvn_lrb_short_rows_kernelIlid21rocsparse_complex_numIdES2_S2_EEvbT_PT0_S5_jNS_24const_host_device_scalarIT4_EEPKS3_PKS4_PKT1_PKT2_S8_PT3_21rocsparse_index_base_b
; %bb.0:
	s_clause 0x2
	s_load_b64 s[12:13], s[0:1], 0x70
	s_load_b128 s[8:11], s[0:1], 0x28
	s_load_b128 s[4:7], s[0:1], 0x58
	s_mov_b64 s[2:3], src_private_base
	v_mov_b32_e32 v1, 0
	s_waitcnt lgkmcnt(0)
	s_bitcmp1_b32 s13, 0
	v_dual_mov_b32 v3, s8 :: v_dual_mov_b32 v6, s5
	s_cselect_b32 s2, -1, 0
	v_mov_b32_e32 v4, s9
	s_and_b32 vcc_lo, s2, exec_lo
	s_cselect_b32 s13, s3, s9
	v_cndmask_b32_e64 v1, s8, v1, s2
	v_dual_mov_b32 v5, s4 :: v_dual_mov_b32 v2, s13
	s_clause 0x1
	scratch_store_b64 off, v[3:4], off
	scratch_store_b64 off, v[5:6], off offset:8
	v_dual_mov_b32 v12, s11 :: v_dual_mov_b32 v11, s10
	flat_load_b64 v[9:10], v[1:2]
	s_xor_b32 s10, s2, -1
	s_cbranch_vccnz .LBB194_2
; %bb.1:
	v_dual_mov_b32 v1, s8 :: v_dual_mov_b32 v2, s9
	flat_load_b64 v[11:12], v[1:2] offset:8
.LBB194_2:
	s_and_b32 s8, s2, exec_lo
	s_cselect_b32 s3, s3, s5
	s_delay_alu instid0(SALU_CYCLE_1) | instskip(SKIP_2) | instid1(VALU_DEP_2)
	v_dual_mov_b32 v1, 8 :: v_dual_mov_b32 v2, s3
	v_dual_mov_b32 v8, s7 :: v_dual_mov_b32 v7, s6
	s_and_not1_b32 vcc_lo, exec_lo, s10
	v_cndmask_b32_e64 v1, s4, v1, s2
	flat_load_b64 v[5:6], v[1:2]
	s_cbranch_vccnz .LBB194_4
; %bb.3:
	v_dual_mov_b32 v1, s4 :: v_dual_mov_b32 v2, s5
	flat_load_b64 v[7:8], v[1:2] offset:8
.LBB194_4:
	s_waitcnt vmcnt(1) lgkmcnt(1)
	v_cmp_eq_f64_e32 vcc_lo, 0, v[9:10]
	v_cmp_eq_f64_e64 s2, 0, v[11:12]
	s_delay_alu instid0(VALU_DEP_1)
	s_and_b32 s4, vcc_lo, s2
	s_mov_b32 s2, -1
	s_and_saveexec_b32 s3, s4
	s_cbranch_execz .LBB194_6
; %bb.5:
	s_waitcnt vmcnt(0) lgkmcnt(0)
	v_cmp_neq_f64_e32 vcc_lo, 1.0, v[5:6]
	v_cmp_neq_f64_e64 s2, 0, v[7:8]
	s_delay_alu instid0(VALU_DEP_1) | instskip(NEXT) | instid1(SALU_CYCLE_1)
	s_or_b32 s2, vcc_lo, s2
	s_or_not1_b32 s2, s2, exec_lo
.LBB194_6:
	s_or_b32 exec_lo, exec_lo, s3
	s_and_saveexec_b32 s3, s2
	s_cbranch_execz .LBB194_20
; %bb.7:
	s_clause 0x1
	s_load_b32 s2, s[0:1], 0x20
	s_load_b128 s[16:19], s[0:1], 0x10
	s_mov_b32 s3, 0
	s_delay_alu instid0(SALU_CYCLE_1) | instskip(SKIP_2) | instid1(SALU_CYCLE_1)
	s_mov_b32 s7, s3
	s_waitcnt lgkmcnt(0)
	s_lshl_b64 s[4:5], s[2:3], 2
	s_add_u32 s4, s18, s4
	s_addc_u32 s5, s19, s5
	s_add_i32 s6, s2, 1
	s_delay_alu instid0(SALU_CYCLE_1) | instskip(NEXT) | instid1(SALU_CYCLE_1)
	s_lshl_b64 s[6:7], s[6:7], 2
	s_add_u32 s6, s18, s6
	s_addc_u32 s7, s19, s7
	s_clause 0x1
	s_load_b32 s13, s[4:5], 0x0
	s_load_b32 s4, s[6:7], 0x0
	s_lshl_b32 s14, s15, 8
	s_delay_alu instid0(SALU_CYCLE_1) | instskip(SKIP_2) | instid1(SALU_CYCLE_1)
	s_add_i32 s5, s14, 0x100
	s_waitcnt lgkmcnt(0)
	s_sub_i32 s4, s4, s13
	s_min_u32 s15, s4, s5
	s_cmp_gt_u32 s2, 23
	s_cbranch_scc1 .LBB194_14
; %bb.8:
	v_mul_f64 v[13:14], 0x80000000, v[11:12]
	v_mul_f64 v[15:16], v[9:10], 0
	s_load_b256 s[4:11], s[0:1], 0x38
	v_mov_b32_e32 v18, 0
	v_bfe_u32 v19, v0, 0, s2
	v_lshl_add_u32 v23, v0, 4, 0
	s_lshl_b32 s18, 0x100, s2
	s_delay_alu instid0(VALU_DEP_3)
	v_mov_b32_e32 v20, v18
	s_branch .LBB194_11
.LBB194_9:                              ;   in Loop: Header=BB194_11 Depth=1
	s_or_b32 exec_lo, exec_lo, s20
	ds_store_2addr_b64 v23, v[3:4], v[21:22] offset1:1
.LBB194_10:                             ;   in Loop: Header=BB194_11 Depth=1
	s_or_b32 exec_lo, exec_lo, s19
	v_add_nc_u32_e32 v23, 0x1000, v23
	s_addk_i32 s3, 0x100
	s_delay_alu instid0(SALU_CYCLE_1)
	s_cmp_ge_u32 s3, s18
	s_cbranch_scc1 .LBB194_14
.LBB194_11:                             ; =>This Inner Loop Header: Depth=1
	v_add_nc_u32_e32 v1, s3, v0
	s_mov_b32 s19, exec_lo
	s_delay_alu instid0(VALU_DEP_1) | instskip(NEXT) | instid1(VALU_DEP_1)
	v_lshrrev_b32_e32 v1, s2, v1
	v_add_nc_u32_e32 v1, s14, v1
	s_delay_alu instid0(VALU_DEP_1)
	v_cmpx_gt_u32_e64 s15, v1
	s_cbranch_execz .LBB194_10
; %bb.12:                               ;   in Loop: Header=BB194_11 Depth=1
	v_add_nc_u32_e32 v17, s13, v1
	s_delay_alu instid0(VALU_DEP_1) | instskip(NEXT) | instid1(VALU_DEP_1)
	v_lshlrev_b64 v[1:2], 2, v[17:18]
	v_add_co_u32 v1, vcc_lo, s16, v1
	s_delay_alu instid0(VALU_DEP_2) | instskip(SKIP_3) | instid1(VALU_DEP_1)
	v_add_co_ci_u32_e32 v2, vcc_lo, s17, v2, vcc_lo
	global_load_b32 v1, v[1:2], off
	s_waitcnt vmcnt(0)
	v_ashrrev_i32_e32 v2, 31, v1
	v_lshlrev_b64 v[1:2], 3, v[1:2]
	s_waitcnt lgkmcnt(0)
	s_delay_alu instid0(VALU_DEP_1) | instskip(NEXT) | instid1(VALU_DEP_2)
	v_add_co_u32 v1, vcc_lo, s4, v1
	v_add_co_ci_u32_e32 v2, vcc_lo, s5, v2, vcc_lo
	global_load_b128 v[1:4], v[1:2], off
	s_waitcnt vmcnt(0)
	v_sub_co_u32 v21, vcc_lo, v3, v1
	v_sub_co_ci_u32_e32 v22, vcc_lo, v4, v2, vcc_lo
	v_mov_b32_e32 v3, 0
	v_mov_b32_e32 v4, 0
	s_delay_alu instid0(VALU_DEP_3) | instskip(NEXT) | instid1(VALU_DEP_2)
	v_cmp_gt_i64_e32 vcc_lo, v[21:22], v[19:20]
	v_dual_mov_b32 v22, v4 :: v_dual_mov_b32 v21, v3
	s_and_saveexec_b32 s20, vcc_lo
	s_cbranch_execz .LBB194_9
; %bb.13:                               ;   in Loop: Header=BB194_11 Depth=1
	v_sub_co_u32 v1, vcc_lo, v1, s12
	v_subrev_co_ci_u32_e32 v2, vcc_lo, 0, v2, vcc_lo
	s_delay_alu instid0(VALU_DEP_2) | instskip(NEXT) | instid1(VALU_DEP_2)
	v_add_co_u32 v1, vcc_lo, v1, v19
	v_add_co_ci_u32_e32 v2, vcc_lo, 0, v2, vcc_lo
	s_delay_alu instid0(VALU_DEP_1) | instskip(SKIP_1) | instid1(VALU_DEP_2)
	v_lshlrev_b64 v[3:4], 2, v[1:2]
	v_lshlrev_b64 v[1:2], 3, v[1:2]
	v_add_co_u32 v3, vcc_lo, s6, v3
	s_delay_alu instid0(VALU_DEP_3) | instskip(NEXT) | instid1(VALU_DEP_3)
	v_add_co_ci_u32_e32 v4, vcc_lo, s7, v4, vcc_lo
	v_add_co_u32 v1, vcc_lo, s8, v1
	s_delay_alu instid0(VALU_DEP_4)
	v_add_co_ci_u32_e32 v2, vcc_lo, s9, v2, vcc_lo
	global_load_b32 v3, v[3:4], off
	global_load_b64 v[21:22], v[1:2], off
	s_waitcnt vmcnt(1)
	v_subrev_nc_u32_e32 v1, s12, v3
	s_waitcnt vmcnt(0)
	v_fma_f64 v[24:25], v[11:12], v[21:22], v[15:16]
	v_fma_f64 v[21:22], v[9:10], v[21:22], v[13:14]
	s_delay_alu instid0(VALU_DEP_3) | instskip(NEXT) | instid1(VALU_DEP_1)
	v_ashrrev_i32_e32 v2, 31, v1
	v_lshlrev_b64 v[1:2], 4, v[1:2]
	s_delay_alu instid0(VALU_DEP_1) | instskip(NEXT) | instid1(VALU_DEP_2)
	v_add_co_u32 v1, vcc_lo, s10, v1
	v_add_co_ci_u32_e32 v2, vcc_lo, s11, v2, vcc_lo
	global_load_b128 v[1:4], v[1:2], off
	s_waitcnt vmcnt(0)
	v_mul_f64 v[26:27], v[3:4], -v[24:25]
	v_mul_f64 v[28:29], v[21:22], v[3:4]
	s_delay_alu instid0(VALU_DEP_2) | instskip(NEXT) | instid1(VALU_DEP_2)
	v_fma_f64 v[3:4], v[21:22], v[1:2], v[26:27]
	v_fma_f64 v[21:22], v[24:25], v[1:2], v[28:29]
	s_branch .LBB194_9
.LBB194_14:
	s_sub_i32 s3, s15, s14
	s_waitcnt vmcnt(0) lgkmcnt(0)
	s_waitcnt_vscnt null, 0x0
	v_cmp_gt_u32_e32 vcc_lo, s3, v0
	s_barrier
	buffer_gl0_inv
	s_and_b32 exec_lo, exec_lo, vcc_lo
	s_cbranch_execz .LBB194_20
; %bb.15:
	v_add3_u32 v1, s13, s14, v0
	v_mov_b32_e32 v2, 0
	s_load_b64 s[4:5], s[0:1], 0x68
	v_lshlrev_b32_e32 v0, s2, v0
	s_mov_b32 s0, 1
	s_delay_alu instid0(VALU_DEP_2) | instskip(NEXT) | instid1(VALU_DEP_1)
	v_lshlrev_b64 v[1:2], 2, v[1:2]
	v_add_co_u32 v1, vcc_lo, s16, v1
	s_delay_alu instid0(VALU_DEP_2) | instskip(SKIP_4) | instid1(VALU_DEP_2)
	v_add_co_ci_u32_e32 v2, vcc_lo, s17, v2, vcc_lo
	global_load_b32 v9, v[1:2], off
	v_mov_b32_e32 v2, 0
	v_mov_b32_e32 v3, 0
	v_lshl_add_u32 v4, v0, 4, 0
	v_dual_mov_b32 v0, v2 :: v_dual_mov_b32 v1, v3
.LBB194_16:                             ; =>This Inner Loop Header: Depth=1
	ds_load_2addr_b64 v[10:13], v4 offset1:1
	v_add_nc_u32_e32 v4, 16, v4
	s_lshr_b32 s1, s0, s2
	s_add_i32 s0, s0, 1
	s_cmp_lg_u32 s1, 0
	s_waitcnt lgkmcnt(0)
	v_add_f64 v[0:1], v[0:1], v[10:11]
	v_add_f64 v[2:3], v[2:3], v[12:13]
	s_cbranch_scc0 .LBB194_16
; %bb.17:
	v_cmp_neq_f64_e32 vcc_lo, 0, v[5:6]
	v_cmp_neq_f64_e64 s0, 0, v[7:8]
	s_waitcnt vmcnt(0)
	v_ashrrev_i32_e32 v10, 31, v9
	s_delay_alu instid0(VALU_DEP_1) | instskip(NEXT) | instid1(VALU_DEP_3)
	v_lshlrev_b64 v[9:10], 4, v[9:10]
	s_or_b32 s1, vcc_lo, s0
	s_delay_alu instid0(SALU_CYCLE_1)
	s_and_saveexec_b32 s0, s1
	s_cbranch_execz .LBB194_19
; %bb.18:
	s_delay_alu instid0(VALU_DEP_1) | instskip(NEXT) | instid1(VALU_DEP_2)
	v_add_co_u32 v11, vcc_lo, s4, v9
	v_add_co_ci_u32_e32 v12, vcc_lo, s5, v10, vcc_lo
	global_load_b128 v[11:14], v[11:12], off
	s_waitcnt vmcnt(0)
	v_fma_f64 v[0:1], v[5:6], v[11:12], v[0:1]
	v_fma_f64 v[2:3], v[7:8], v[11:12], v[2:3]
	s_delay_alu instid0(VALU_DEP_2) | instskip(NEXT) | instid1(VALU_DEP_2)
	v_fma_f64 v[0:1], -v[7:8], v[13:14], v[0:1]
	v_fma_f64 v[2:3], v[5:6], v[13:14], v[2:3]
.LBB194_19:
	s_or_b32 exec_lo, exec_lo, s0
	s_delay_alu instid0(VALU_DEP_1)
	v_add_co_u32 v4, vcc_lo, s4, v9
	v_add_co_ci_u32_e32 v5, vcc_lo, s5, v10, vcc_lo
	global_store_b128 v[4:5], v[0:3], off
.LBB194_20:
	s_endpgm
	.section	.rodata,"a",@progbits
	.p2align	6, 0x0
	.amdhsa_kernel _ZN9rocsparseL28csrmvn_lrb_short_rows_kernelIlid21rocsparse_complex_numIdES2_S2_EEvbT_PT0_S5_jNS_24const_host_device_scalarIT4_EEPKS3_PKS4_PKT1_PKT2_S8_PT3_21rocsparse_index_base_b
		.amdhsa_group_segment_fixed_size 0
		.amdhsa_private_segment_fixed_size 24
		.amdhsa_kernarg_size 120
		.amdhsa_user_sgpr_count 15
		.amdhsa_user_sgpr_dispatch_ptr 0
		.amdhsa_user_sgpr_queue_ptr 0
		.amdhsa_user_sgpr_kernarg_segment_ptr 1
		.amdhsa_user_sgpr_dispatch_id 0
		.amdhsa_user_sgpr_private_segment_size 0
		.amdhsa_wavefront_size32 1
		.amdhsa_uses_dynamic_stack 0
		.amdhsa_enable_private_segment 1
		.amdhsa_system_sgpr_workgroup_id_x 1
		.amdhsa_system_sgpr_workgroup_id_y 0
		.amdhsa_system_sgpr_workgroup_id_z 0
		.amdhsa_system_sgpr_workgroup_info 0
		.amdhsa_system_vgpr_workitem_id 0
		.amdhsa_next_free_vgpr 30
		.amdhsa_next_free_sgpr 21
		.amdhsa_reserve_vcc 1
		.amdhsa_float_round_mode_32 0
		.amdhsa_float_round_mode_16_64 0
		.amdhsa_float_denorm_mode_32 3
		.amdhsa_float_denorm_mode_16_64 3
		.amdhsa_dx10_clamp 1
		.amdhsa_ieee_mode 1
		.amdhsa_fp16_overflow 0
		.amdhsa_workgroup_processor_mode 1
		.amdhsa_memory_ordered 1
		.amdhsa_forward_progress 0
		.amdhsa_shared_vgpr_count 0
		.amdhsa_exception_fp_ieee_invalid_op 0
		.amdhsa_exception_fp_denorm_src 0
		.amdhsa_exception_fp_ieee_div_zero 0
		.amdhsa_exception_fp_ieee_overflow 0
		.amdhsa_exception_fp_ieee_underflow 0
		.amdhsa_exception_fp_ieee_inexact 0
		.amdhsa_exception_int_div_zero 0
	.end_amdhsa_kernel
	.section	.text._ZN9rocsparseL28csrmvn_lrb_short_rows_kernelIlid21rocsparse_complex_numIdES2_S2_EEvbT_PT0_S5_jNS_24const_host_device_scalarIT4_EEPKS3_PKS4_PKT1_PKT2_S8_PT3_21rocsparse_index_base_b,"axG",@progbits,_ZN9rocsparseL28csrmvn_lrb_short_rows_kernelIlid21rocsparse_complex_numIdES2_S2_EEvbT_PT0_S5_jNS_24const_host_device_scalarIT4_EEPKS3_PKS4_PKT1_PKT2_S8_PT3_21rocsparse_index_base_b,comdat
.Lfunc_end194:
	.size	_ZN9rocsparseL28csrmvn_lrb_short_rows_kernelIlid21rocsparse_complex_numIdES2_S2_EEvbT_PT0_S5_jNS_24const_host_device_scalarIT4_EEPKS3_PKS4_PKT1_PKT2_S8_PT3_21rocsparse_index_base_b, .Lfunc_end194-_ZN9rocsparseL28csrmvn_lrb_short_rows_kernelIlid21rocsparse_complex_numIdES2_S2_EEvbT_PT0_S5_jNS_24const_host_device_scalarIT4_EEPKS3_PKS4_PKT1_PKT2_S8_PT3_21rocsparse_index_base_b
                                        ; -- End function
	.section	.AMDGPU.csdata,"",@progbits
; Kernel info:
; codeLenInByte = 1212
; NumSgprs: 23
; NumVgprs: 30
; ScratchSize: 24
; MemoryBound: 0
; FloatMode: 240
; IeeeMode: 1
; LDSByteSize: 0 bytes/workgroup (compile time only)
; SGPRBlocks: 2
; VGPRBlocks: 3
; NumSGPRsForWavesPerEU: 23
; NumVGPRsForWavesPerEU: 30
; Occupancy: 16
; WaveLimiterHint : 1
; COMPUTE_PGM_RSRC2:SCRATCH_EN: 1
; COMPUTE_PGM_RSRC2:USER_SGPR: 15
; COMPUTE_PGM_RSRC2:TRAP_HANDLER: 0
; COMPUTE_PGM_RSRC2:TGID_X_EN: 1
; COMPUTE_PGM_RSRC2:TGID_Y_EN: 0
; COMPUTE_PGM_RSRC2:TGID_Z_EN: 0
; COMPUTE_PGM_RSRC2:TIDIG_COMP_CNT: 0
	.section	.text._ZN9rocsparseL30csrmvn_lrb_short_rows_2_kernelIlid21rocsparse_complex_numIdES2_S2_EEvbT_PT0_S5_jNS_24const_host_device_scalarIT4_EEPKS3_PKS4_PKT1_PKT2_S8_PT3_21rocsparse_index_base_b,"axG",@progbits,_ZN9rocsparseL30csrmvn_lrb_short_rows_2_kernelIlid21rocsparse_complex_numIdES2_S2_EEvbT_PT0_S5_jNS_24const_host_device_scalarIT4_EEPKS3_PKS4_PKT1_PKT2_S8_PT3_21rocsparse_index_base_b,comdat
	.globl	_ZN9rocsparseL30csrmvn_lrb_short_rows_2_kernelIlid21rocsparse_complex_numIdES2_S2_EEvbT_PT0_S5_jNS_24const_host_device_scalarIT4_EEPKS3_PKS4_PKT1_PKT2_S8_PT3_21rocsparse_index_base_b ; -- Begin function _ZN9rocsparseL30csrmvn_lrb_short_rows_2_kernelIlid21rocsparse_complex_numIdES2_S2_EEvbT_PT0_S5_jNS_24const_host_device_scalarIT4_EEPKS3_PKS4_PKT1_PKT2_S8_PT3_21rocsparse_index_base_b
	.p2align	8
	.type	_ZN9rocsparseL30csrmvn_lrb_short_rows_2_kernelIlid21rocsparse_complex_numIdES2_S2_EEvbT_PT0_S5_jNS_24const_host_device_scalarIT4_EEPKS3_PKS4_PKT1_PKT2_S8_PT3_21rocsparse_index_base_b,@function
_ZN9rocsparseL30csrmvn_lrb_short_rows_2_kernelIlid21rocsparse_complex_numIdES2_S2_EEvbT_PT0_S5_jNS_24const_host_device_scalarIT4_EEPKS3_PKS4_PKT1_PKT2_S8_PT3_21rocsparse_index_base_b: ; @_ZN9rocsparseL30csrmvn_lrb_short_rows_2_kernelIlid21rocsparse_complex_numIdES2_S2_EEvbT_PT0_S5_jNS_24const_host_device_scalarIT4_EEPKS3_PKS4_PKT1_PKT2_S8_PT3_21rocsparse_index_base_b
; %bb.0:
	s_clause 0x2
	s_load_b64 s[16:17], s[0:1], 0x70
	s_load_b128 s[8:11], s[0:1], 0x28
	s_load_b128 s[4:7], s[0:1], 0x58
	s_mov_b64 s[2:3], src_private_base
	v_mov_b32_e32 v1, 0
	s_waitcnt lgkmcnt(0)
	s_bitcmp1_b32 s17, 0
	v_dual_mov_b32 v3, s8 :: v_dual_mov_b32 v6, s5
	s_cselect_b32 s2, -1, 0
	v_mov_b32_e32 v4, s9
	s_and_b32 vcc_lo, s2, exec_lo
	s_cselect_b32 s12, s3, s9
	v_cndmask_b32_e64 v1, s8, v1, s2
	v_dual_mov_b32 v5, s4 :: v_dual_mov_b32 v2, s12
	s_clause 0x1
	scratch_store_b64 off, v[3:4], off
	scratch_store_b64 off, v[5:6], off offset:8
	v_dual_mov_b32 v16, s11 :: v_dual_mov_b32 v15, s10
	flat_load_b64 v[13:14], v[1:2]
	s_xor_b32 s10, s2, -1
	s_cbranch_vccnz .LBB195_2
; %bb.1:
	v_dual_mov_b32 v1, s8 :: v_dual_mov_b32 v2, s9
	flat_load_b64 v[15:16], v[1:2] offset:8
.LBB195_2:
	s_and_b32 s8, s2, exec_lo
	s_cselect_b32 s3, s3, s5
	s_delay_alu instid0(SALU_CYCLE_1) | instskip(SKIP_2) | instid1(VALU_DEP_2)
	v_dual_mov_b32 v1, 8 :: v_dual_mov_b32 v2, s3
	v_dual_mov_b32 v12, s7 :: v_dual_mov_b32 v11, s6
	s_and_not1_b32 vcc_lo, exec_lo, s10
	v_cndmask_b32_e64 v1, s4, v1, s2
	flat_load_b64 v[9:10], v[1:2]
	s_cbranch_vccnz .LBB195_4
; %bb.3:
	v_dual_mov_b32 v1, s4 :: v_dual_mov_b32 v2, s5
	flat_load_b64 v[11:12], v[1:2] offset:8
.LBB195_4:
	s_waitcnt vmcnt(1) lgkmcnt(1)
	v_cmp_eq_f64_e32 vcc_lo, 0, v[13:14]
	v_cmp_eq_f64_e64 s2, 0, v[15:16]
	s_delay_alu instid0(VALU_DEP_1)
	s_and_b32 s4, vcc_lo, s2
	s_mov_b32 s2, -1
	s_and_saveexec_b32 s3, s4
	s_cbranch_execz .LBB195_6
; %bb.5:
	s_waitcnt vmcnt(0) lgkmcnt(0)
	v_cmp_neq_f64_e32 vcc_lo, 1.0, v[9:10]
	v_cmp_neq_f64_e64 s2, 0, v[11:12]
	s_delay_alu instid0(VALU_DEP_1) | instskip(NEXT) | instid1(SALU_CYCLE_1)
	s_or_b32 s2, vcc_lo, s2
	s_or_not1_b32 s2, s2, exec_lo
.LBB195_6:
	s_or_b32 exec_lo, exec_lo, s3
	s_and_saveexec_b32 s3, s2
	s_cbranch_execz .LBB195_32
; %bb.7:
	s_clause 0x1
	s_load_b32 s12, s[0:1], 0x20
	s_load_b128 s[8:11], s[0:1], 0x10
	v_mul_f64 v[17:18], 0x80000000, v[15:16]
	v_mul_f64 v[19:20], v[13:14], 0
	s_mov_b32 s13, 0
	v_mov_b32_e32 v22, 0
	s_mov_b32 s5, s13
	s_waitcnt lgkmcnt(0)
	s_lshl_b64 s[2:3], s[12:13], 2
	v_lshrrev_b32_e32 v1, s12, v0
	s_add_u32 s2, s10, s2
	s_addc_u32 s3, s11, s3
	s_add_i32 s4, s12, 1
	v_bfe_u32 v21, v0, 0, s12
	s_lshl_b64 s[4:5], s[4:5], 2
	s_delay_alu instid0(SALU_CYCLE_1)
	s_add_u32 s4, s10, s4
	s_addc_u32 s5, s11, s5
	s_clause 0x1
	s_load_b32 s14, s[2:3], 0x0
	s_load_b32 s17, s[4:5], 0x0
	s_clause 0x1
	s_load_b64 s[10:11], s[0:1], 0x68
	s_load_b256 s[0:7], s[0:1], 0x38
	s_lshr_b32 s13, 0x400, s12
	s_delay_alu instid0(SALU_CYCLE_1) | instskip(NEXT) | instid1(SALU_CYCLE_1)
	s_mul_i32 s15, s13, s15
	v_add_nc_u32_e32 v1, s15, v1
	s_add_i32 s18, s15, s13
	s_waitcnt lgkmcnt(0)
	s_sub_i32 s17, s17, s14
	s_delay_alu instid0(SALU_CYCLE_1)
	s_min_u32 s17, s17, s18
	s_mov_b32 s18, exec_lo
	v_cmpx_gt_u32_e64 s17, v1
	s_cbranch_execz .LBB195_11
; %bb.8:
	v_dual_mov_b32 v2, v22 :: v_dual_add_nc_u32 v1, s14, v1
	s_delay_alu instid0(VALU_DEP_1) | instskip(NEXT) | instid1(VALU_DEP_1)
	v_lshlrev_b64 v[1:2], 2, v[1:2]
	v_add_co_u32 v1, vcc_lo, s8, v1
	s_delay_alu instid0(VALU_DEP_2) | instskip(SKIP_3) | instid1(VALU_DEP_1)
	v_add_co_ci_u32_e32 v2, vcc_lo, s9, v2, vcc_lo
	global_load_b32 v1, v[1:2], off
	s_waitcnt vmcnt(0)
	v_ashrrev_i32_e32 v2, 31, v1
	v_lshlrev_b64 v[1:2], 3, v[1:2]
	s_delay_alu instid0(VALU_DEP_1) | instskip(NEXT) | instid1(VALU_DEP_2)
	v_add_co_u32 v1, vcc_lo, s0, v1
	v_add_co_ci_u32_e32 v2, vcc_lo, s1, v2, vcc_lo
	global_load_b128 v[5:8], v[1:2], off
	v_mov_b32_e32 v1, 0
	v_mov_b32_e32 v2, 0
	s_waitcnt vmcnt(0)
	v_sub_co_u32 v3, vcc_lo, v7, v5
	v_sub_co_ci_u32_e32 v4, vcc_lo, v8, v6, vcc_lo
	s_delay_alu instid0(VALU_DEP_1)
	v_cmp_gt_i64_e32 vcc_lo, v[3:4], v[21:22]
	v_dual_mov_b32 v4, v2 :: v_dual_mov_b32 v3, v1
	s_and_saveexec_b32 s19, vcc_lo
	s_cbranch_execz .LBB195_10
; %bb.9:
	v_sub_co_u32 v1, vcc_lo, v5, s16
	v_subrev_co_ci_u32_e32 v2, vcc_lo, 0, v6, vcc_lo
	s_delay_alu instid0(VALU_DEP_2) | instskip(NEXT) | instid1(VALU_DEP_2)
	v_add_co_u32 v1, vcc_lo, v1, v21
	v_add_co_ci_u32_e32 v2, vcc_lo, 0, v2, vcc_lo
	s_delay_alu instid0(VALU_DEP_1) | instskip(SKIP_1) | instid1(VALU_DEP_2)
	v_lshlrev_b64 v[3:4], 2, v[1:2]
	v_lshlrev_b64 v[1:2], 3, v[1:2]
	v_add_co_u32 v3, vcc_lo, s2, v3
	s_delay_alu instid0(VALU_DEP_3) | instskip(NEXT) | instid1(VALU_DEP_3)
	v_add_co_ci_u32_e32 v4, vcc_lo, s3, v4, vcc_lo
	v_add_co_u32 v1, vcc_lo, s4, v1
	s_delay_alu instid0(VALU_DEP_4)
	v_add_co_ci_u32_e32 v2, vcc_lo, s5, v2, vcc_lo
	global_load_b32 v3, v[3:4], off
	global_load_b64 v[1:2], v[1:2], off
	s_waitcnt vmcnt(1)
	v_subrev_nc_u32_e32 v3, s16, v3
	s_waitcnt vmcnt(0)
	v_fma_f64 v[7:8], v[15:16], v[1:2], v[19:20]
	v_fma_f64 v[1:2], v[13:14], v[1:2], v[17:18]
	s_delay_alu instid0(VALU_DEP_3) | instskip(NEXT) | instid1(VALU_DEP_1)
	v_ashrrev_i32_e32 v4, 31, v3
	v_lshlrev_b64 v[3:4], 4, v[3:4]
	s_delay_alu instid0(VALU_DEP_1) | instskip(NEXT) | instid1(VALU_DEP_2)
	v_add_co_u32 v3, vcc_lo, s6, v3
	v_add_co_ci_u32_e32 v4, vcc_lo, s7, v4, vcc_lo
	global_load_b128 v[3:6], v[3:4], off
	s_waitcnt vmcnt(0)
	v_mul_f64 v[23:24], v[5:6], -v[7:8]
	v_mul_f64 v[5:6], v[1:2], v[5:6]
	s_delay_alu instid0(VALU_DEP_2) | instskip(NEXT) | instid1(VALU_DEP_2)
	v_fma_f64 v[1:2], v[1:2], v[3:4], v[23:24]
	v_fma_f64 v[3:4], v[7:8], v[3:4], v[5:6]
.LBB195_10:
	s_or_b32 exec_lo, exec_lo, s19
	v_lshlrev_b32_e32 v5, 4, v0
	ds_store_b128 v5, v[1:4]
.LBB195_11:
	s_or_b32 exec_lo, exec_lo, s18
	v_or_b32_e32 v1, 0x100, v0
	s_mov_b32 s18, exec_lo
	s_delay_alu instid0(VALU_DEP_1) | instskip(NEXT) | instid1(VALU_DEP_1)
	v_lshrrev_b32_e32 v1, s12, v1
	v_add_nc_u32_e32 v1, s15, v1
	s_delay_alu instid0(VALU_DEP_1)
	v_cmpx_gt_u32_e64 s17, v1
	s_cbranch_execz .LBB195_15
; %bb.12:
	v_dual_mov_b32 v2, 0 :: v_dual_add_nc_u32 v1, s14, v1
	s_delay_alu instid0(VALU_DEP_1) | instskip(NEXT) | instid1(VALU_DEP_1)
	v_lshlrev_b64 v[1:2], 2, v[1:2]
	v_add_co_u32 v1, vcc_lo, s8, v1
	s_delay_alu instid0(VALU_DEP_2) | instskip(SKIP_3) | instid1(VALU_DEP_1)
	v_add_co_ci_u32_e32 v2, vcc_lo, s9, v2, vcc_lo
	global_load_b32 v1, v[1:2], off
	s_waitcnt vmcnt(0)
	v_ashrrev_i32_e32 v2, 31, v1
	v_lshlrev_b64 v[1:2], 3, v[1:2]
	s_delay_alu instid0(VALU_DEP_1) | instskip(NEXT) | instid1(VALU_DEP_2)
	v_add_co_u32 v1, vcc_lo, s0, v1
	v_add_co_ci_u32_e32 v2, vcc_lo, s1, v2, vcc_lo
	global_load_b128 v[5:8], v[1:2], off
	v_mov_b32_e32 v1, 0
	v_mov_b32_e32 v2, 0
	s_waitcnt vmcnt(0)
	v_sub_co_u32 v3, vcc_lo, v7, v5
	v_sub_co_ci_u32_e32 v4, vcc_lo, v8, v6, vcc_lo
	s_delay_alu instid0(VALU_DEP_1)
	v_cmp_gt_i64_e32 vcc_lo, v[3:4], v[21:22]
	v_dual_mov_b32 v4, v2 :: v_dual_mov_b32 v3, v1
	s_and_saveexec_b32 s19, vcc_lo
	s_cbranch_execz .LBB195_14
; %bb.13:
	v_sub_co_u32 v1, vcc_lo, v5, s16
	v_subrev_co_ci_u32_e32 v2, vcc_lo, 0, v6, vcc_lo
	s_delay_alu instid0(VALU_DEP_2) | instskip(NEXT) | instid1(VALU_DEP_2)
	v_add_co_u32 v1, vcc_lo, v1, v21
	v_add_co_ci_u32_e32 v2, vcc_lo, 0, v2, vcc_lo
	s_delay_alu instid0(VALU_DEP_1) | instskip(SKIP_1) | instid1(VALU_DEP_2)
	v_lshlrev_b64 v[3:4], 2, v[1:2]
	v_lshlrev_b64 v[1:2], 3, v[1:2]
	v_add_co_u32 v3, vcc_lo, s2, v3
	s_delay_alu instid0(VALU_DEP_3) | instskip(NEXT) | instid1(VALU_DEP_3)
	v_add_co_ci_u32_e32 v4, vcc_lo, s3, v4, vcc_lo
	v_add_co_u32 v1, vcc_lo, s4, v1
	s_delay_alu instid0(VALU_DEP_4)
	v_add_co_ci_u32_e32 v2, vcc_lo, s5, v2, vcc_lo
	global_load_b32 v3, v[3:4], off
	global_load_b64 v[1:2], v[1:2], off
	s_waitcnt vmcnt(1)
	v_subrev_nc_u32_e32 v3, s16, v3
	s_waitcnt vmcnt(0)
	v_fma_f64 v[7:8], v[15:16], v[1:2], v[19:20]
	v_fma_f64 v[1:2], v[13:14], v[1:2], v[17:18]
	s_delay_alu instid0(VALU_DEP_3) | instskip(NEXT) | instid1(VALU_DEP_1)
	v_ashrrev_i32_e32 v4, 31, v3
	v_lshlrev_b64 v[3:4], 4, v[3:4]
	s_delay_alu instid0(VALU_DEP_1) | instskip(NEXT) | instid1(VALU_DEP_2)
	v_add_co_u32 v3, vcc_lo, s6, v3
	v_add_co_ci_u32_e32 v4, vcc_lo, s7, v4, vcc_lo
	global_load_b128 v[3:6], v[3:4], off
	s_waitcnt vmcnt(0)
	v_mul_f64 v[23:24], v[5:6], -v[7:8]
	v_mul_f64 v[5:6], v[1:2], v[5:6]
	s_delay_alu instid0(VALU_DEP_2) | instskip(NEXT) | instid1(VALU_DEP_2)
	v_fma_f64 v[1:2], v[1:2], v[3:4], v[23:24]
	v_fma_f64 v[3:4], v[7:8], v[3:4], v[5:6]
.LBB195_14:
	s_or_b32 exec_lo, exec_lo, s19
	v_lshlrev_b32_e32 v5, 4, v0
	ds_store_b128 v5, v[1:4] offset:4096
.LBB195_15:
	s_or_b32 exec_lo, exec_lo, s18
	v_or_b32_e32 v1, 0x200, v0
	s_mov_b32 s18, exec_lo
	s_delay_alu instid0(VALU_DEP_1) | instskip(NEXT) | instid1(VALU_DEP_1)
	v_lshrrev_b32_e32 v1, s12, v1
	v_add_nc_u32_e32 v1, s15, v1
	s_delay_alu instid0(VALU_DEP_1)
	v_cmpx_gt_u32_e64 s17, v1
	s_cbranch_execz .LBB195_19
; %bb.16:
	v_dual_mov_b32 v2, 0 :: v_dual_add_nc_u32 v1, s14, v1
	s_delay_alu instid0(VALU_DEP_1) | instskip(NEXT) | instid1(VALU_DEP_1)
	v_lshlrev_b64 v[1:2], 2, v[1:2]
	v_add_co_u32 v1, vcc_lo, s8, v1
	s_delay_alu instid0(VALU_DEP_2) | instskip(SKIP_3) | instid1(VALU_DEP_1)
	v_add_co_ci_u32_e32 v2, vcc_lo, s9, v2, vcc_lo
	global_load_b32 v1, v[1:2], off
	s_waitcnt vmcnt(0)
	v_ashrrev_i32_e32 v2, 31, v1
	v_lshlrev_b64 v[1:2], 3, v[1:2]
	s_delay_alu instid0(VALU_DEP_1) | instskip(NEXT) | instid1(VALU_DEP_2)
	v_add_co_u32 v1, vcc_lo, s0, v1
	v_add_co_ci_u32_e32 v2, vcc_lo, s1, v2, vcc_lo
	global_load_b128 v[5:8], v[1:2], off
	v_mov_b32_e32 v1, 0
	v_mov_b32_e32 v2, 0
	s_waitcnt vmcnt(0)
	v_sub_co_u32 v3, vcc_lo, v7, v5
	v_sub_co_ci_u32_e32 v4, vcc_lo, v8, v6, vcc_lo
	s_delay_alu instid0(VALU_DEP_1)
	v_cmp_gt_i64_e32 vcc_lo, v[3:4], v[21:22]
	v_dual_mov_b32 v4, v2 :: v_dual_mov_b32 v3, v1
	s_and_saveexec_b32 s19, vcc_lo
	s_cbranch_execz .LBB195_18
; %bb.17:
	v_sub_co_u32 v1, vcc_lo, v5, s16
	v_subrev_co_ci_u32_e32 v2, vcc_lo, 0, v6, vcc_lo
	s_delay_alu instid0(VALU_DEP_2) | instskip(NEXT) | instid1(VALU_DEP_2)
	v_add_co_u32 v1, vcc_lo, v1, v21
	v_add_co_ci_u32_e32 v2, vcc_lo, 0, v2, vcc_lo
	s_delay_alu instid0(VALU_DEP_1) | instskip(SKIP_1) | instid1(VALU_DEP_2)
	v_lshlrev_b64 v[3:4], 2, v[1:2]
	v_lshlrev_b64 v[1:2], 3, v[1:2]
	v_add_co_u32 v3, vcc_lo, s2, v3
	s_delay_alu instid0(VALU_DEP_3) | instskip(NEXT) | instid1(VALU_DEP_3)
	v_add_co_ci_u32_e32 v4, vcc_lo, s3, v4, vcc_lo
	v_add_co_u32 v1, vcc_lo, s4, v1
	s_delay_alu instid0(VALU_DEP_4)
	v_add_co_ci_u32_e32 v2, vcc_lo, s5, v2, vcc_lo
	global_load_b32 v3, v[3:4], off
	global_load_b64 v[1:2], v[1:2], off
	s_waitcnt vmcnt(1)
	v_subrev_nc_u32_e32 v3, s16, v3
	s_waitcnt vmcnt(0)
	v_fma_f64 v[7:8], v[15:16], v[1:2], v[19:20]
	v_fma_f64 v[1:2], v[13:14], v[1:2], v[17:18]
	s_delay_alu instid0(VALU_DEP_3) | instskip(NEXT) | instid1(VALU_DEP_1)
	v_ashrrev_i32_e32 v4, 31, v3
	v_lshlrev_b64 v[3:4], 4, v[3:4]
	s_delay_alu instid0(VALU_DEP_1) | instskip(NEXT) | instid1(VALU_DEP_2)
	v_add_co_u32 v3, vcc_lo, s6, v3
	v_add_co_ci_u32_e32 v4, vcc_lo, s7, v4, vcc_lo
	global_load_b128 v[3:6], v[3:4], off
	s_waitcnt vmcnt(0)
	v_mul_f64 v[23:24], v[5:6], -v[7:8]
	v_mul_f64 v[5:6], v[1:2], v[5:6]
	s_delay_alu instid0(VALU_DEP_2) | instskip(NEXT) | instid1(VALU_DEP_2)
	v_fma_f64 v[1:2], v[1:2], v[3:4], v[23:24]
	v_fma_f64 v[3:4], v[7:8], v[3:4], v[5:6]
.LBB195_18:
	s_or_b32 exec_lo, exec_lo, s19
	v_lshlrev_b32_e32 v5, 4, v0
	ds_store_b128 v5, v[1:4] offset:8192
.LBB195_19:
	s_or_b32 exec_lo, exec_lo, s18
	v_or_b32_e32 v1, 0x300, v0
	s_mov_b32 s18, exec_lo
	s_delay_alu instid0(VALU_DEP_1) | instskip(NEXT) | instid1(VALU_DEP_1)
	v_lshrrev_b32_e32 v1, s12, v1
	v_add_nc_u32_e32 v1, s15, v1
	s_delay_alu instid0(VALU_DEP_1)
	v_cmpx_gt_u32_e64 s17, v1
	s_cbranch_execz .LBB195_23
; %bb.20:
	v_dual_mov_b32 v2, 0 :: v_dual_add_nc_u32 v1, s14, v1
	s_delay_alu instid0(VALU_DEP_1) | instskip(NEXT) | instid1(VALU_DEP_1)
	v_lshlrev_b64 v[1:2], 2, v[1:2]
	v_add_co_u32 v1, vcc_lo, s8, v1
	s_delay_alu instid0(VALU_DEP_2) | instskip(SKIP_3) | instid1(VALU_DEP_1)
	v_add_co_ci_u32_e32 v2, vcc_lo, s9, v2, vcc_lo
	global_load_b32 v1, v[1:2], off
	s_waitcnt vmcnt(0)
	v_ashrrev_i32_e32 v2, 31, v1
	v_lshlrev_b64 v[1:2], 3, v[1:2]
	s_delay_alu instid0(VALU_DEP_1) | instskip(NEXT) | instid1(VALU_DEP_2)
	v_add_co_u32 v1, vcc_lo, s0, v1
	v_add_co_ci_u32_e32 v2, vcc_lo, s1, v2, vcc_lo
	global_load_b128 v[5:8], v[1:2], off
	v_mov_b32_e32 v1, 0
	v_mov_b32_e32 v2, 0
	s_waitcnt vmcnt(0)
	v_sub_co_u32 v3, vcc_lo, v7, v5
	v_sub_co_ci_u32_e32 v4, vcc_lo, v8, v6, vcc_lo
	s_delay_alu instid0(VALU_DEP_1)
	v_cmp_gt_i64_e32 vcc_lo, v[3:4], v[21:22]
	v_dual_mov_b32 v4, v2 :: v_dual_mov_b32 v3, v1
	s_and_saveexec_b32 s0, vcc_lo
	s_cbranch_execz .LBB195_22
; %bb.21:
	v_sub_co_u32 v1, vcc_lo, v5, s16
	v_subrev_co_ci_u32_e32 v2, vcc_lo, 0, v6, vcc_lo
	s_delay_alu instid0(VALU_DEP_2) | instskip(NEXT) | instid1(VALU_DEP_2)
	v_add_co_u32 v1, vcc_lo, v1, v21
	v_add_co_ci_u32_e32 v2, vcc_lo, 0, v2, vcc_lo
	s_delay_alu instid0(VALU_DEP_1) | instskip(SKIP_1) | instid1(VALU_DEP_2)
	v_lshlrev_b64 v[3:4], 2, v[1:2]
	v_lshlrev_b64 v[1:2], 3, v[1:2]
	v_add_co_u32 v3, vcc_lo, s2, v3
	s_delay_alu instid0(VALU_DEP_3) | instskip(NEXT) | instid1(VALU_DEP_3)
	v_add_co_ci_u32_e32 v4, vcc_lo, s3, v4, vcc_lo
	v_add_co_u32 v1, vcc_lo, s4, v1
	s_delay_alu instid0(VALU_DEP_4)
	v_add_co_ci_u32_e32 v2, vcc_lo, s5, v2, vcc_lo
	global_load_b32 v3, v[3:4], off
	global_load_b64 v[1:2], v[1:2], off
	s_waitcnt vmcnt(1)
	v_subrev_nc_u32_e32 v3, s16, v3
	s_waitcnt vmcnt(0)
	v_fma_f64 v[7:8], v[15:16], v[1:2], v[19:20]
	v_fma_f64 v[1:2], v[13:14], v[1:2], v[17:18]
	s_delay_alu instid0(VALU_DEP_3) | instskip(NEXT) | instid1(VALU_DEP_1)
	v_ashrrev_i32_e32 v4, 31, v3
	v_lshlrev_b64 v[3:4], 4, v[3:4]
	s_delay_alu instid0(VALU_DEP_1) | instskip(NEXT) | instid1(VALU_DEP_2)
	v_add_co_u32 v3, vcc_lo, s6, v3
	v_add_co_ci_u32_e32 v4, vcc_lo, s7, v4, vcc_lo
	global_load_b128 v[3:6], v[3:4], off
	s_waitcnt vmcnt(0)
	v_mul_f64 v[13:14], v[5:6], -v[7:8]
	v_mul_f64 v[5:6], v[1:2], v[5:6]
	s_delay_alu instid0(VALU_DEP_2) | instskip(NEXT) | instid1(VALU_DEP_2)
	v_fma_f64 v[1:2], v[1:2], v[3:4], v[13:14]
	v_fma_f64 v[3:4], v[7:8], v[3:4], v[5:6]
.LBB195_22:
	s_or_b32 exec_lo, exec_lo, s0
	v_lshlrev_b32_e32 v5, 4, v0
	ds_store_b128 v5, v[1:4] offset:12288
.LBB195_23:
	s_or_b32 exec_lo, exec_lo, s18
	s_cmp_lt_u32 s12, 11
	s_waitcnt vmcnt(0) lgkmcnt(0)
	s_waitcnt_vscnt null, 0x0
	s_barrier
	buffer_gl0_inv
	s_cbranch_scc0 .LBB195_32
; %bb.24:
	v_cmp_neq_f64_e32 vcc_lo, 0, v[9:10]
	v_cmp_neq_f64_e64 s0, 0, v[11:12]
	v_mov_b32_e32 v5, 0
	s_sub_i32 s1, s17, s15
	s_add_i32 s14, s14, s15
	s_mov_b32 s2, 0
	s_delay_alu instid0(VALU_DEP_2)
	s_or_b32 s0, vcc_lo, s0
	s_branch .LBB195_27
.LBB195_25:                             ;   in Loop: Header=BB195_27 Depth=1
	s_or_b32 exec_lo, exec_lo, s4
	s_delay_alu instid0(VALU_DEP_1) | instskip(NEXT) | instid1(VALU_DEP_2)
	v_add_co_u32 v6, vcc_lo, s10, v6
	v_add_co_ci_u32_e32 v7, vcc_lo, s11, v7, vcc_lo
	global_store_b128 v[6:7], v[1:4], off
.LBB195_26:                             ;   in Loop: Header=BB195_27 Depth=1
	s_or_b32 exec_lo, exec_lo, s3
	s_addk_i32 s2, 0x100
	s_delay_alu instid0(SALU_CYCLE_1)
	s_cmp_lt_u32 s2, s13
	s_cbranch_scc0 .LBB195_32
.LBB195_27:                             ; =>This Loop Header: Depth=1
                                        ;     Child Loop BB195_29 Depth 2
	v_add_nc_u32_e32 v1, s2, v0
	s_mov_b32 s3, exec_lo
	s_delay_alu instid0(VALU_DEP_1)
	v_cmpx_gt_u32_e64 s1, v1
	s_cbranch_execz .LBB195_26
; %bb.28:                               ;   in Loop: Header=BB195_27 Depth=1
	v_add_nc_u32_e32 v4, s14, v1
	v_lshlrev_b32_e32 v1, s12, v1
	s_mov_b32 s4, 1
	s_delay_alu instid0(VALU_DEP_2) | instskip(NEXT) | instid1(VALU_DEP_1)
	v_lshlrev_b64 v[2:3], 2, v[4:5]
	v_add_co_u32 v2, vcc_lo, s8, v2
	s_delay_alu instid0(VALU_DEP_2) | instskip(SKIP_3) | instid1(VALU_DEP_1)
	v_add_co_ci_u32_e32 v3, vcc_lo, s9, v3, vcc_lo
	global_load_b32 v6, v[2:3], off
	v_mov_b32_e32 v3, 0
	v_dual_mov_b32 v4, 0 :: v_dual_lshlrev_b32 v7, 4, v1
	v_dual_mov_b32 v1, v3 :: v_dual_mov_b32 v2, v4
.LBB195_29:                             ;   Parent Loop BB195_27 Depth=1
                                        ; =>  This Inner Loop Header: Depth=2
	ds_load_b128 v[13:16], v7
	v_add_nc_u32_e32 v7, 16, v7
	s_lshr_b32 s5, s4, s12
	s_add_i32 s4, s4, 1
	s_cmp_lg_u32 s5, 0
	s_waitcnt lgkmcnt(0)
	v_add_f64 v[1:2], v[1:2], v[13:14]
	v_add_f64 v[3:4], v[3:4], v[15:16]
	s_cbranch_scc0 .LBB195_29
; %bb.30:                               ;   in Loop: Header=BB195_27 Depth=1
	s_waitcnt vmcnt(0)
	v_ashrrev_i32_e32 v7, 31, v6
	s_delay_alu instid0(VALU_DEP_1)
	v_lshlrev_b64 v[6:7], 4, v[6:7]
	s_and_saveexec_b32 s4, s0
	s_cbranch_execz .LBB195_25
; %bb.31:                               ;   in Loop: Header=BB195_27 Depth=1
	s_delay_alu instid0(VALU_DEP_1) | instskip(NEXT) | instid1(VALU_DEP_2)
	v_add_co_u32 v13, vcc_lo, s10, v6
	v_add_co_ci_u32_e32 v14, vcc_lo, s11, v7, vcc_lo
	global_load_b128 v[13:16], v[13:14], off
	s_waitcnt vmcnt(0)
	v_fma_f64 v[1:2], v[9:10], v[13:14], v[1:2]
	v_fma_f64 v[3:4], v[11:12], v[13:14], v[3:4]
	s_delay_alu instid0(VALU_DEP_2) | instskip(NEXT) | instid1(VALU_DEP_2)
	v_fma_f64 v[1:2], -v[11:12], v[15:16], v[1:2]
	v_fma_f64 v[3:4], v[9:10], v[15:16], v[3:4]
	s_branch .LBB195_25
.LBB195_32:
	s_endpgm
	.section	.rodata,"a",@progbits
	.p2align	6, 0x0
	.amdhsa_kernel _ZN9rocsparseL30csrmvn_lrb_short_rows_2_kernelIlid21rocsparse_complex_numIdES2_S2_EEvbT_PT0_S5_jNS_24const_host_device_scalarIT4_EEPKS3_PKS4_PKT1_PKT2_S8_PT3_21rocsparse_index_base_b
		.amdhsa_group_segment_fixed_size 16384
		.amdhsa_private_segment_fixed_size 24
		.amdhsa_kernarg_size 120
		.amdhsa_user_sgpr_count 15
		.amdhsa_user_sgpr_dispatch_ptr 0
		.amdhsa_user_sgpr_queue_ptr 0
		.amdhsa_user_sgpr_kernarg_segment_ptr 1
		.amdhsa_user_sgpr_dispatch_id 0
		.amdhsa_user_sgpr_private_segment_size 0
		.amdhsa_wavefront_size32 1
		.amdhsa_uses_dynamic_stack 0
		.amdhsa_enable_private_segment 1
		.amdhsa_system_sgpr_workgroup_id_x 1
		.amdhsa_system_sgpr_workgroup_id_y 0
		.amdhsa_system_sgpr_workgroup_id_z 0
		.amdhsa_system_sgpr_workgroup_info 0
		.amdhsa_system_vgpr_workitem_id 0
		.amdhsa_next_free_vgpr 25
		.amdhsa_next_free_sgpr 20
		.amdhsa_reserve_vcc 1
		.amdhsa_float_round_mode_32 0
		.amdhsa_float_round_mode_16_64 0
		.amdhsa_float_denorm_mode_32 3
		.amdhsa_float_denorm_mode_16_64 3
		.amdhsa_dx10_clamp 1
		.amdhsa_ieee_mode 1
		.amdhsa_fp16_overflow 0
		.amdhsa_workgroup_processor_mode 1
		.amdhsa_memory_ordered 1
		.amdhsa_forward_progress 0
		.amdhsa_shared_vgpr_count 0
		.amdhsa_exception_fp_ieee_invalid_op 0
		.amdhsa_exception_fp_denorm_src 0
		.amdhsa_exception_fp_ieee_div_zero 0
		.amdhsa_exception_fp_ieee_overflow 0
		.amdhsa_exception_fp_ieee_underflow 0
		.amdhsa_exception_fp_ieee_inexact 0
		.amdhsa_exception_int_div_zero 0
	.end_amdhsa_kernel
	.section	.text._ZN9rocsparseL30csrmvn_lrb_short_rows_2_kernelIlid21rocsparse_complex_numIdES2_S2_EEvbT_PT0_S5_jNS_24const_host_device_scalarIT4_EEPKS3_PKS4_PKT1_PKT2_S8_PT3_21rocsparse_index_base_b,"axG",@progbits,_ZN9rocsparseL30csrmvn_lrb_short_rows_2_kernelIlid21rocsparse_complex_numIdES2_S2_EEvbT_PT0_S5_jNS_24const_host_device_scalarIT4_EEPKS3_PKS4_PKT1_PKT2_S8_PT3_21rocsparse_index_base_b,comdat
.Lfunc_end195:
	.size	_ZN9rocsparseL30csrmvn_lrb_short_rows_2_kernelIlid21rocsparse_complex_numIdES2_S2_EEvbT_PT0_S5_jNS_24const_host_device_scalarIT4_EEPKS3_PKS4_PKT1_PKT2_S8_PT3_21rocsparse_index_base_b, .Lfunc_end195-_ZN9rocsparseL30csrmvn_lrb_short_rows_2_kernelIlid21rocsparse_complex_numIdES2_S2_EEvbT_PT0_S5_jNS_24const_host_device_scalarIT4_EEPKS3_PKS4_PKT1_PKT2_S8_PT3_21rocsparse_index_base_b
                                        ; -- End function
	.section	.AMDGPU.csdata,"",@progbits
; Kernel info:
; codeLenInByte = 2384
; NumSgprs: 22
; NumVgprs: 25
; ScratchSize: 24
; MemoryBound: 0
; FloatMode: 240
; IeeeMode: 1
; LDSByteSize: 16384 bytes/workgroup (compile time only)
; SGPRBlocks: 2
; VGPRBlocks: 3
; NumSGPRsForWavesPerEU: 22
; NumVGPRsForWavesPerEU: 25
; Occupancy: 16
; WaveLimiterHint : 1
; COMPUTE_PGM_RSRC2:SCRATCH_EN: 1
; COMPUTE_PGM_RSRC2:USER_SGPR: 15
; COMPUTE_PGM_RSRC2:TRAP_HANDLER: 0
; COMPUTE_PGM_RSRC2:TGID_X_EN: 1
; COMPUTE_PGM_RSRC2:TGID_Y_EN: 0
; COMPUTE_PGM_RSRC2:TGID_Z_EN: 0
; COMPUTE_PGM_RSRC2:TIDIG_COMP_CNT: 0
	.section	.text._ZN9rocsparseL41csrmvn_lrb_medium_rows_warp_reduce_kernelILj256ELj32Elid21rocsparse_complex_numIdES2_S2_EEvbT1_lPT2_S5_jNS_24const_host_device_scalarIT6_EEPKS3_PKS4_PKT3_PKT4_S8_PT5_21rocsparse_index_base_b,"axG",@progbits,_ZN9rocsparseL41csrmvn_lrb_medium_rows_warp_reduce_kernelILj256ELj32Elid21rocsparse_complex_numIdES2_S2_EEvbT1_lPT2_S5_jNS_24const_host_device_scalarIT6_EEPKS3_PKS4_PKT3_PKT4_S8_PT5_21rocsparse_index_base_b,comdat
	.globl	_ZN9rocsparseL41csrmvn_lrb_medium_rows_warp_reduce_kernelILj256ELj32Elid21rocsparse_complex_numIdES2_S2_EEvbT1_lPT2_S5_jNS_24const_host_device_scalarIT6_EEPKS3_PKS4_PKT3_PKT4_S8_PT5_21rocsparse_index_base_b ; -- Begin function _ZN9rocsparseL41csrmvn_lrb_medium_rows_warp_reduce_kernelILj256ELj32Elid21rocsparse_complex_numIdES2_S2_EEvbT1_lPT2_S5_jNS_24const_host_device_scalarIT6_EEPKS3_PKS4_PKT3_PKT4_S8_PT5_21rocsparse_index_base_b
	.p2align	8
	.type	_ZN9rocsparseL41csrmvn_lrb_medium_rows_warp_reduce_kernelILj256ELj32Elid21rocsparse_complex_numIdES2_S2_EEvbT1_lPT2_S5_jNS_24const_host_device_scalarIT6_EEPKS3_PKS4_PKT3_PKT4_S8_PT5_21rocsparse_index_base_b,@function
_ZN9rocsparseL41csrmvn_lrb_medium_rows_warp_reduce_kernelILj256ELj32Elid21rocsparse_complex_numIdES2_S2_EEvbT1_lPT2_S5_jNS_24const_host_device_scalarIT6_EEPKS3_PKS4_PKT3_PKT4_S8_PT5_21rocsparse_index_base_b: ; @_ZN9rocsparseL41csrmvn_lrb_medium_rows_warp_reduce_kernelILj256ELj32Elid21rocsparse_complex_numIdES2_S2_EEvbT1_lPT2_S5_jNS_24const_host_device_scalarIT6_EEPKS3_PKS4_PKT3_PKT4_S8_PT5_21rocsparse_index_base_b
; %bb.0:
	s_clause 0x1
	s_load_b64 s[12:13], s[2:3], 0x78
	s_load_b128 s[4:7], s[2:3], 0x30
	s_load_b64 s[16:17], s[0:1], 0x4
	s_mov_b64 s[0:1], src_shared_base
	v_and_b32_e32 v10, 0x3ff, v0
	s_load_b128 s[8:11], s[2:3], 0x60
	v_bfe_u32 v2, v0, 10, 10
	v_bfe_u32 v0, v0, 20, 10
	s_waitcnt lgkmcnt(0)
	s_bitcmp1_b32 s13, 0
	s_cselect_b32 s0, -1, 0
	s_delay_alu instid0(SALU_CYCLE_1) | instskip(SKIP_4) | instid1(SALU_CYCLE_1)
	s_and_b32 vcc_lo, s0, exec_lo
	s_cselect_b32 s13, s1, s5
	s_lshr_b32 s14, s16, 16
	v_mov_b32_e32 v6, s13
	s_mul_i32 s14, s14, s17
	v_mul_lo_u32 v1, s14, v10
	s_delay_alu instid0(VALU_DEP_1) | instskip(SKIP_1) | instid1(VALU_DEP_2)
	v_mad_u32_u24 v1, v2, s17, v1
	v_dual_mov_b32 v2, s8 :: v_dual_mov_b32 v3, s9
	v_add_lshl_u32 v4, v1, v0, 3
	v_dual_mov_b32 v0, s4 :: v_dual_mov_b32 v1, s5
	s_delay_alu instid0(VALU_DEP_2)
	v_add_nc_u32_e32 v5, 0x800, v4
	ds_store_2addr_stride64_b64 v4, v[2:3], v[0:1] offset1:4
	v_dual_mov_b32 v2, s6 :: v_dual_mov_b32 v3, s7
	v_cndmask_b32_e64 v5, s4, v5, s0
	s_xor_b32 s6, s0, -1
	flat_load_b64 v[0:1], v[5:6]
	s_cbranch_vccnz .LBB196_2
; %bb.1:
	v_dual_mov_b32 v2, s4 :: v_dual_mov_b32 v3, s5
	flat_load_b64 v[2:3], v[2:3] offset:8
.LBB196_2:
	s_and_b32 s4, s0, exec_lo
	s_cselect_b32 s1, s1, s9
	v_cndmask_b32_e64 v4, s8, v4, s0
	v_dual_mov_b32 v5, s1 :: v_dual_mov_b32 v6, s10
	v_mov_b32_e32 v7, s11
	s_and_not1_b32 vcc_lo, exec_lo, s6
	flat_load_b64 v[4:5], v[4:5]
	s_cbranch_vccnz .LBB196_4
; %bb.3:
	v_dual_mov_b32 v6, s8 :: v_dual_mov_b32 v7, s9
	flat_load_b64 v[6:7], v[6:7] offset:8
.LBB196_4:
	s_waitcnt vmcnt(1) lgkmcnt(1)
	v_cmp_eq_f64_e32 vcc_lo, 0, v[0:1]
	v_cmp_eq_f64_e64 s0, 0, v[2:3]
	s_delay_alu instid0(VALU_DEP_1)
	s_and_b32 s4, vcc_lo, s0
	s_mov_b32 s0, -1
	s_and_saveexec_b32 s1, s4
	s_cbranch_execz .LBB196_6
; %bb.5:
	s_waitcnt vmcnt(0) lgkmcnt(0)
	v_cmp_neq_f64_e32 vcc_lo, 1.0, v[4:5]
	v_cmp_neq_f64_e64 s0, 0, v[6:7]
	s_delay_alu instid0(VALU_DEP_1) | instskip(NEXT) | instid1(SALU_CYCLE_1)
	s_or_b32 s0, vcc_lo, s0
	s_or_not1_b32 s0, s0, exec_lo
.LBB196_6:
	s_or_b32 exec_lo, exec_lo, s1
	s_and_saveexec_b32 s1, s0
	s_cbranch_execz .LBB196_16
; %bb.7:
	s_load_b64 s[0:1], s[2:3], 0x10
	v_lshrrev_b32_e32 v8, 5, v10
	s_delay_alu instid0(VALU_DEP_1) | instskip(NEXT) | instid1(VALU_DEP_1)
	v_lshl_or_b32 v8, s15, 3, v8
	v_ashrrev_i32_e32 v9, 31, v8
	s_waitcnt lgkmcnt(0)
	s_delay_alu instid0(VALU_DEP_1)
	v_cmp_gt_i64_e32 vcc_lo, s[0:1], v[8:9]
	s_and_b32 exec_lo, exec_lo, vcc_lo
	s_cbranch_execz .LBB196_16
; %bb.8:
	s_clause 0x1
	s_load_b32 s0, s[2:3], 0x28
	s_load_b128 s[4:7], s[2:3], 0x18
	s_mov_b32 s1, 0
	v_and_b32_e32 v26, 31, v10
	s_waitcnt lgkmcnt(0)
	s_lshl_b64 s[8:9], s[0:1], 2
	s_delay_alu instid0(SALU_CYCLE_1)
	s_add_u32 s6, s6, s8
	s_addc_u32 s7, s7, s9
	s_load_b32 s0, s[6:7], 0x0
	s_mov_b32 s6, exec_lo
	s_waitcnt lgkmcnt(0)
	v_add_nc_u32_e32 v8, s0, v8
	v_sub_co_u32 v10, s0, v26, s12
	s_delay_alu instid0(VALU_DEP_2) | instskip(NEXT) | instid1(VALU_DEP_1)
	v_ashrrev_i32_e32 v9, 31, v8
	v_lshlrev_b64 v[8:9], 2, v[8:9]
	s_delay_alu instid0(VALU_DEP_1) | instskip(NEXT) | instid1(VALU_DEP_2)
	v_add_co_u32 v8, vcc_lo, s4, v8
	v_add_co_ci_u32_e32 v9, vcc_lo, s5, v9, vcc_lo
	s_load_b64 s[4:5], s[2:3], 0x40
	global_load_b32 v8, v[8:9], off
	s_waitcnt vmcnt(0)
	v_ashrrev_i32_e32 v9, 31, v8
	s_delay_alu instid0(VALU_DEP_1) | instskip(SKIP_1) | instid1(VALU_DEP_1)
	v_lshlrev_b64 v[11:12], 3, v[8:9]
	s_waitcnt lgkmcnt(0)
	v_add_co_u32 v11, vcc_lo, s4, v11
	s_delay_alu instid0(VALU_DEP_2)
	v_add_co_ci_u32_e32 v12, vcc_lo, s5, v12, vcc_lo
	s_load_b64 s[4:5], s[2:3], 0x70
	global_load_b128 v[12:15], v[11:12], off
	v_sub_co_ci_u32_e64 v11, null, 0, 0, s0
	s_waitcnt vmcnt(0)
	v_sub_co_u32 v14, vcc_lo, v14, s12
	v_subrev_co_ci_u32_e32 v15, vcc_lo, 0, v15, vcc_lo
	v_add_co_u32 v16, vcc_lo, v12, v10
	v_add_co_ci_u32_e32 v17, vcc_lo, v13, v11, vcc_lo
	v_mov_b32_e32 v10, 0
	v_mov_b32_e32 v11, 0
	s_delay_alu instid0(VALU_DEP_1) | instskip(NEXT) | instid1(VALU_DEP_4)
	v_dual_mov_b32 v13, v11 :: v_dual_mov_b32 v12, v10
	v_cmpx_lt_i64_e64 v[16:17], v[14:15]
	s_cbranch_execz .LBB196_12
; %bb.9:
	v_mul_f64 v[18:19], 0x80000000, v[2:3]
	v_mul_f64 v[20:21], v[0:1], 0
	s_clause 0x1
	s_load_b128 s[8:11], s[2:3], 0x48
	s_load_b64 s[2:3], s[2:3], 0x58
	v_lshlrev_b64 v[12:13], 3, v[16:17]
	v_lshlrev_b64 v[24:25], 2, v[16:17]
	v_mov_b32_e32 v10, 0
	v_mov_b32_e32 v11, 0
	s_waitcnt lgkmcnt(0)
	s_delay_alu instid0(VALU_DEP_4)
	v_add_co_u32 v22, vcc_lo, s10, v12
	v_add_co_ci_u32_e32 v23, vcc_lo, s11, v13, vcc_lo
	v_add_co_u32 v24, vcc_lo, s8, v24
	v_add_co_ci_u32_e32 v25, vcc_lo, s9, v25, vcc_lo
	v_dual_mov_b32 v13, v11 :: v_dual_mov_b32 v12, v10
	s_set_inst_prefetch_distance 0x1
	.p2align	6
.LBB196_10:                             ; =>This Inner Loop Header: Depth=1
	global_load_b32 v27, v[24:25], off
	global_load_b64 v[31:32], v[22:23], off
	v_add_co_u32 v24, s0, 0x80, v24
	s_delay_alu instid0(VALU_DEP_1)
	v_add_co_ci_u32_e64 v25, s0, 0, v25, s0
	s_waitcnt vmcnt(1)
	v_subrev_nc_u32_e32 v27, s12, v27
	s_waitcnt vmcnt(0)
	v_fma_f64 v[33:34], v[0:1], v[31:32], v[18:19]
	v_fma_f64 v[31:32], v[2:3], v[31:32], v[20:21]
	s_delay_alu instid0(VALU_DEP_3) | instskip(NEXT) | instid1(VALU_DEP_1)
	v_ashrrev_i32_e32 v28, 31, v27
	v_lshlrev_b64 v[27:28], 4, v[27:28]
	s_delay_alu instid0(VALU_DEP_1) | instskip(NEXT) | instid1(VALU_DEP_2)
	v_add_co_u32 v27, vcc_lo, s2, v27
	v_add_co_ci_u32_e32 v28, vcc_lo, s3, v28, vcc_lo
	v_add_co_u32 v16, vcc_lo, v16, 32
	v_add_co_ci_u32_e32 v17, vcc_lo, 0, v17, vcc_lo
	global_load_b128 v[27:30], v[27:28], off
	v_add_co_u32 v22, vcc_lo, 0x100, v22
	v_add_co_ci_u32_e32 v23, vcc_lo, 0, v23, vcc_lo
	v_cmp_ge_i64_e32 vcc_lo, v[16:17], v[14:15]
	s_or_b32 s1, vcc_lo, s1
	s_waitcnt vmcnt(0)
	v_fma_f64 v[12:13], v[33:34], v[27:28], v[12:13]
	v_fma_f64 v[10:11], v[31:32], v[27:28], v[10:11]
	s_delay_alu instid0(VALU_DEP_2) | instskip(NEXT) | instid1(VALU_DEP_2)
	v_fma_f64 v[12:13], -v[31:32], v[29:30], v[12:13]
	v_fma_f64 v[10:11], v[33:34], v[29:30], v[10:11]
	s_and_not1_b32 exec_lo, exec_lo, s1
	s_cbranch_execnz .LBB196_10
; %bb.11:
	s_set_inst_prefetch_distance 0x2
	s_or_b32 exec_lo, exec_lo, s1
.LBB196_12:
	s_delay_alu instid0(SALU_CYCLE_1) | instskip(SKIP_1) | instid1(VALU_DEP_1)
	s_or_b32 exec_lo, exec_lo, s6
	v_mbcnt_lo_u32_b32 v14, -1, 0
	v_xor_b32_e32 v0, 16, v14
	s_delay_alu instid0(VALU_DEP_1) | instskip(SKIP_1) | instid1(VALU_DEP_1)
	v_cmp_gt_i32_e32 vcc_lo, 32, v0
	v_cndmask_b32_e32 v0, v14, v0, vcc_lo
	v_lshlrev_b32_e32 v3, 2, v0
	ds_bpermute_b32 v0, v3, v12
	ds_bpermute_b32 v1, v3, v13
	;; [unrolled: 1-line block ×4, first 2 shown]
	s_waitcnt lgkmcnt(0)
	v_add_f64 v[0:1], v[12:13], v[0:1]
	v_add_f64 v[2:3], v[10:11], v[2:3]
	v_xor_b32_e32 v10, 8, v14
	s_delay_alu instid0(VALU_DEP_1) | instskip(SKIP_1) | instid1(VALU_DEP_1)
	v_cmp_gt_i32_e32 vcc_lo, 32, v10
	v_cndmask_b32_e32 v10, v14, v10, vcc_lo
	v_lshlrev_b32_e32 v13, 2, v10
	ds_bpermute_b32 v10, v13, v0
	ds_bpermute_b32 v11, v13, v1
	;; [unrolled: 1-line block ×4, first 2 shown]
	s_waitcnt lgkmcnt(2)
	v_add_f64 v[0:1], v[0:1], v[10:11]
	v_xor_b32_e32 v10, 4, v14
	s_waitcnt lgkmcnt(0)
	v_add_f64 v[2:3], v[2:3], v[12:13]
	s_delay_alu instid0(VALU_DEP_2) | instskip(SKIP_1) | instid1(VALU_DEP_1)
	v_cmp_gt_i32_e32 vcc_lo, 32, v10
	v_cndmask_b32_e32 v10, v14, v10, vcc_lo
	v_lshlrev_b32_e32 v13, 2, v10
	ds_bpermute_b32 v10, v13, v0
	ds_bpermute_b32 v11, v13, v1
	;; [unrolled: 1-line block ×4, first 2 shown]
	s_waitcnt lgkmcnt(2)
	v_add_f64 v[0:1], v[0:1], v[10:11]
	v_xor_b32_e32 v10, 2, v14
	s_waitcnt lgkmcnt(0)
	v_add_f64 v[2:3], v[2:3], v[12:13]
	s_delay_alu instid0(VALU_DEP_2) | instskip(SKIP_1) | instid1(VALU_DEP_1)
	v_cmp_gt_i32_e32 vcc_lo, 32, v10
	v_cndmask_b32_e32 v10, v14, v10, vcc_lo
	v_lshlrev_b32_e32 v13, 2, v10
	ds_bpermute_b32 v10, v13, v0
	ds_bpermute_b32 v11, v13, v1
	;; [unrolled: 1-line block ×4, first 2 shown]
	s_waitcnt lgkmcnt(2)
	v_add_f64 v[0:1], v[0:1], v[10:11]
	v_xor_b32_e32 v10, 1, v14
	s_waitcnt lgkmcnt(0)
	v_add_f64 v[2:3], v[2:3], v[12:13]
	s_delay_alu instid0(VALU_DEP_2) | instskip(SKIP_2) | instid1(VALU_DEP_2)
	v_cmp_gt_i32_e32 vcc_lo, 32, v10
	v_cndmask_b32_e32 v10, v14, v10, vcc_lo
	v_cmp_eq_u32_e32 vcc_lo, 31, v26
	v_lshlrev_b32_e32 v13, 2, v10
	ds_bpermute_b32 v10, v13, v0
	ds_bpermute_b32 v11, v13, v1
	;; [unrolled: 1-line block ×4, first 2 shown]
	s_and_b32 exec_lo, exec_lo, vcc_lo
	s_cbranch_execz .LBB196_16
; %bb.13:
	v_cmp_neq_f64_e32 vcc_lo, 0, v[4:5]
	v_cmp_neq_f64_e64 s0, 0, v[6:7]
	s_waitcnt lgkmcnt(2)
	v_add_f64 v[0:1], v[0:1], v[10:11]
	s_waitcnt lgkmcnt(0)
	v_add_f64 v[2:3], v[2:3], v[12:13]
	v_lshlrev_b64 v[8:9], 4, v[8:9]
	s_delay_alu instid0(VALU_DEP_4) | instskip(NEXT) | instid1(SALU_CYCLE_1)
	s_or_b32 s1, vcc_lo, s0
	s_and_saveexec_b32 s0, s1
	s_cbranch_execz .LBB196_15
; %bb.14:
	s_delay_alu instid0(VALU_DEP_1) | instskip(NEXT) | instid1(VALU_DEP_2)
	v_add_co_u32 v10, vcc_lo, s4, v8
	v_add_co_ci_u32_e32 v11, vcc_lo, s5, v9, vcc_lo
	global_load_b128 v[10:13], v[10:11], off
	s_waitcnt vmcnt(0)
	v_fma_f64 v[0:1], v[4:5], v[10:11], v[0:1]
	v_fma_f64 v[2:3], v[6:7], v[10:11], v[2:3]
	s_delay_alu instid0(VALU_DEP_2) | instskip(NEXT) | instid1(VALU_DEP_2)
	v_fma_f64 v[0:1], -v[6:7], v[12:13], v[0:1]
	v_fma_f64 v[2:3], v[4:5], v[12:13], v[2:3]
.LBB196_15:
	s_or_b32 exec_lo, exec_lo, s0
	s_delay_alu instid0(VALU_DEP_1)
	v_add_co_u32 v4, vcc_lo, s4, v8
	v_add_co_ci_u32_e32 v5, vcc_lo, s5, v9, vcc_lo
	global_store_b128 v[4:5], v[0:3], off
.LBB196_16:
	s_nop 0
	s_sendmsg sendmsg(MSG_DEALLOC_VGPRS)
	s_endpgm
	.section	.rodata,"a",@progbits
	.p2align	6, 0x0
	.amdhsa_kernel _ZN9rocsparseL41csrmvn_lrb_medium_rows_warp_reduce_kernelILj256ELj32Elid21rocsparse_complex_numIdES2_S2_EEvbT1_lPT2_S5_jNS_24const_host_device_scalarIT6_EEPKS3_PKS4_PKT3_PKT4_S8_PT5_21rocsparse_index_base_b
		.amdhsa_group_segment_fixed_size 4096
		.amdhsa_private_segment_fixed_size 0
		.amdhsa_kernarg_size 128
		.amdhsa_user_sgpr_count 15
		.amdhsa_user_sgpr_dispatch_ptr 1
		.amdhsa_user_sgpr_queue_ptr 0
		.amdhsa_user_sgpr_kernarg_segment_ptr 1
		.amdhsa_user_sgpr_dispatch_id 0
		.amdhsa_user_sgpr_private_segment_size 0
		.amdhsa_wavefront_size32 1
		.amdhsa_uses_dynamic_stack 0
		.amdhsa_enable_private_segment 0
		.amdhsa_system_sgpr_workgroup_id_x 1
		.amdhsa_system_sgpr_workgroup_id_y 0
		.amdhsa_system_sgpr_workgroup_id_z 0
		.amdhsa_system_sgpr_workgroup_info 0
		.amdhsa_system_vgpr_workitem_id 2
		.amdhsa_next_free_vgpr 35
		.amdhsa_next_free_sgpr 18
		.amdhsa_reserve_vcc 1
		.amdhsa_float_round_mode_32 0
		.amdhsa_float_round_mode_16_64 0
		.amdhsa_float_denorm_mode_32 3
		.amdhsa_float_denorm_mode_16_64 3
		.amdhsa_dx10_clamp 1
		.amdhsa_ieee_mode 1
		.amdhsa_fp16_overflow 0
		.amdhsa_workgroup_processor_mode 1
		.amdhsa_memory_ordered 1
		.amdhsa_forward_progress 0
		.amdhsa_shared_vgpr_count 0
		.amdhsa_exception_fp_ieee_invalid_op 0
		.amdhsa_exception_fp_denorm_src 0
		.amdhsa_exception_fp_ieee_div_zero 0
		.amdhsa_exception_fp_ieee_overflow 0
		.amdhsa_exception_fp_ieee_underflow 0
		.amdhsa_exception_fp_ieee_inexact 0
		.amdhsa_exception_int_div_zero 0
	.end_amdhsa_kernel
	.section	.text._ZN9rocsparseL41csrmvn_lrb_medium_rows_warp_reduce_kernelILj256ELj32Elid21rocsparse_complex_numIdES2_S2_EEvbT1_lPT2_S5_jNS_24const_host_device_scalarIT6_EEPKS3_PKS4_PKT3_PKT4_S8_PT5_21rocsparse_index_base_b,"axG",@progbits,_ZN9rocsparseL41csrmvn_lrb_medium_rows_warp_reduce_kernelILj256ELj32Elid21rocsparse_complex_numIdES2_S2_EEvbT1_lPT2_S5_jNS_24const_host_device_scalarIT6_EEPKS3_PKS4_PKT3_PKT4_S8_PT5_21rocsparse_index_base_b,comdat
.Lfunc_end196:
	.size	_ZN9rocsparseL41csrmvn_lrb_medium_rows_warp_reduce_kernelILj256ELj32Elid21rocsparse_complex_numIdES2_S2_EEvbT1_lPT2_S5_jNS_24const_host_device_scalarIT6_EEPKS3_PKS4_PKT3_PKT4_S8_PT5_21rocsparse_index_base_b, .Lfunc_end196-_ZN9rocsparseL41csrmvn_lrb_medium_rows_warp_reduce_kernelILj256ELj32Elid21rocsparse_complex_numIdES2_S2_EEvbT1_lPT2_S5_jNS_24const_host_device_scalarIT6_EEPKS3_PKS4_PKT3_PKT4_S8_PT5_21rocsparse_index_base_b
                                        ; -- End function
	.section	.AMDGPU.csdata,"",@progbits
; Kernel info:
; codeLenInByte = 1496
; NumSgprs: 20
; NumVgprs: 35
; ScratchSize: 0
; MemoryBound: 0
; FloatMode: 240
; IeeeMode: 1
; LDSByteSize: 4096 bytes/workgroup (compile time only)
; SGPRBlocks: 2
; VGPRBlocks: 4
; NumSGPRsForWavesPerEU: 20
; NumVGPRsForWavesPerEU: 35
; Occupancy: 16
; WaveLimiterHint : 1
; COMPUTE_PGM_RSRC2:SCRATCH_EN: 0
; COMPUTE_PGM_RSRC2:USER_SGPR: 15
; COMPUTE_PGM_RSRC2:TRAP_HANDLER: 0
; COMPUTE_PGM_RSRC2:TGID_X_EN: 1
; COMPUTE_PGM_RSRC2:TGID_Y_EN: 0
; COMPUTE_PGM_RSRC2:TGID_Z_EN: 0
; COMPUTE_PGM_RSRC2:TIDIG_COMP_CNT: 2
	.section	.text._ZN9rocsparseL41csrmvn_lrb_medium_rows_warp_reduce_kernelILj256ELj64Elid21rocsparse_complex_numIdES2_S2_EEvbT1_lPT2_S5_jNS_24const_host_device_scalarIT6_EEPKS3_PKS4_PKT3_PKT4_S8_PT5_21rocsparse_index_base_b,"axG",@progbits,_ZN9rocsparseL41csrmvn_lrb_medium_rows_warp_reduce_kernelILj256ELj64Elid21rocsparse_complex_numIdES2_S2_EEvbT1_lPT2_S5_jNS_24const_host_device_scalarIT6_EEPKS3_PKS4_PKT3_PKT4_S8_PT5_21rocsparse_index_base_b,comdat
	.globl	_ZN9rocsparseL41csrmvn_lrb_medium_rows_warp_reduce_kernelILj256ELj64Elid21rocsparse_complex_numIdES2_S2_EEvbT1_lPT2_S5_jNS_24const_host_device_scalarIT6_EEPKS3_PKS4_PKT3_PKT4_S8_PT5_21rocsparse_index_base_b ; -- Begin function _ZN9rocsparseL41csrmvn_lrb_medium_rows_warp_reduce_kernelILj256ELj64Elid21rocsparse_complex_numIdES2_S2_EEvbT1_lPT2_S5_jNS_24const_host_device_scalarIT6_EEPKS3_PKS4_PKT3_PKT4_S8_PT5_21rocsparse_index_base_b
	.p2align	8
	.type	_ZN9rocsparseL41csrmvn_lrb_medium_rows_warp_reduce_kernelILj256ELj64Elid21rocsparse_complex_numIdES2_S2_EEvbT1_lPT2_S5_jNS_24const_host_device_scalarIT6_EEPKS3_PKS4_PKT3_PKT4_S8_PT5_21rocsparse_index_base_b,@function
_ZN9rocsparseL41csrmvn_lrb_medium_rows_warp_reduce_kernelILj256ELj64Elid21rocsparse_complex_numIdES2_S2_EEvbT1_lPT2_S5_jNS_24const_host_device_scalarIT6_EEPKS3_PKS4_PKT3_PKT4_S8_PT5_21rocsparse_index_base_b: ; @_ZN9rocsparseL41csrmvn_lrb_medium_rows_warp_reduce_kernelILj256ELj64Elid21rocsparse_complex_numIdES2_S2_EEvbT1_lPT2_S5_jNS_24const_host_device_scalarIT6_EEPKS3_PKS4_PKT3_PKT4_S8_PT5_21rocsparse_index_base_b
; %bb.0:
	s_clause 0x1
	s_load_b64 s[12:13], s[2:3], 0x78
	s_load_b128 s[4:7], s[2:3], 0x30
	s_load_b64 s[16:17], s[0:1], 0x4
	s_mov_b64 s[0:1], src_shared_base
	v_and_b32_e32 v10, 0x3ff, v0
	s_load_b128 s[8:11], s[2:3], 0x60
	v_bfe_u32 v2, v0, 10, 10
	v_bfe_u32 v0, v0, 20, 10
	s_waitcnt lgkmcnt(0)
	s_bitcmp1_b32 s13, 0
	s_cselect_b32 s0, -1, 0
	s_delay_alu instid0(SALU_CYCLE_1) | instskip(SKIP_4) | instid1(SALU_CYCLE_1)
	s_and_b32 vcc_lo, s0, exec_lo
	s_cselect_b32 s13, s1, s5
	s_lshr_b32 s14, s16, 16
	v_mov_b32_e32 v6, s13
	s_mul_i32 s14, s14, s17
	v_mul_lo_u32 v1, s14, v10
	s_delay_alu instid0(VALU_DEP_1) | instskip(SKIP_1) | instid1(VALU_DEP_2)
	v_mad_u32_u24 v1, v2, s17, v1
	v_dual_mov_b32 v2, s8 :: v_dual_mov_b32 v3, s9
	v_add_lshl_u32 v4, v1, v0, 3
	v_dual_mov_b32 v0, s4 :: v_dual_mov_b32 v1, s5
	s_delay_alu instid0(VALU_DEP_2)
	v_add_nc_u32_e32 v5, 0x800, v4
	ds_store_2addr_stride64_b64 v4, v[2:3], v[0:1] offset1:4
	v_dual_mov_b32 v2, s6 :: v_dual_mov_b32 v3, s7
	v_cndmask_b32_e64 v5, s4, v5, s0
	s_xor_b32 s6, s0, -1
	flat_load_b64 v[0:1], v[5:6]
	s_cbranch_vccnz .LBB197_2
; %bb.1:
	v_dual_mov_b32 v2, s4 :: v_dual_mov_b32 v3, s5
	flat_load_b64 v[2:3], v[2:3] offset:8
.LBB197_2:
	s_and_b32 s4, s0, exec_lo
	s_cselect_b32 s1, s1, s9
	v_cndmask_b32_e64 v4, s8, v4, s0
	v_dual_mov_b32 v5, s1 :: v_dual_mov_b32 v6, s10
	v_mov_b32_e32 v7, s11
	s_and_not1_b32 vcc_lo, exec_lo, s6
	flat_load_b64 v[4:5], v[4:5]
	s_cbranch_vccnz .LBB197_4
; %bb.3:
	v_dual_mov_b32 v6, s8 :: v_dual_mov_b32 v7, s9
	flat_load_b64 v[6:7], v[6:7] offset:8
.LBB197_4:
	s_waitcnt vmcnt(1) lgkmcnt(1)
	v_cmp_eq_f64_e32 vcc_lo, 0, v[0:1]
	v_cmp_eq_f64_e64 s0, 0, v[2:3]
	s_delay_alu instid0(VALU_DEP_1)
	s_and_b32 s4, vcc_lo, s0
	s_mov_b32 s0, -1
	s_and_saveexec_b32 s1, s4
	s_cbranch_execz .LBB197_6
; %bb.5:
	s_waitcnt vmcnt(0) lgkmcnt(0)
	v_cmp_neq_f64_e32 vcc_lo, 1.0, v[4:5]
	v_cmp_neq_f64_e64 s0, 0, v[6:7]
	s_delay_alu instid0(VALU_DEP_1) | instskip(NEXT) | instid1(SALU_CYCLE_1)
	s_or_b32 s0, vcc_lo, s0
	s_or_not1_b32 s0, s0, exec_lo
.LBB197_6:
	s_or_b32 exec_lo, exec_lo, s1
	s_and_saveexec_b32 s1, s0
	s_cbranch_execz .LBB197_16
; %bb.7:
	s_load_b64 s[0:1], s[2:3], 0x10
	v_lshrrev_b32_e32 v8, 6, v10
	s_delay_alu instid0(VALU_DEP_1) | instskip(NEXT) | instid1(VALU_DEP_1)
	v_lshl_or_b32 v8, s15, 2, v8
	v_ashrrev_i32_e32 v9, 31, v8
	s_waitcnt lgkmcnt(0)
	s_delay_alu instid0(VALU_DEP_1)
	v_cmp_gt_i64_e32 vcc_lo, s[0:1], v[8:9]
	s_and_b32 exec_lo, exec_lo, vcc_lo
	s_cbranch_execz .LBB197_16
; %bb.8:
	s_clause 0x1
	s_load_b32 s0, s[2:3], 0x28
	s_load_b128 s[4:7], s[2:3], 0x18
	s_mov_b32 s1, 0
	v_and_b32_e32 v26, 63, v10
	s_waitcnt lgkmcnt(0)
	s_lshl_b64 s[8:9], s[0:1], 2
	s_delay_alu instid0(SALU_CYCLE_1)
	s_add_u32 s6, s6, s8
	s_addc_u32 s7, s7, s9
	s_load_b32 s0, s[6:7], 0x0
	s_mov_b32 s6, exec_lo
	s_waitcnt lgkmcnt(0)
	v_add_nc_u32_e32 v8, s0, v8
	v_sub_co_u32 v10, s0, v26, s12
	s_delay_alu instid0(VALU_DEP_2) | instskip(NEXT) | instid1(VALU_DEP_1)
	v_ashrrev_i32_e32 v9, 31, v8
	v_lshlrev_b64 v[8:9], 2, v[8:9]
	s_delay_alu instid0(VALU_DEP_1) | instskip(NEXT) | instid1(VALU_DEP_2)
	v_add_co_u32 v8, vcc_lo, s4, v8
	v_add_co_ci_u32_e32 v9, vcc_lo, s5, v9, vcc_lo
	s_load_b64 s[4:5], s[2:3], 0x40
	global_load_b32 v8, v[8:9], off
	s_waitcnt vmcnt(0)
	v_ashrrev_i32_e32 v9, 31, v8
	s_delay_alu instid0(VALU_DEP_1) | instskip(SKIP_1) | instid1(VALU_DEP_1)
	v_lshlrev_b64 v[11:12], 3, v[8:9]
	s_waitcnt lgkmcnt(0)
	v_add_co_u32 v11, vcc_lo, s4, v11
	s_delay_alu instid0(VALU_DEP_2)
	v_add_co_ci_u32_e32 v12, vcc_lo, s5, v12, vcc_lo
	s_load_b64 s[4:5], s[2:3], 0x70
	global_load_b128 v[12:15], v[11:12], off
	v_sub_co_ci_u32_e64 v11, null, 0, 0, s0
	s_waitcnt vmcnt(0)
	v_sub_co_u32 v14, vcc_lo, v14, s12
	v_subrev_co_ci_u32_e32 v15, vcc_lo, 0, v15, vcc_lo
	v_add_co_u32 v16, vcc_lo, v12, v10
	v_add_co_ci_u32_e32 v17, vcc_lo, v13, v11, vcc_lo
	v_mov_b32_e32 v10, 0
	v_mov_b32_e32 v11, 0
	s_delay_alu instid0(VALU_DEP_1) | instskip(NEXT) | instid1(VALU_DEP_4)
	v_dual_mov_b32 v13, v11 :: v_dual_mov_b32 v12, v10
	v_cmpx_lt_i64_e64 v[16:17], v[14:15]
	s_cbranch_execz .LBB197_12
; %bb.9:
	v_mul_f64 v[18:19], 0x80000000, v[2:3]
	v_mul_f64 v[20:21], v[0:1], 0
	s_clause 0x1
	s_load_b128 s[8:11], s[2:3], 0x48
	s_load_b64 s[2:3], s[2:3], 0x58
	v_lshlrev_b64 v[12:13], 3, v[16:17]
	v_lshlrev_b64 v[24:25], 2, v[16:17]
	v_mov_b32_e32 v10, 0
	v_mov_b32_e32 v11, 0
	s_waitcnt lgkmcnt(0)
	s_delay_alu instid0(VALU_DEP_4)
	v_add_co_u32 v22, vcc_lo, s10, v12
	v_add_co_ci_u32_e32 v23, vcc_lo, s11, v13, vcc_lo
	v_add_co_u32 v24, vcc_lo, s8, v24
	v_add_co_ci_u32_e32 v25, vcc_lo, s9, v25, vcc_lo
	v_dual_mov_b32 v13, v11 :: v_dual_mov_b32 v12, v10
	s_set_inst_prefetch_distance 0x1
	.p2align	6
.LBB197_10:                             ; =>This Inner Loop Header: Depth=1
	global_load_b32 v27, v[24:25], off
	global_load_b64 v[31:32], v[22:23], off
	v_add_co_u32 v24, s0, 0x100, v24
	s_delay_alu instid0(VALU_DEP_1)
	v_add_co_ci_u32_e64 v25, s0, 0, v25, s0
	s_waitcnt vmcnt(1)
	v_subrev_nc_u32_e32 v27, s12, v27
	s_waitcnt vmcnt(0)
	v_fma_f64 v[33:34], v[0:1], v[31:32], v[18:19]
	v_fma_f64 v[31:32], v[2:3], v[31:32], v[20:21]
	s_delay_alu instid0(VALU_DEP_3) | instskip(NEXT) | instid1(VALU_DEP_1)
	v_ashrrev_i32_e32 v28, 31, v27
	v_lshlrev_b64 v[27:28], 4, v[27:28]
	s_delay_alu instid0(VALU_DEP_1) | instskip(NEXT) | instid1(VALU_DEP_2)
	v_add_co_u32 v27, vcc_lo, s2, v27
	v_add_co_ci_u32_e32 v28, vcc_lo, s3, v28, vcc_lo
	v_add_co_u32 v16, vcc_lo, v16, 64
	v_add_co_ci_u32_e32 v17, vcc_lo, 0, v17, vcc_lo
	global_load_b128 v[27:30], v[27:28], off
	v_add_co_u32 v22, vcc_lo, 0x200, v22
	v_add_co_ci_u32_e32 v23, vcc_lo, 0, v23, vcc_lo
	v_cmp_ge_i64_e32 vcc_lo, v[16:17], v[14:15]
	s_or_b32 s1, vcc_lo, s1
	s_waitcnt vmcnt(0)
	v_fma_f64 v[12:13], v[33:34], v[27:28], v[12:13]
	v_fma_f64 v[10:11], v[31:32], v[27:28], v[10:11]
	s_delay_alu instid0(VALU_DEP_2) | instskip(NEXT) | instid1(VALU_DEP_2)
	v_fma_f64 v[12:13], -v[31:32], v[29:30], v[12:13]
	v_fma_f64 v[10:11], v[33:34], v[29:30], v[10:11]
	s_and_not1_b32 exec_lo, exec_lo, s1
	s_cbranch_execnz .LBB197_10
; %bb.11:
	s_set_inst_prefetch_distance 0x2
	s_or_b32 exec_lo, exec_lo, s1
.LBB197_12:
	s_delay_alu instid0(SALU_CYCLE_1) | instskip(SKIP_1) | instid1(VALU_DEP_1)
	s_or_b32 exec_lo, exec_lo, s6
	v_mbcnt_lo_u32_b32 v14, -1, 0
	v_or_b32_e32 v0, 32, v14
	s_delay_alu instid0(VALU_DEP_1) | instskip(SKIP_1) | instid1(VALU_DEP_1)
	v_cmp_gt_i32_e32 vcc_lo, 32, v0
	v_cndmask_b32_e32 v0, v14, v0, vcc_lo
	v_lshlrev_b32_e32 v3, 2, v0
	ds_bpermute_b32 v0, v3, v12
	ds_bpermute_b32 v1, v3, v13
	ds_bpermute_b32 v2, v3, v10
	ds_bpermute_b32 v3, v3, v11
	s_waitcnt lgkmcnt(0)
	v_add_f64 v[0:1], v[12:13], v[0:1]
	v_add_f64 v[2:3], v[10:11], v[2:3]
	v_xor_b32_e32 v10, 16, v14
	s_delay_alu instid0(VALU_DEP_1) | instskip(SKIP_1) | instid1(VALU_DEP_1)
	v_cmp_gt_i32_e32 vcc_lo, 32, v10
	v_cndmask_b32_e32 v10, v14, v10, vcc_lo
	v_lshlrev_b32_e32 v13, 2, v10
	ds_bpermute_b32 v10, v13, v0
	ds_bpermute_b32 v11, v13, v1
	ds_bpermute_b32 v12, v13, v2
	ds_bpermute_b32 v13, v13, v3
	s_waitcnt lgkmcnt(2)
	v_add_f64 v[0:1], v[0:1], v[10:11]
	v_xor_b32_e32 v10, 8, v14
	s_waitcnt lgkmcnt(0)
	v_add_f64 v[2:3], v[2:3], v[12:13]
	s_delay_alu instid0(VALU_DEP_2) | instskip(SKIP_1) | instid1(VALU_DEP_1)
	v_cmp_gt_i32_e32 vcc_lo, 32, v10
	v_cndmask_b32_e32 v10, v14, v10, vcc_lo
	v_lshlrev_b32_e32 v13, 2, v10
	ds_bpermute_b32 v10, v13, v0
	ds_bpermute_b32 v11, v13, v1
	ds_bpermute_b32 v12, v13, v2
	ds_bpermute_b32 v13, v13, v3
	s_waitcnt lgkmcnt(2)
	v_add_f64 v[0:1], v[0:1], v[10:11]
	v_xor_b32_e32 v10, 4, v14
	s_waitcnt lgkmcnt(0)
	v_add_f64 v[2:3], v[2:3], v[12:13]
	s_delay_alu instid0(VALU_DEP_2) | instskip(SKIP_1) | instid1(VALU_DEP_1)
	;; [unrolled: 13-line block ×3, first 2 shown]
	v_cmp_gt_i32_e32 vcc_lo, 32, v10
	v_cndmask_b32_e32 v10, v14, v10, vcc_lo
	v_lshlrev_b32_e32 v13, 2, v10
	ds_bpermute_b32 v10, v13, v0
	ds_bpermute_b32 v11, v13, v1
	;; [unrolled: 1-line block ×4, first 2 shown]
	s_waitcnt lgkmcnt(2)
	v_add_f64 v[0:1], v[0:1], v[10:11]
	v_xor_b32_e32 v10, 1, v14
	s_waitcnt lgkmcnt(0)
	v_add_f64 v[2:3], v[2:3], v[12:13]
	s_delay_alu instid0(VALU_DEP_2) | instskip(SKIP_2) | instid1(VALU_DEP_2)
	v_cmp_gt_i32_e32 vcc_lo, 32, v10
	v_cndmask_b32_e32 v10, v14, v10, vcc_lo
	v_cmp_eq_u32_e32 vcc_lo, 63, v26
	v_lshlrev_b32_e32 v13, 2, v10
	ds_bpermute_b32 v10, v13, v0
	ds_bpermute_b32 v11, v13, v1
	;; [unrolled: 1-line block ×4, first 2 shown]
	s_and_b32 exec_lo, exec_lo, vcc_lo
	s_cbranch_execz .LBB197_16
; %bb.13:
	v_cmp_neq_f64_e32 vcc_lo, 0, v[4:5]
	v_cmp_neq_f64_e64 s0, 0, v[6:7]
	s_waitcnt lgkmcnt(2)
	v_add_f64 v[0:1], v[0:1], v[10:11]
	s_waitcnt lgkmcnt(0)
	v_add_f64 v[2:3], v[2:3], v[12:13]
	v_lshlrev_b64 v[8:9], 4, v[8:9]
	s_delay_alu instid0(VALU_DEP_4) | instskip(NEXT) | instid1(SALU_CYCLE_1)
	s_or_b32 s1, vcc_lo, s0
	s_and_saveexec_b32 s0, s1
	s_cbranch_execz .LBB197_15
; %bb.14:
	s_delay_alu instid0(VALU_DEP_1) | instskip(NEXT) | instid1(VALU_DEP_2)
	v_add_co_u32 v10, vcc_lo, s4, v8
	v_add_co_ci_u32_e32 v11, vcc_lo, s5, v9, vcc_lo
	global_load_b128 v[10:13], v[10:11], off
	s_waitcnt vmcnt(0)
	v_fma_f64 v[0:1], v[4:5], v[10:11], v[0:1]
	v_fma_f64 v[2:3], v[6:7], v[10:11], v[2:3]
	s_delay_alu instid0(VALU_DEP_2) | instskip(NEXT) | instid1(VALU_DEP_2)
	v_fma_f64 v[0:1], -v[6:7], v[12:13], v[0:1]
	v_fma_f64 v[2:3], v[4:5], v[12:13], v[2:3]
.LBB197_15:
	s_or_b32 exec_lo, exec_lo, s0
	s_delay_alu instid0(VALU_DEP_1)
	v_add_co_u32 v4, vcc_lo, s4, v8
	v_add_co_ci_u32_e32 v5, vcc_lo, s5, v9, vcc_lo
	global_store_b128 v[4:5], v[0:3], off
.LBB197_16:
	s_nop 0
	s_sendmsg sendmsg(MSG_DEALLOC_VGPRS)
	s_endpgm
	.section	.rodata,"a",@progbits
	.p2align	6, 0x0
	.amdhsa_kernel _ZN9rocsparseL41csrmvn_lrb_medium_rows_warp_reduce_kernelILj256ELj64Elid21rocsparse_complex_numIdES2_S2_EEvbT1_lPT2_S5_jNS_24const_host_device_scalarIT6_EEPKS3_PKS4_PKT3_PKT4_S8_PT5_21rocsparse_index_base_b
		.amdhsa_group_segment_fixed_size 4096
		.amdhsa_private_segment_fixed_size 0
		.amdhsa_kernarg_size 128
		.amdhsa_user_sgpr_count 15
		.amdhsa_user_sgpr_dispatch_ptr 1
		.amdhsa_user_sgpr_queue_ptr 0
		.amdhsa_user_sgpr_kernarg_segment_ptr 1
		.amdhsa_user_sgpr_dispatch_id 0
		.amdhsa_user_sgpr_private_segment_size 0
		.amdhsa_wavefront_size32 1
		.amdhsa_uses_dynamic_stack 0
		.amdhsa_enable_private_segment 0
		.amdhsa_system_sgpr_workgroup_id_x 1
		.amdhsa_system_sgpr_workgroup_id_y 0
		.amdhsa_system_sgpr_workgroup_id_z 0
		.amdhsa_system_sgpr_workgroup_info 0
		.amdhsa_system_vgpr_workitem_id 2
		.amdhsa_next_free_vgpr 35
		.amdhsa_next_free_sgpr 18
		.amdhsa_reserve_vcc 1
		.amdhsa_float_round_mode_32 0
		.amdhsa_float_round_mode_16_64 0
		.amdhsa_float_denorm_mode_32 3
		.amdhsa_float_denorm_mode_16_64 3
		.amdhsa_dx10_clamp 1
		.amdhsa_ieee_mode 1
		.amdhsa_fp16_overflow 0
		.amdhsa_workgroup_processor_mode 1
		.amdhsa_memory_ordered 1
		.amdhsa_forward_progress 0
		.amdhsa_shared_vgpr_count 0
		.amdhsa_exception_fp_ieee_invalid_op 0
		.amdhsa_exception_fp_denorm_src 0
		.amdhsa_exception_fp_ieee_div_zero 0
		.amdhsa_exception_fp_ieee_overflow 0
		.amdhsa_exception_fp_ieee_underflow 0
		.amdhsa_exception_fp_ieee_inexact 0
		.amdhsa_exception_int_div_zero 0
	.end_amdhsa_kernel
	.section	.text._ZN9rocsparseL41csrmvn_lrb_medium_rows_warp_reduce_kernelILj256ELj64Elid21rocsparse_complex_numIdES2_S2_EEvbT1_lPT2_S5_jNS_24const_host_device_scalarIT6_EEPKS3_PKS4_PKT3_PKT4_S8_PT5_21rocsparse_index_base_b,"axG",@progbits,_ZN9rocsparseL41csrmvn_lrb_medium_rows_warp_reduce_kernelILj256ELj64Elid21rocsparse_complex_numIdES2_S2_EEvbT1_lPT2_S5_jNS_24const_host_device_scalarIT6_EEPKS3_PKS4_PKT3_PKT4_S8_PT5_21rocsparse_index_base_b,comdat
.Lfunc_end197:
	.size	_ZN9rocsparseL41csrmvn_lrb_medium_rows_warp_reduce_kernelILj256ELj64Elid21rocsparse_complex_numIdES2_S2_EEvbT1_lPT2_S5_jNS_24const_host_device_scalarIT6_EEPKS3_PKS4_PKT3_PKT4_S8_PT5_21rocsparse_index_base_b, .Lfunc_end197-_ZN9rocsparseL41csrmvn_lrb_medium_rows_warp_reduce_kernelILj256ELj64Elid21rocsparse_complex_numIdES2_S2_EEvbT1_lPT2_S5_jNS_24const_host_device_scalarIT6_EEPKS3_PKS4_PKT3_PKT4_S8_PT5_21rocsparse_index_base_b
                                        ; -- End function
	.section	.AMDGPU.csdata,"",@progbits
; Kernel info:
; codeLenInByte = 1572
; NumSgprs: 20
; NumVgprs: 35
; ScratchSize: 0
; MemoryBound: 0
; FloatMode: 240
; IeeeMode: 1
; LDSByteSize: 4096 bytes/workgroup (compile time only)
; SGPRBlocks: 2
; VGPRBlocks: 4
; NumSGPRsForWavesPerEU: 20
; NumVGPRsForWavesPerEU: 35
; Occupancy: 16
; WaveLimiterHint : 1
; COMPUTE_PGM_RSRC2:SCRATCH_EN: 0
; COMPUTE_PGM_RSRC2:USER_SGPR: 15
; COMPUTE_PGM_RSRC2:TRAP_HANDLER: 0
; COMPUTE_PGM_RSRC2:TGID_X_EN: 1
; COMPUTE_PGM_RSRC2:TGID_Y_EN: 0
; COMPUTE_PGM_RSRC2:TGID_Z_EN: 0
; COMPUTE_PGM_RSRC2:TIDIG_COMP_CNT: 2
	.section	.text._ZN9rocsparseL29csrmvn_lrb_medium_rows_kernelILj256Elid21rocsparse_complex_numIdES2_S2_EEvbT0_PT1_S5_jNS_24const_host_device_scalarIT5_EEPKS3_PKS4_PKT2_PKT3_S8_PT4_21rocsparse_index_base_b,"axG",@progbits,_ZN9rocsparseL29csrmvn_lrb_medium_rows_kernelILj256Elid21rocsparse_complex_numIdES2_S2_EEvbT0_PT1_S5_jNS_24const_host_device_scalarIT5_EEPKS3_PKS4_PKT2_PKT3_S8_PT4_21rocsparse_index_base_b,comdat
	.globl	_ZN9rocsparseL29csrmvn_lrb_medium_rows_kernelILj256Elid21rocsparse_complex_numIdES2_S2_EEvbT0_PT1_S5_jNS_24const_host_device_scalarIT5_EEPKS3_PKS4_PKT2_PKT3_S8_PT4_21rocsparse_index_base_b ; -- Begin function _ZN9rocsparseL29csrmvn_lrb_medium_rows_kernelILj256Elid21rocsparse_complex_numIdES2_S2_EEvbT0_PT1_S5_jNS_24const_host_device_scalarIT5_EEPKS3_PKS4_PKT2_PKT3_S8_PT4_21rocsparse_index_base_b
	.p2align	8
	.type	_ZN9rocsparseL29csrmvn_lrb_medium_rows_kernelILj256Elid21rocsparse_complex_numIdES2_S2_EEvbT0_PT1_S5_jNS_24const_host_device_scalarIT5_EEPKS3_PKS4_PKT2_PKT3_S8_PT4_21rocsparse_index_base_b,@function
_ZN9rocsparseL29csrmvn_lrb_medium_rows_kernelILj256Elid21rocsparse_complex_numIdES2_S2_EEvbT0_PT1_S5_jNS_24const_host_device_scalarIT5_EEPKS3_PKS4_PKT2_PKT3_S8_PT4_21rocsparse_index_base_b: ; @_ZN9rocsparseL29csrmvn_lrb_medium_rows_kernelILj256Elid21rocsparse_complex_numIdES2_S2_EEvbT0_PT1_S5_jNS_24const_host_device_scalarIT5_EEPKS3_PKS4_PKT2_PKT3_S8_PT4_21rocsparse_index_base_b
; %bb.0:
	s_clause 0x1
	s_load_b64 s[12:13], s[2:3], 0x70
	s_load_b128 s[4:7], s[2:3], 0x28
	s_load_b64 s[16:17], s[0:1], 0x4
	s_mov_b64 s[0:1], src_shared_base
	v_and_b32_e32 v22, 0x3ff, v0
	s_load_b128 s[8:11], s[2:3], 0x58
	v_bfe_u32 v2, v0, 10, 10
	v_bfe_u32 v0, v0, 20, 10
	s_waitcnt lgkmcnt(0)
	s_bitcmp1_b32 s13, 0
	v_mov_b32_e32 v11, s7
	s_cselect_b32 s0, -1, 0
	v_mov_b32_e32 v10, s6
	s_and_b32 vcc_lo, s0, exec_lo
	s_cselect_b32 s13, s1, s5
	s_lshr_b32 s14, s16, 16
	s_xor_b32 s6, s0, -1
	s_mul_i32 s14, s14, s17
	v_mov_b32_e32 v5, s13
	v_mul_lo_u32 v1, s14, v22
	s_delay_alu instid0(VALU_DEP_1) | instskip(SKIP_1) | instid1(VALU_DEP_2)
	v_mad_u32_u24 v1, v2, s17, v1
	v_dual_mov_b32 v2, s8 :: v_dual_mov_b32 v3, s9
	v_add_lshl_u32 v6, v1, v0, 3
	v_dual_mov_b32 v0, s4 :: v_dual_mov_b32 v1, s5
	s_delay_alu instid0(VALU_DEP_2)
	v_add_nc_u32_e32 v4, 0x1800, v6
	ds_store_2addr_stride64_b64 v6, v[2:3], v[0:1] offset0:8 offset1:12
	v_add_nc_u32_e32 v0, 0x1000, v6
	v_cndmask_b32_e64 v4, s4, v4, s0
	flat_load_b64 v[8:9], v[4:5]
	s_cbranch_vccnz .LBB198_2
; %bb.1:
	v_dual_mov_b32 v1, s4 :: v_dual_mov_b32 v2, s5
	flat_load_b64 v[10:11], v[1:2] offset:8
.LBB198_2:
	s_and_b32 s4, s0, exec_lo
	s_cselect_b32 s1, s1, s9
	v_cndmask_b32_e64 v0, s8, v0, s0
	v_dual_mov_b32 v1, s1 :: v_dual_mov_b32 v6, s10
	v_mov_b32_e32 v7, s11
	s_and_not1_b32 vcc_lo, exec_lo, s6
	flat_load_b64 v[4:5], v[0:1]
	s_cbranch_vccnz .LBB198_4
; %bb.3:
	v_dual_mov_b32 v0, s8 :: v_dual_mov_b32 v1, s9
	flat_load_b64 v[6:7], v[0:1] offset:8
.LBB198_4:
	s_waitcnt vmcnt(1) lgkmcnt(1)
	v_cmp_eq_f64_e32 vcc_lo, 0, v[8:9]
	v_cmp_eq_f64_e64 s0, 0, v[10:11]
	s_delay_alu instid0(VALU_DEP_1)
	s_and_b32 s4, vcc_lo, s0
	s_mov_b32 s0, -1
	s_and_saveexec_b32 s1, s4
	s_cbranch_execz .LBB198_6
; %bb.5:
	s_waitcnt vmcnt(0) lgkmcnt(0)
	v_cmp_neq_f64_e32 vcc_lo, 1.0, v[4:5]
	v_cmp_neq_f64_e64 s0, 0, v[6:7]
	s_delay_alu instid0(VALU_DEP_1) | instskip(NEXT) | instid1(SALU_CYCLE_1)
	s_or_b32 s0, vcc_lo, s0
	s_or_not1_b32 s0, s0, exec_lo
.LBB198_6:
	s_or_b32 exec_lo, exec_lo, s1
	s_and_saveexec_b32 s1, s0
	s_cbranch_execz .LBB198_31
; %bb.7:
	s_clause 0x1
	s_load_b32 s0, s[2:3], 0x20
	s_load_b128 s[4:7], s[2:3], 0x10
	s_mov_b32 s1, 0
	v_mov_b32_e32 v2, 0
	v_mov_b32_e32 v3, 0
	s_waitcnt lgkmcnt(0)
	s_lshl_b64 s[8:9], s[0:1], 2
	s_delay_alu instid0(SALU_CYCLE_1)
	s_add_u32 s6, s6, s8
	s_addc_u32 s7, s7, s9
	s_load_b32 s0, s[6:7], 0x0
	s_waitcnt lgkmcnt(0)
	s_add_i32 s6, s0, s15
	v_sub_co_u32 v0, s0, v22, s12
	s_ashr_i32 s7, s6, 31
	v_sub_co_ci_u32_e64 v1, null, 0, 0, s0
	s_lshl_b64 s[6:7], s[6:7], 2
	s_delay_alu instid0(SALU_CYCLE_1)
	s_add_u32 s4, s4, s6
	s_addc_u32 s5, s5, s7
	s_load_b32 s4, s[4:5], 0x0
	s_load_b64 s[6:7], s[2:3], 0x38
	s_waitcnt lgkmcnt(0)
	s_ashr_i32 s5, s4, 31
	s_delay_alu instid0(SALU_CYCLE_1) | instskip(NEXT) | instid1(SALU_CYCLE_1)
	s_lshl_b64 s[8:9], s[4:5], 3
	s_add_u32 s6, s6, s8
	s_addc_u32 s7, s7, s9
	s_load_b128 s[8:11], s[6:7], 0x0
	s_load_b64 s[6:7], s[2:3], 0x68
	s_waitcnt lgkmcnt(0)
	v_add_co_u32 v12, vcc_lo, s8, v0
	v_add_co_ci_u32_e32 v13, vcc_lo, s9, v1, vcc_lo
	v_dual_mov_b32 v0, v2 :: v_dual_mov_b32 v1, v3
	s_sub_u32 s8, s10, s12
	s_subb_u32 s9, s11, 0
	s_mov_b32 s10, exec_lo
	v_cmpx_gt_i64_e64 s[8:9], v[12:13]
	s_cbranch_execz .LBB198_11
; %bb.8:
	v_mul_f64 v[14:15], 0x80000000, v[10:11]
	v_mul_f64 v[16:17], v[8:9], 0
	s_clause 0x1
	s_load_b128 s[16:19], s[2:3], 0x40
	s_load_b64 s[2:3], s[2:3], 0x50
	v_lshlrev_b64 v[0:1], 3, v[12:13]
	v_lshlrev_b64 v[20:21], 2, v[12:13]
	v_mov_b32_e32 v2, 0
	v_mov_b32_e32 v3, 0
	s_waitcnt lgkmcnt(0)
	s_delay_alu instid0(VALU_DEP_4)
	v_add_co_u32 v18, vcc_lo, s18, v0
	v_add_co_ci_u32_e32 v19, vcc_lo, s19, v1, vcc_lo
	v_add_co_u32 v20, vcc_lo, s16, v20
	v_add_co_ci_u32_e32 v21, vcc_lo, s17, v21, vcc_lo
	v_dual_mov_b32 v0, v2 :: v_dual_mov_b32 v1, v3
	s_set_inst_prefetch_distance 0x1
	.p2align	6
.LBB198_9:                              ; =>This Inner Loop Header: Depth=1
	global_load_b32 v23, v[20:21], off
	global_load_b64 v[27:28], v[18:19], off
	v_add_co_u32 v20, s0, 0x400, v20
	s_delay_alu instid0(VALU_DEP_1)
	v_add_co_ci_u32_e64 v21, s0, 0, v21, s0
	s_waitcnt vmcnt(1)
	v_subrev_nc_u32_e32 v23, s12, v23
	s_waitcnt vmcnt(0)
	v_fma_f64 v[29:30], v[8:9], v[27:28], v[14:15]
	v_fma_f64 v[27:28], v[10:11], v[27:28], v[16:17]
	s_delay_alu instid0(VALU_DEP_3) | instskip(NEXT) | instid1(VALU_DEP_1)
	v_ashrrev_i32_e32 v24, 31, v23
	v_lshlrev_b64 v[23:24], 4, v[23:24]
	s_delay_alu instid0(VALU_DEP_1) | instskip(NEXT) | instid1(VALU_DEP_2)
	v_add_co_u32 v23, vcc_lo, s2, v23
	v_add_co_ci_u32_e32 v24, vcc_lo, s3, v24, vcc_lo
	v_add_co_u32 v12, vcc_lo, 0x100, v12
	v_add_co_ci_u32_e32 v13, vcc_lo, 0, v13, vcc_lo
	global_load_b128 v[23:26], v[23:24], off
	v_add_co_u32 v18, vcc_lo, 0x800, v18
	v_add_co_ci_u32_e32 v19, vcc_lo, 0, v19, vcc_lo
	v_cmp_le_i64_e32 vcc_lo, s[8:9], v[12:13]
	s_or_b32 s1, vcc_lo, s1
	s_waitcnt vmcnt(0)
	v_fma_f64 v[0:1], v[29:30], v[23:24], v[0:1]
	v_fma_f64 v[2:3], v[27:28], v[23:24], v[2:3]
	s_delay_alu instid0(VALU_DEP_2) | instskip(NEXT) | instid1(VALU_DEP_2)
	v_fma_f64 v[0:1], -v[27:28], v[25:26], v[0:1]
	v_fma_f64 v[2:3], v[29:30], v[25:26], v[2:3]
	s_and_not1_b32 exec_lo, exec_lo, s1
	s_cbranch_execnz .LBB198_9
; %bb.10:
	s_set_inst_prefetch_distance 0x2
	s_or_b32 exec_lo, exec_lo, s1
.LBB198_11:
	s_delay_alu instid0(SALU_CYCLE_1)
	s_or_b32 exec_lo, exec_lo, s10
	v_lshlrev_b32_e32 v8, 4, v22
	s_mov_b32 s0, exec_lo
	ds_store_b128 v8, v[0:3]
	s_waitcnt vmcnt(0) lgkmcnt(0)
	s_barrier
	buffer_gl0_inv
	v_cmpx_gt_u32_e32 0x80, v22
	s_cbranch_execz .LBB198_13
; %bb.12:
	ds_load_b128 v[0:3], v8 offset:2048
	ds_load_b128 v[9:12], v8
	s_waitcnt lgkmcnt(0)
	v_add_f64 v[0:1], v[0:1], v[9:10]
	v_add_f64 v[2:3], v[2:3], v[11:12]
	ds_store_b128 v8, v[0:3]
.LBB198_13:
	s_or_b32 exec_lo, exec_lo, s0
	s_delay_alu instid0(SALU_CYCLE_1)
	s_mov_b32 s0, exec_lo
	s_waitcnt lgkmcnt(0)
	s_barrier
	buffer_gl0_inv
	v_cmpx_gt_u32_e32 64, v22
	s_cbranch_execz .LBB198_15
; %bb.14:
	ds_load_b128 v[0:3], v8 offset:1024
	ds_load_b128 v[9:12], v8
	s_waitcnt lgkmcnt(0)
	v_add_f64 v[0:1], v[0:1], v[9:10]
	v_add_f64 v[2:3], v[2:3], v[11:12]
	ds_store_b128 v8, v[0:3]
.LBB198_15:
	s_or_b32 exec_lo, exec_lo, s0
	s_delay_alu instid0(SALU_CYCLE_1)
	s_mov_b32 s0, exec_lo
	s_waitcnt lgkmcnt(0)
	;; [unrolled: 16-line block ×6, first 2 shown]
	s_barrier
	buffer_gl0_inv
	v_cmpx_gt_u32_e32 2, v22
	s_cbranch_execz .LBB198_25
; %bb.24:
	ds_load_b128 v[0:3], v8
	ds_load_b128 v[9:12], v8 offset:32
	s_waitcnt lgkmcnt(0)
	v_add_f64 v[0:1], v[9:10], v[0:1]
	v_add_f64 v[2:3], v[11:12], v[2:3]
	ds_store_b128 v8, v[0:3]
.LBB198_25:
	s_or_b32 exec_lo, exec_lo, s0
	v_cmp_eq_u32_e32 vcc_lo, 0, v22
	s_waitcnt lgkmcnt(0)
	s_barrier
	buffer_gl0_inv
	s_and_saveexec_b32 s0, vcc_lo
	s_cbranch_execz .LBB198_27
; %bb.26:
	v_mov_b32_e32 v12, 0
	ds_load_b128 v[0:3], v12
	ds_load_b128 v[8:11], v12 offset:16
	s_waitcnt lgkmcnt(0)
	v_add_f64 v[0:1], v[8:9], v[0:1]
	v_add_f64 v[2:3], v[10:11], v[2:3]
	ds_store_b128 v12, v[0:3]
.LBB198_27:
	s_or_b32 exec_lo, exec_lo, s0
	s_waitcnt lgkmcnt(0)
	s_barrier
	buffer_gl0_inv
	s_and_b32 exec_lo, exec_lo, vcc_lo
	s_cbranch_execz .LBB198_31
; %bb.28:
	v_cmp_neq_f64_e32 vcc_lo, 0, v[4:5]
	v_cmp_neq_f64_e64 s0, 0, v[6:7]
	v_mov_b32_e32 v8, 0
	ds_load_b128 v[0:3], v8
	s_or_b32 s1, vcc_lo, s0
	s_delay_alu instid0(SALU_CYCLE_1)
	s_and_saveexec_b32 s0, s1
	s_cbranch_execz .LBB198_30
; %bb.29:
	s_lshl_b64 s[2:3], s[4:5], 4
	s_delay_alu instid0(SALU_CYCLE_1)
	s_add_u32 s2, s6, s2
	s_addc_u32 s3, s7, s3
	s_load_b128 s[8:11], s[2:3], 0x0
	s_waitcnt lgkmcnt(0)
	v_fma_f64 v[0:1], v[4:5], s[8:9], v[0:1]
	v_fma_f64 v[2:3], v[6:7], s[8:9], v[2:3]
	s_delay_alu instid0(VALU_DEP_2) | instskip(NEXT) | instid1(VALU_DEP_2)
	v_fma_f64 v[0:1], -v[6:7], s[10:11], v[0:1]
	v_fma_f64 v[2:3], v[4:5], s[10:11], v[2:3]
.LBB198_30:
	s_or_b32 exec_lo, exec_lo, s0
	s_lshl_b64 s[0:1], s[4:5], 4
	s_delay_alu instid0(SALU_CYCLE_1)
	s_add_u32 s0, s6, s0
	s_addc_u32 s1, s7, s1
	s_waitcnt lgkmcnt(0)
	global_store_b128 v8, v[0:3], s[0:1]
.LBB198_31:
	s_nop 0
	s_sendmsg sendmsg(MSG_DEALLOC_VGPRS)
	s_endpgm
	.section	.rodata,"a",@progbits
	.p2align	6, 0x0
	.amdhsa_kernel _ZN9rocsparseL29csrmvn_lrb_medium_rows_kernelILj256Elid21rocsparse_complex_numIdES2_S2_EEvbT0_PT1_S5_jNS_24const_host_device_scalarIT5_EEPKS3_PKS4_PKT2_PKT3_S8_PT4_21rocsparse_index_base_b
		.amdhsa_group_segment_fixed_size 8192
		.amdhsa_private_segment_fixed_size 0
		.amdhsa_kernarg_size 120
		.amdhsa_user_sgpr_count 15
		.amdhsa_user_sgpr_dispatch_ptr 1
		.amdhsa_user_sgpr_queue_ptr 0
		.amdhsa_user_sgpr_kernarg_segment_ptr 1
		.amdhsa_user_sgpr_dispatch_id 0
		.amdhsa_user_sgpr_private_segment_size 0
		.amdhsa_wavefront_size32 1
		.amdhsa_uses_dynamic_stack 0
		.amdhsa_enable_private_segment 0
		.amdhsa_system_sgpr_workgroup_id_x 1
		.amdhsa_system_sgpr_workgroup_id_y 0
		.amdhsa_system_sgpr_workgroup_id_z 0
		.amdhsa_system_sgpr_workgroup_info 0
		.amdhsa_system_vgpr_workitem_id 2
		.amdhsa_next_free_vgpr 31
		.amdhsa_next_free_sgpr 20
		.amdhsa_reserve_vcc 1
		.amdhsa_float_round_mode_32 0
		.amdhsa_float_round_mode_16_64 0
		.amdhsa_float_denorm_mode_32 3
		.amdhsa_float_denorm_mode_16_64 3
		.amdhsa_dx10_clamp 1
		.amdhsa_ieee_mode 1
		.amdhsa_fp16_overflow 0
		.amdhsa_workgroup_processor_mode 1
		.amdhsa_memory_ordered 1
		.amdhsa_forward_progress 0
		.amdhsa_shared_vgpr_count 0
		.amdhsa_exception_fp_ieee_invalid_op 0
		.amdhsa_exception_fp_denorm_src 0
		.amdhsa_exception_fp_ieee_div_zero 0
		.amdhsa_exception_fp_ieee_overflow 0
		.amdhsa_exception_fp_ieee_underflow 0
		.amdhsa_exception_fp_ieee_inexact 0
		.amdhsa_exception_int_div_zero 0
	.end_amdhsa_kernel
	.section	.text._ZN9rocsparseL29csrmvn_lrb_medium_rows_kernelILj256Elid21rocsparse_complex_numIdES2_S2_EEvbT0_PT1_S5_jNS_24const_host_device_scalarIT5_EEPKS3_PKS4_PKT2_PKT3_S8_PT4_21rocsparse_index_base_b,"axG",@progbits,_ZN9rocsparseL29csrmvn_lrb_medium_rows_kernelILj256Elid21rocsparse_complex_numIdES2_S2_EEvbT0_PT1_S5_jNS_24const_host_device_scalarIT5_EEPKS3_PKS4_PKT2_PKT3_S8_PT4_21rocsparse_index_base_b,comdat
.Lfunc_end198:
	.size	_ZN9rocsparseL29csrmvn_lrb_medium_rows_kernelILj256Elid21rocsparse_complex_numIdES2_S2_EEvbT0_PT1_S5_jNS_24const_host_device_scalarIT5_EEPKS3_PKS4_PKT2_PKT3_S8_PT4_21rocsparse_index_base_b, .Lfunc_end198-_ZN9rocsparseL29csrmvn_lrb_medium_rows_kernelILj256Elid21rocsparse_complex_numIdES2_S2_EEvbT0_PT1_S5_jNS_24const_host_device_scalarIT5_EEPKS3_PKS4_PKT2_PKT3_S8_PT4_21rocsparse_index_base_b
                                        ; -- End function
	.section	.AMDGPU.csdata,"",@progbits
; Kernel info:
; codeLenInByte = 1704
; NumSgprs: 22
; NumVgprs: 31
; ScratchSize: 0
; MemoryBound: 0
; FloatMode: 240
; IeeeMode: 1
; LDSByteSize: 8192 bytes/workgroup (compile time only)
; SGPRBlocks: 2
; VGPRBlocks: 3
; NumSGPRsForWavesPerEU: 22
; NumVGPRsForWavesPerEU: 31
; Occupancy: 16
; WaveLimiterHint : 1
; COMPUTE_PGM_RSRC2:SCRATCH_EN: 0
; COMPUTE_PGM_RSRC2:USER_SGPR: 15
; COMPUTE_PGM_RSRC2:TRAP_HANDLER: 0
; COMPUTE_PGM_RSRC2:TGID_X_EN: 1
; COMPUTE_PGM_RSRC2:TGID_Y_EN: 0
; COMPUTE_PGM_RSRC2:TGID_Z_EN: 0
; COMPUTE_PGM_RSRC2:TIDIG_COMP_CNT: 2
	.section	.text._ZN9rocsparseL27csrmvn_lrb_long_rows_kernelIlid21rocsparse_complex_numIdES2_S2_EEvbT_PjPT0_S6_jNS_24const_host_device_scalarIT4_EEPKS3_PKS5_PKT1_PKT2_S9_PT3_21rocsparse_index_base_b,"axG",@progbits,_ZN9rocsparseL27csrmvn_lrb_long_rows_kernelIlid21rocsparse_complex_numIdES2_S2_EEvbT_PjPT0_S6_jNS_24const_host_device_scalarIT4_EEPKS3_PKS5_PKT1_PKT2_S9_PT3_21rocsparse_index_base_b,comdat
	.globl	_ZN9rocsparseL27csrmvn_lrb_long_rows_kernelIlid21rocsparse_complex_numIdES2_S2_EEvbT_PjPT0_S6_jNS_24const_host_device_scalarIT4_EEPKS3_PKS5_PKT1_PKT2_S9_PT3_21rocsparse_index_base_b ; -- Begin function _ZN9rocsparseL27csrmvn_lrb_long_rows_kernelIlid21rocsparse_complex_numIdES2_S2_EEvbT_PjPT0_S6_jNS_24const_host_device_scalarIT4_EEPKS3_PKS5_PKT1_PKT2_S9_PT3_21rocsparse_index_base_b
	.p2align	8
	.type	_ZN9rocsparseL27csrmvn_lrb_long_rows_kernelIlid21rocsparse_complex_numIdES2_S2_EEvbT_PjPT0_S6_jNS_24const_host_device_scalarIT4_EEPKS3_PKS5_PKT1_PKT2_S9_PT3_21rocsparse_index_base_b,@function
_ZN9rocsparseL27csrmvn_lrb_long_rows_kernelIlid21rocsparse_complex_numIdES2_S2_EEvbT_PjPT0_S6_jNS_24const_host_device_scalarIT4_EEPKS3_PKS5_PKT1_PKT2_S9_PT3_21rocsparse_index_base_b: ; @_ZN9rocsparseL27csrmvn_lrb_long_rows_kernelIlid21rocsparse_complex_numIdES2_S2_EEvbT_PjPT0_S6_jNS_24const_host_device_scalarIT4_EEPKS3_PKS5_PKT1_PKT2_S9_PT3_21rocsparse_index_base_b
; %bb.0:
	s_mov_b32 s12, s15
	s_clause 0x1
	s_load_b64 s[22:23], s[2:3], 0x78
	s_load_b128 s[4:7], s[2:3], 0x30
	s_load_b64 s[14:15], s[0:1], 0x4
	s_mov_b64 s[0:1], src_shared_base
	v_and_b32_e32 v18, 0x3ff, v0
	s_load_b128 s[8:11], s[2:3], 0x60
	v_bfe_u32 v2, v0, 10, 10
	v_bfe_u32 v0, v0, 20, 10
	s_waitcnt lgkmcnt(0)
	s_bitcmp1_b32 s23, 0
	s_cselect_b32 s0, -1, 0
	s_delay_alu instid0(SALU_CYCLE_1) | instskip(SKIP_4) | instid1(SALU_CYCLE_1)
	s_and_b32 vcc_lo, s0, exec_lo
	s_cselect_b32 s13, s1, s5
	s_lshr_b32 s14, s14, 16
	v_mov_b32_e32 v5, s13
	s_mul_i32 s14, s14, s15
	v_mul_lo_u32 v1, s14, v18
	s_delay_alu instid0(VALU_DEP_1) | instskip(SKIP_1) | instid1(VALU_DEP_2)
	v_mad_u32_u24 v1, v2, s15, v1
	v_dual_mov_b32 v2, s8 :: v_dual_mov_b32 v3, s9
	v_add_lshl_u32 v6, v1, v0, 3
	v_dual_mov_b32 v0, s4 :: v_dual_mov_b32 v1, s5
	s_delay_alu instid0(VALU_DEP_2)
	v_add_nc_u32_e32 v4, 0x1800, v6
	ds_store_2addr_stride64_b64 v6, v[2:3], v[0:1] offset0:8 offset1:12
	v_add_nc_u32_e32 v0, 0x1000, v6
	v_mov_b32_e32 v6, s6
	v_cndmask_b32_e64 v4, s4, v4, s0
	v_mov_b32_e32 v7, s7
	s_xor_b32 s6, s0, -1
	flat_load_b64 v[4:5], v[4:5]
	s_cbranch_vccnz .LBB199_2
; %bb.1:
	v_dual_mov_b32 v1, s4 :: v_dual_mov_b32 v2, s5
	flat_load_b64 v[6:7], v[1:2] offset:8
.LBB199_2:
	s_and_b32 s4, s0, exec_lo
	s_cselect_b32 s1, s1, s9
	v_cndmask_b32_e64 v0, s8, v0, s0
	v_dual_mov_b32 v1, s1 :: v_dual_mov_b32 v8, s10
	v_mov_b32_e32 v9, s11
	s_and_not1_b32 vcc_lo, exec_lo, s6
	flat_load_b64 v[10:11], v[0:1]
	s_cbranch_vccnz .LBB199_4
; %bb.3:
	v_dual_mov_b32 v0, s8 :: v_dual_mov_b32 v1, s9
	flat_load_b64 v[8:9], v[0:1] offset:8
.LBB199_4:
	s_waitcnt vmcnt(1) lgkmcnt(1)
	v_cmp_eq_f64_e32 vcc_lo, 0, v[4:5]
	v_cmp_eq_f64_e64 s0, 0, v[6:7]
	s_delay_alu instid0(VALU_DEP_1)
	s_and_b32 s4, vcc_lo, s0
	s_mov_b32 s0, -1
	s_and_saveexec_b32 s1, s4
	s_cbranch_execz .LBB199_6
; %bb.5:
	s_waitcnt vmcnt(0) lgkmcnt(0)
	v_cmp_neq_f64_e32 vcc_lo, 1.0, v[10:11]
	v_cmp_neq_f64_e64 s0, 0, v[8:9]
	s_delay_alu instid0(VALU_DEP_1) | instskip(NEXT) | instid1(SALU_CYCLE_1)
	s_or_b32 s0, vcc_lo, s0
	s_or_not1_b32 s0, s0, exec_lo
.LBB199_6:
	s_or_b32 exec_lo, exec_lo, s1
	s_and_saveexec_b32 s1, s0
	s_cbranch_execz .LBB199_44
; %bb.7:
	s_clause 0x1
	s_load_b32 s0, s[2:3], 0x28
	s_load_b64 s[4:5], s[2:3], 0x20
	s_mov_b32 s1, 0
	s_load_b64 s[16:17], s[2:3], 0x70
	s_waitcnt lgkmcnt(0)
	s_lshl_b64 s[6:7], s[0:1], 2
	s_delay_alu instid0(SALU_CYCLE_1) | instskip(SKIP_4) | instid1(SALU_CYCLE_1)
	s_add_u32 s4, s4, s6
	s_addc_u32 s5, s5, s7
	s_lshl_b32 s0, -1, s0
	s_load_b32 s8, s[4:5], 0x0
	s_not_b32 s0, s0
	s_mul_hi_u32 s0, s0, 0x2aaaaaab
	s_delay_alu instid0(SALU_CYCLE_1) | instskip(NEXT) | instid1(SALU_CYCLE_1)
	s_lshr_b32 s0, s0, 7
	s_add_i32 s10, s0, 1
	s_not_b32 s0, s0
	v_cvt_f32_u32_e32 v0, s10
	s_delay_alu instid0(VALU_DEP_1) | instskip(SKIP_2) | instid1(VALU_DEP_1)
	v_rcp_iflag_f32_e32 v0, v0
	s_waitcnt_depctr 0xfff
	v_mul_f32_e32 v0, 0x4f7ffffe, v0
	v_cvt_u32_f32_e32 v0, v0
	s_delay_alu instid0(VALU_DEP_1) | instskip(SKIP_2) | instid1(VALU_DEP_3)
	v_readfirstlane_b32 s6, v0
	v_mov_b32_e32 v0, 0
	v_mov_b32_e32 v1, 0
	s_mul_i32 s0, s0, s6
	s_delay_alu instid0(SALU_CYCLE_1) | instskip(NEXT) | instid1(SALU_CYCLE_1)
	s_mul_hi_u32 s0, s6, s0
	s_add_i32 s6, s6, s0
	s_delay_alu instid0(SALU_CYCLE_1) | instskip(SKIP_4) | instid1(SALU_CYCLE_1)
	s_mul_hi_u32 s0, s12, s6
	s_load_b128 s[4:7], s[2:3], 0x10
	s_mul_i32 s9, s0, s10
	s_add_i32 s11, s0, 1
	s_sub_i32 s9, s12, s9
	s_sub_i32 s13, s9, s10
	s_cmp_ge_u32 s9, s10
	s_cselect_b32 s0, s11, s0
	s_cselect_b32 s9, s13, s9
	s_add_i32 s11, s0, 1
	s_cmp_ge_u32 s9, s10
	s_cselect_b32 s0, s11, s0
	s_waitcnt lgkmcnt(0)
	s_add_i32 s8, s0, s8
	s_mul_i32 s20, s0, s10
	s_ashr_i32 s9, s8, 31
	s_sub_i32 s24, s12, s20
	s_lshl_b64 s[8:9], s[8:9], 2
	v_or_b32_e32 v2, s24, v18
	s_add_u32 s6, s6, s8
	s_addc_u32 s7, s7, s9
	s_load_b32 s6, s[6:7], 0x0
	s_load_b64 s[8:9], s[2:3], 0x40
	v_cmp_eq_u32_e32 vcc_lo, 0, v2
	v_dual_mov_b32 v3, v1 :: v_dual_mov_b32 v2, v0
	s_waitcnt lgkmcnt(0)
	s_ashr_i32 s7, s6, 31
	s_delay_alu instid0(SALU_CYCLE_1) | instskip(NEXT) | instid1(SALU_CYCLE_1)
	s_lshl_b64 s[10:11], s[6:7], 3
	s_add_u32 s8, s8, s10
	s_addc_u32 s9, s9, s11
	s_ashr_i32 s13, s12, 31
	s_delay_alu instid0(SALU_CYCLE_1) | instskip(NEXT) | instid1(SALU_CYCLE_1)
	s_lshl_b64 s[10:11], s[12:13], 2
	s_add_u32 s18, s4, s10
	s_addc_u32 s19, s5, s11
	s_load_b128 s[8:11], s[8:9], 0x0
	s_load_b32 s23, s[18:19], 0x0
	s_and_saveexec_b32 s0, vcc_lo
	s_cbranch_execz .LBB199_11
; %bb.8:
	s_waitcnt vmcnt(0)
	v_add_f64 v[0:1], v[10:11], -1.0
	s_lshl_b64 s[12:13], s[6:7], 4
	s_mov_b32 s25, exec_lo
	s_add_u32 s12, s16, s12
	s_addc_u32 s13, s17, s13
	v_mbcnt_lo_u32_b32 v12, s25, 0
	s_load_b128 s[12:15], s[12:13], 0x0
	s_waitcnt vmcnt(0) expcnt(0) lgkmcnt(0)
	v_mul_f64 v[2:3], s[14:15], -v[8:9]
	s_delay_alu instid0(VALU_DEP_3)
	v_mul_f64 v[10:11], v[0:1], s[14:15]
	s_mov_b32 s14, exec_lo
	v_cmpx_eq_u32_e32 0, v12
	s_cbranch_execz .LBB199_10
; %bb.9:
	s_ashr_i32 s21, s20, 31
	s_delay_alu instid0(SALU_CYCLE_1) | instskip(NEXT) | instid1(SALU_CYCLE_1)
	s_lshl_b64 s[26:27], s[20:21], 2
	s_add_u32 s26, s4, s26
	s_addc_u32 s27, s5, s27
	s_bcnt1_i32_b32 s15, s25
	s_delay_alu instid0(SALU_CYCLE_1) | instskip(NEXT) | instid1(SALU_CYCLE_1)
	s_and_b32 s15, s15, 1
	v_dual_mov_b32 v12, 0 :: v_dual_mov_b32 v13, s15
	global_atomic_xor_b32 v12, v13, s[26:27]
.LBB199_10:
	s_or_b32 exec_lo, exec_lo, s14
	s_delay_alu instid0(VALU_DEP_3) | instskip(NEXT) | instid1(VALU_DEP_3)
	v_fma_f64 v[0:1], v[0:1], s[12:13], v[2:3]
	v_fma_f64 v[2:3], v[8:9], s[12:13], v[10:11]
.LBB199_11:
	s_or_b32 exec_lo, exec_lo, s0
	s_mul_i32 s0, s24, 3
	s_delay_alu instid0(SALU_CYCLE_1)
	s_lshl_b64 s[0:1], s[0:1], 8
	s_waitcnt lgkmcnt(0)
	s_sub_u32 s8, s8, s22
	s_subb_u32 s9, s9, 0
	s_add_u32 s12, s8, s0
	s_addc_u32 s13, s9, s1
	s_sub_u32 s0, s10, s22
	s_subb_u32 s1, s11, 0
	s_add_u32 s8, s12, 0x300
	s_addc_u32 s9, s13, 0
	s_waitcnt vmcnt(0)
	v_add_co_u32 v8, s11, s12, v18
	v_cmp_lt_i64_e64 s10, s[8:9], s[0:1]
	v_add_co_ci_u32_e64 v9, null, s13, 0, s11
	s_delay_alu instid0(VALU_DEP_2)
	s_and_b32 s10, s10, exec_lo
	s_cselect_b32 s9, s9, s1
	s_cselect_b32 s8, s8, s0
	s_mov_b32 s1, exec_lo
	v_cmpx_gt_i64_e64 s[8:9], v[8:9]
	s_cbranch_execz .LBB199_15
; %bb.12:
	v_mul_f64 v[10:11], 0x80000000, v[6:7]
	v_mul_f64 v[12:13], v[4:5], 0
	s_clause 0x1
	s_load_b128 s[12:15], s[2:3], 0x48
	s_load_b64 s[2:3], s[2:3], 0x58
	v_lshlrev_b64 v[14:15], 3, v[8:9]
	v_lshlrev_b64 v[16:17], 2, v[8:9]
	s_mov_b32 s10, 0
	s_waitcnt lgkmcnt(0)
	s_delay_alu instid0(VALU_DEP_2) | instskip(NEXT) | instid1(VALU_DEP_3)
	v_add_co_u32 v14, vcc_lo, s14, v14
	v_add_co_ci_u32_e32 v15, vcc_lo, s15, v15, vcc_lo
	s_delay_alu instid0(VALU_DEP_3)
	v_add_co_u32 v16, vcc_lo, s12, v16
	v_add_co_ci_u32_e32 v17, vcc_lo, s13, v17, vcc_lo
	s_set_inst_prefetch_distance 0x1
	.p2align	6
.LBB199_13:                             ; =>This Inner Loop Header: Depth=1
	global_load_b32 v19, v[16:17], off
	global_load_b64 v[23:24], v[14:15], off
	v_add_co_u32 v16, s0, 0x400, v16
	s_delay_alu instid0(VALU_DEP_1)
	v_add_co_ci_u32_e64 v17, s0, 0, v17, s0
	s_waitcnt vmcnt(1)
	v_subrev_nc_u32_e32 v19, s22, v19
	s_waitcnt vmcnt(0)
	v_fma_f64 v[25:26], v[4:5], v[23:24], v[10:11]
	v_fma_f64 v[23:24], v[6:7], v[23:24], v[12:13]
	s_delay_alu instid0(VALU_DEP_3) | instskip(NEXT) | instid1(VALU_DEP_1)
	v_ashrrev_i32_e32 v20, 31, v19
	v_lshlrev_b64 v[19:20], 4, v[19:20]
	s_delay_alu instid0(VALU_DEP_1) | instskip(NEXT) | instid1(VALU_DEP_2)
	v_add_co_u32 v19, vcc_lo, s2, v19
	v_add_co_ci_u32_e32 v20, vcc_lo, s3, v20, vcc_lo
	v_add_co_u32 v8, vcc_lo, 0x100, v8
	v_add_co_ci_u32_e32 v9, vcc_lo, 0, v9, vcc_lo
	global_load_b128 v[19:22], v[19:20], off
	v_add_co_u32 v14, vcc_lo, 0x800, v14
	v_add_co_ci_u32_e32 v15, vcc_lo, 0, v15, vcc_lo
	v_cmp_le_i64_e32 vcc_lo, s[8:9], v[8:9]
	s_or_b32 s10, vcc_lo, s10
	s_waitcnt vmcnt(0)
	v_fma_f64 v[0:1], v[25:26], v[19:20], v[0:1]
	v_fma_f64 v[2:3], v[23:24], v[19:20], v[2:3]
	s_delay_alu instid0(VALU_DEP_2) | instskip(NEXT) | instid1(VALU_DEP_2)
	v_fma_f64 v[0:1], -v[23:24], v[21:22], v[0:1]
	v_fma_f64 v[2:3], v[25:26], v[21:22], v[2:3]
	s_and_not1_b32 exec_lo, exec_lo, s10
	s_cbranch_execnz .LBB199_13
; %bb.14:
	s_set_inst_prefetch_distance 0x2
	s_or_b32 exec_lo, exec_lo, s10
.LBB199_15:
	s_delay_alu instid0(SALU_CYCLE_1)
	s_or_b32 exec_lo, exec_lo, s1
	v_lshlrev_b32_e32 v4, 4, v18
	s_mov_b32 s0, exec_lo
	ds_store_b128 v4, v[0:3]
	s_waitcnt lgkmcnt(0)
	s_waitcnt_vscnt null, 0x0
	s_barrier
	buffer_gl0_inv
	v_cmpx_gt_u32_e32 0x80, v18
	s_cbranch_execz .LBB199_17
; %bb.16:
	ds_load_b128 v[0:3], v4 offset:2048
	ds_load_b128 v[5:8], v4
	s_waitcnt lgkmcnt(0)
	v_add_f64 v[0:1], v[0:1], v[5:6]
	v_add_f64 v[2:3], v[2:3], v[7:8]
	ds_store_b128 v4, v[0:3]
.LBB199_17:
	s_or_b32 exec_lo, exec_lo, s0
	s_delay_alu instid0(SALU_CYCLE_1)
	s_mov_b32 s0, exec_lo
	s_waitcnt lgkmcnt(0)
	s_barrier
	buffer_gl0_inv
	v_cmpx_gt_u32_e32 64, v18
	s_cbranch_execz .LBB199_19
; %bb.18:
	ds_load_b128 v[0:3], v4 offset:1024
	ds_load_b128 v[5:8], v4
	s_waitcnt lgkmcnt(0)
	v_add_f64 v[0:1], v[0:1], v[5:6]
	v_add_f64 v[2:3], v[2:3], v[7:8]
	ds_store_b128 v4, v[0:3]
.LBB199_19:
	s_or_b32 exec_lo, exec_lo, s0
	s_delay_alu instid0(SALU_CYCLE_1)
	s_mov_b32 s0, exec_lo
	s_waitcnt lgkmcnt(0)
	;; [unrolled: 16-line block ×6, first 2 shown]
	s_barrier
	buffer_gl0_inv
	v_cmpx_gt_u32_e32 2, v18
	s_cbranch_execz .LBB199_29
; %bb.28:
	ds_load_b128 v[0:3], v4
	ds_load_b128 v[5:8], v4 offset:32
	s_waitcnt lgkmcnt(0)
	v_add_f64 v[0:1], v[5:6], v[0:1]
	v_add_f64 v[2:3], v[7:8], v[2:3]
	ds_store_b128 v4, v[0:3]
.LBB199_29:
	s_or_b32 exec_lo, exec_lo, s0
	v_cmp_eq_u32_e32 vcc_lo, 0, v18
	s_waitcnt lgkmcnt(0)
	s_barrier
	buffer_gl0_inv
	s_and_saveexec_b32 s0, vcc_lo
	s_cbranch_execz .LBB199_31
; %bb.30:
	v_mov_b32_e32 v8, 0
	ds_load_b128 v[0:3], v8
	ds_load_b128 v[4:7], v8 offset:16
	s_waitcnt lgkmcnt(0)
	v_add_f64 v[0:1], v[4:5], v[0:1]
	v_add_f64 v[2:3], v[6:7], v[2:3]
	ds_store_b128 v8, v[0:3]
.LBB199_31:
	s_or_b32 exec_lo, exec_lo, s0
	s_waitcnt lgkmcnt(0)
	s_barrier
	buffer_gl0_inv
	s_and_b32 exec_lo, exec_lo, vcc_lo
	s_cbranch_execz .LBB199_44
; %bb.32:
	s_cmp_eq_u32 s24, 0
	s_cbranch_scc1 .LBB199_38
; %bb.33:
	s_ashr_i32 s21, s20, 31
	v_mov_b32_e32 v0, 0
	s_lshl_b64 s[0:1], s[20:21], 2
	s_delay_alu instid0(SALU_CYCLE_1)
	s_add_u32 s0, s4, s0
	s_addc_u32 s1, s5, s1
	s_branch .LBB199_35
.LBB199_34:                             ;   in Loop: Header=BB199_35 Depth=1
	s_or_b32 exec_lo, exec_lo, s2
	s_waitcnt vmcnt(0)
	v_readfirstlane_b32 s2, v1
	s_delay_alu instid0(VALU_DEP_1)
	s_cmp_eq_u32 s2, s23
	s_cbranch_scc0 .LBB199_37
.LBB199_35:                             ; =>This Inner Loop Header: Depth=1
	v_mbcnt_lo_u32_b32 v1, exec_lo, 0
	s_delay_alu instid0(VALU_DEP_1)
	v_cmp_eq_u32_e32 vcc_lo, 0, v1
                                        ; implicit-def: $vgpr1
	s_and_saveexec_b32 s2, vcc_lo
	s_cbranch_execz .LBB199_34
; %bb.36:                               ;   in Loop: Header=BB199_35 Depth=1
	global_load_b32 v1, v0, s[0:1] glc
	s_branch .LBB199_34
.LBB199_37:
	v_mov_b32_e32 v0, 0
	global_load_b32 v1, v0, s[18:19]
	s_waitcnt vmcnt(0)
	v_xor_b32_e32 v1, 1, v1
	global_store_b32 v0, v1, s[18:19]
.LBB199_38:
	v_mov_b32_e32 v8, 0
	s_mov_b32 s3, exec_lo
	s_lshl_b64 s[0:1], s[6:7], 4
	v_mbcnt_lo_u32_b32 v4, s3, 0
	s_add_u32 s0, s16, s0
	ds_load_b128 v[0:3], v8
	s_addc_u32 s1, s17, s1
	s_mov_b32 s2, exec_lo
	v_cmpx_eq_u32_e32 0, v4
	s_cbranch_execz .LBB199_41
; %bb.39:
	global_load_b64 v[6:7], v8, s[0:1]
	s_bcnt1_i32_b32 s3, s3
	s_delay_alu instid0(SALU_CYCLE_1) | instskip(SKIP_2) | instid1(VALU_DEP_1)
	v_cvt_f64_u32_e32 v[4:5], s3
	s_mov_b32 s3, 0
	s_waitcnt lgkmcnt(0)
	v_mul_f64 v[0:1], v[0:1], v[4:5]
.LBB199_40:                             ; =>This Inner Loop Header: Depth=1
	s_waitcnt vmcnt(0)
	s_delay_alu instid0(VALU_DEP_1)
	v_add_f64 v[4:5], v[6:7], v[0:1]
	global_atomic_cmpswap_b64 v[4:5], v8, v[4:7], s[0:1] glc
	s_waitcnt vmcnt(0)
	v_cmp_eq_u64_e32 vcc_lo, v[4:5], v[6:7]
	v_dual_mov_b32 v7, v5 :: v_dual_mov_b32 v6, v4
	s_or_b32 s3, vcc_lo, s3
	s_delay_alu instid0(SALU_CYCLE_1)
	s_and_not1_b32 exec_lo, exec_lo, s3
	s_cbranch_execnz .LBB199_40
.LBB199_41:
	s_or_b32 exec_lo, exec_lo, s2
	s_delay_alu instid0(SALU_CYCLE_1) | instskip(SKIP_3) | instid1(VALU_DEP_1)
	s_mov_b32 s3, exec_lo
	s_mov_b32 s2, 0
	s_waitcnt lgkmcnt(0)
	v_mbcnt_lo_u32_b32 v0, s3, 0
	v_cmp_eq_u32_e32 vcc_lo, 0, v0
	s_and_b32 s4, exec_lo, vcc_lo
	s_delay_alu instid0(SALU_CYCLE_1)
	s_mov_b32 exec_lo, s4
	s_cbranch_execz .LBB199_44
; %bb.42:
	v_mov_b32_e32 v6, 0
	s_bcnt1_i32_b32 s3, s3
	s_delay_alu instid0(SALU_CYCLE_1)
	v_cvt_f64_u32_e32 v[0:1], s3
	global_load_b64 v[4:5], v6, s[0:1] offset:8
	v_mul_f64 v[0:1], v[2:3], v[0:1]
.LBB199_43:                             ; =>This Inner Loop Header: Depth=1
	s_waitcnt vmcnt(0)
	s_delay_alu instid0(VALU_DEP_1)
	v_add_f64 v[2:3], v[4:5], v[0:1]
	global_atomic_cmpswap_b64 v[2:3], v6, v[2:5], s[0:1] offset:8 glc
	s_waitcnt vmcnt(0)
	v_cmp_eq_u64_e32 vcc_lo, v[2:3], v[4:5]
	v_dual_mov_b32 v5, v3 :: v_dual_mov_b32 v4, v2
	s_or_b32 s2, vcc_lo, s2
	s_delay_alu instid0(SALU_CYCLE_1)
	s_and_not1_b32 exec_lo, exec_lo, s2
	s_cbranch_execnz .LBB199_43
.LBB199_44:
	s_nop 0
	s_sendmsg sendmsg(MSG_DEALLOC_VGPRS)
	s_endpgm
	.section	.rodata,"a",@progbits
	.p2align	6, 0x0
	.amdhsa_kernel _ZN9rocsparseL27csrmvn_lrb_long_rows_kernelIlid21rocsparse_complex_numIdES2_S2_EEvbT_PjPT0_S6_jNS_24const_host_device_scalarIT4_EEPKS3_PKS5_PKT1_PKT2_S9_PT3_21rocsparse_index_base_b
		.amdhsa_group_segment_fixed_size 8192
		.amdhsa_private_segment_fixed_size 0
		.amdhsa_kernarg_size 128
		.amdhsa_user_sgpr_count 15
		.amdhsa_user_sgpr_dispatch_ptr 1
		.amdhsa_user_sgpr_queue_ptr 0
		.amdhsa_user_sgpr_kernarg_segment_ptr 1
		.amdhsa_user_sgpr_dispatch_id 0
		.amdhsa_user_sgpr_private_segment_size 0
		.amdhsa_wavefront_size32 1
		.amdhsa_uses_dynamic_stack 0
		.amdhsa_enable_private_segment 0
		.amdhsa_system_sgpr_workgroup_id_x 1
		.amdhsa_system_sgpr_workgroup_id_y 0
		.amdhsa_system_sgpr_workgroup_id_z 0
		.amdhsa_system_sgpr_workgroup_info 0
		.amdhsa_system_vgpr_workitem_id 2
		.amdhsa_next_free_vgpr 27
		.amdhsa_next_free_sgpr 28
		.amdhsa_reserve_vcc 1
		.amdhsa_float_round_mode_32 0
		.amdhsa_float_round_mode_16_64 0
		.amdhsa_float_denorm_mode_32 3
		.amdhsa_float_denorm_mode_16_64 3
		.amdhsa_dx10_clamp 1
		.amdhsa_ieee_mode 1
		.amdhsa_fp16_overflow 0
		.amdhsa_workgroup_processor_mode 1
		.amdhsa_memory_ordered 1
		.amdhsa_forward_progress 0
		.amdhsa_shared_vgpr_count 0
		.amdhsa_exception_fp_ieee_invalid_op 0
		.amdhsa_exception_fp_denorm_src 0
		.amdhsa_exception_fp_ieee_div_zero 0
		.amdhsa_exception_fp_ieee_overflow 0
		.amdhsa_exception_fp_ieee_underflow 0
		.amdhsa_exception_fp_ieee_inexact 0
		.amdhsa_exception_int_div_zero 0
	.end_amdhsa_kernel
	.section	.text._ZN9rocsparseL27csrmvn_lrb_long_rows_kernelIlid21rocsparse_complex_numIdES2_S2_EEvbT_PjPT0_S6_jNS_24const_host_device_scalarIT4_EEPKS3_PKS5_PKT1_PKT2_S9_PT3_21rocsparse_index_base_b,"axG",@progbits,_ZN9rocsparseL27csrmvn_lrb_long_rows_kernelIlid21rocsparse_complex_numIdES2_S2_EEvbT_PjPT0_S6_jNS_24const_host_device_scalarIT4_EEPKS3_PKS5_PKT1_PKT2_S9_PT3_21rocsparse_index_base_b,comdat
.Lfunc_end199:
	.size	_ZN9rocsparseL27csrmvn_lrb_long_rows_kernelIlid21rocsparse_complex_numIdES2_S2_EEvbT_PjPT0_S6_jNS_24const_host_device_scalarIT4_EEPKS3_PKS5_PKT1_PKT2_S9_PT3_21rocsparse_index_base_b, .Lfunc_end199-_ZN9rocsparseL27csrmvn_lrb_long_rows_kernelIlid21rocsparse_complex_numIdES2_S2_EEvbT_PjPT0_S6_jNS_24const_host_device_scalarIT4_EEPKS3_PKS5_PKT1_PKT2_S9_PT3_21rocsparse_index_base_b
                                        ; -- End function
	.section	.AMDGPU.csdata,"",@progbits
; Kernel info:
; codeLenInByte = 2372
; NumSgprs: 30
; NumVgprs: 27
; ScratchSize: 0
; MemoryBound: 0
; FloatMode: 240
; IeeeMode: 1
; LDSByteSize: 8192 bytes/workgroup (compile time only)
; SGPRBlocks: 3
; VGPRBlocks: 3
; NumSGPRsForWavesPerEU: 30
; NumVGPRsForWavesPerEU: 27
; Occupancy: 16
; WaveLimiterHint : 1
; COMPUTE_PGM_RSRC2:SCRATCH_EN: 0
; COMPUTE_PGM_RSRC2:USER_SGPR: 15
; COMPUTE_PGM_RSRC2:TRAP_HANDLER: 0
; COMPUTE_PGM_RSRC2:TGID_X_EN: 1
; COMPUTE_PGM_RSRC2:TGID_Y_EN: 0
; COMPUTE_PGM_RSRC2:TGID_Z_EN: 0
; COMPUTE_PGM_RSRC2:TIDIG_COMP_CNT: 2
	.section	.text._ZN9rocsparseL28csrmvn_lrb_short_rows_kernelIlld21rocsparse_complex_numIdES2_S2_EEvbT_PT0_S5_jNS_24const_host_device_scalarIT4_EEPKS3_PKS4_PKT1_PKT2_S8_PT3_21rocsparse_index_base_b,"axG",@progbits,_ZN9rocsparseL28csrmvn_lrb_short_rows_kernelIlld21rocsparse_complex_numIdES2_S2_EEvbT_PT0_S5_jNS_24const_host_device_scalarIT4_EEPKS3_PKS4_PKT1_PKT2_S8_PT3_21rocsparse_index_base_b,comdat
	.globl	_ZN9rocsparseL28csrmvn_lrb_short_rows_kernelIlld21rocsparse_complex_numIdES2_S2_EEvbT_PT0_S5_jNS_24const_host_device_scalarIT4_EEPKS3_PKS4_PKT1_PKT2_S8_PT3_21rocsparse_index_base_b ; -- Begin function _ZN9rocsparseL28csrmvn_lrb_short_rows_kernelIlld21rocsparse_complex_numIdES2_S2_EEvbT_PT0_S5_jNS_24const_host_device_scalarIT4_EEPKS3_PKS4_PKT1_PKT2_S8_PT3_21rocsparse_index_base_b
	.p2align	8
	.type	_ZN9rocsparseL28csrmvn_lrb_short_rows_kernelIlld21rocsparse_complex_numIdES2_S2_EEvbT_PT0_S5_jNS_24const_host_device_scalarIT4_EEPKS3_PKS4_PKT1_PKT2_S8_PT3_21rocsparse_index_base_b,@function
_ZN9rocsparseL28csrmvn_lrb_short_rows_kernelIlld21rocsparse_complex_numIdES2_S2_EEvbT_PT0_S5_jNS_24const_host_device_scalarIT4_EEPKS3_PKS4_PKT1_PKT2_S8_PT3_21rocsparse_index_base_b: ; @_ZN9rocsparseL28csrmvn_lrb_short_rows_kernelIlld21rocsparse_complex_numIdES2_S2_EEvbT_PT0_S5_jNS_24const_host_device_scalarIT4_EEPKS3_PKS4_PKT1_PKT2_S8_PT3_21rocsparse_index_base_b
; %bb.0:
	s_clause 0x2
	s_load_b64 s[12:13], s[0:1], 0x70
	s_load_b128 s[8:11], s[0:1], 0x28
	s_load_b128 s[4:7], s[0:1], 0x58
	s_mov_b64 s[2:3], src_private_base
	v_mov_b32_e32 v1, 0
	s_waitcnt lgkmcnt(0)
	s_bitcmp1_b32 s13, 0
	v_dual_mov_b32 v3, s8 :: v_dual_mov_b32 v6, s5
	s_cselect_b32 s2, -1, 0
	v_mov_b32_e32 v4, s9
	s_and_b32 vcc_lo, s2, exec_lo
	s_cselect_b32 s13, s3, s9
	v_cndmask_b32_e64 v1, s8, v1, s2
	v_dual_mov_b32 v5, s4 :: v_dual_mov_b32 v2, s13
	s_clause 0x1
	scratch_store_b64 off, v[3:4], off
	scratch_store_b64 off, v[5:6], off offset:8
	v_dual_mov_b32 v12, s11 :: v_dual_mov_b32 v11, s10
	flat_load_b64 v[9:10], v[1:2]
	s_xor_b32 s10, s2, -1
	s_cbranch_vccnz .LBB200_2
; %bb.1:
	v_dual_mov_b32 v1, s8 :: v_dual_mov_b32 v2, s9
	flat_load_b64 v[11:12], v[1:2] offset:8
.LBB200_2:
	s_and_b32 s8, s2, exec_lo
	s_cselect_b32 s3, s3, s5
	s_delay_alu instid0(SALU_CYCLE_1) | instskip(SKIP_2) | instid1(VALU_DEP_2)
	v_dual_mov_b32 v1, 8 :: v_dual_mov_b32 v2, s3
	v_dual_mov_b32 v8, s7 :: v_dual_mov_b32 v7, s6
	s_and_not1_b32 vcc_lo, exec_lo, s10
	v_cndmask_b32_e64 v1, s4, v1, s2
	flat_load_b64 v[5:6], v[1:2]
	s_cbranch_vccnz .LBB200_4
; %bb.3:
	v_dual_mov_b32 v1, s4 :: v_dual_mov_b32 v2, s5
	flat_load_b64 v[7:8], v[1:2] offset:8
.LBB200_4:
	s_waitcnt vmcnt(1) lgkmcnt(1)
	v_cmp_eq_f64_e32 vcc_lo, 0, v[9:10]
	v_cmp_eq_f64_e64 s2, 0, v[11:12]
	s_delay_alu instid0(VALU_DEP_1)
	s_and_b32 s4, vcc_lo, s2
	s_mov_b32 s2, -1
	s_and_saveexec_b32 s3, s4
	s_cbranch_execz .LBB200_6
; %bb.5:
	s_waitcnt vmcnt(0) lgkmcnt(0)
	v_cmp_neq_f64_e32 vcc_lo, 1.0, v[5:6]
	v_cmp_neq_f64_e64 s2, 0, v[7:8]
	s_delay_alu instid0(VALU_DEP_1) | instskip(NEXT) | instid1(SALU_CYCLE_1)
	s_or_b32 s2, vcc_lo, s2
	s_or_not1_b32 s2, s2, exec_lo
.LBB200_6:
	s_or_b32 exec_lo, exec_lo, s3
	s_and_saveexec_b32 s3, s2
	s_cbranch_execz .LBB200_20
; %bb.7:
	s_clause 0x1
	s_load_b32 s2, s[0:1], 0x20
	s_load_b128 s[16:19], s[0:1], 0x10
	s_mov_b32 s3, 0
	s_delay_alu instid0(SALU_CYCLE_1) | instskip(SKIP_2) | instid1(SALU_CYCLE_1)
	s_mov_b32 s7, s3
	s_waitcnt lgkmcnt(0)
	s_lshl_b64 s[4:5], s[2:3], 3
	s_add_u32 s4, s18, s4
	s_addc_u32 s5, s19, s5
	s_add_i32 s6, s2, 1
	s_delay_alu instid0(SALU_CYCLE_1) | instskip(NEXT) | instid1(SALU_CYCLE_1)
	s_lshl_b64 s[6:7], s[6:7], 3
	s_add_u32 s6, s18, s6
	s_addc_u32 s7, s19, s7
	s_clause 0x1
	s_load_b64 s[18:19], s[4:5], 0x0
	s_load_b32 s4, s[6:7], 0x0
	s_lshl_b32 s14, s15, 8
	s_delay_alu instid0(SALU_CYCLE_1) | instskip(SKIP_2) | instid1(SALU_CYCLE_1)
	s_add_i32 s5, s14, 0x100
	s_waitcnt lgkmcnt(0)
	s_sub_i32 s4, s4, s18
	s_min_u32 s13, s4, s5
	s_cmp_gt_u32 s2, 23
	s_cbranch_scc1 .LBB200_14
; %bb.8:
	v_mul_f64 v[13:14], 0x80000000, v[11:12]
	v_mul_f64 v[15:16], v[9:10], 0
	s_load_b256 s[4:11], s[0:1], 0x38
	v_mov_b32_e32 v18, 0
	s_lshl_b64 s[20:21], s[18:19], 3
	v_bfe_u32 v19, v0, 0, s2
	v_lshl_add_u32 v23, v0, 4, 0
	s_lshl_b32 s15, 0x100, s2
	v_mov_b32_e32 v20, v18
	s_add_u32 s20, s16, s20
	s_addc_u32 s21, s17, s21
	s_branch .LBB200_11
.LBB200_9:                              ;   in Loop: Header=BB200_11 Depth=1
	s_or_b32 exec_lo, exec_lo, s23
	ds_store_2addr_b64 v23, v[3:4], v[21:22] offset1:1
.LBB200_10:                             ;   in Loop: Header=BB200_11 Depth=1
	s_or_b32 exec_lo, exec_lo, s22
	v_add_nc_u32_e32 v23, 0x1000, v23
	s_addk_i32 s3, 0x100
	s_delay_alu instid0(SALU_CYCLE_1)
	s_cmp_ge_u32 s3, s15
	s_cbranch_scc1 .LBB200_14
.LBB200_11:                             ; =>This Inner Loop Header: Depth=1
	v_add_nc_u32_e32 v1, s3, v0
	s_mov_b32 s22, exec_lo
	s_delay_alu instid0(VALU_DEP_1) | instskip(NEXT) | instid1(VALU_DEP_1)
	v_lshrrev_b32_e32 v1, s2, v1
	v_add_nc_u32_e32 v17, s14, v1
	s_delay_alu instid0(VALU_DEP_1)
	v_cmpx_gt_u32_e64 s13, v17
	s_cbranch_execz .LBB200_10
; %bb.12:                               ;   in Loop: Header=BB200_11 Depth=1
	v_lshlrev_b64 v[1:2], 3, v[17:18]
	s_delay_alu instid0(VALU_DEP_1) | instskip(NEXT) | instid1(VALU_DEP_2)
	v_add_co_u32 v1, vcc_lo, s20, v1
	v_add_co_ci_u32_e32 v2, vcc_lo, s21, v2, vcc_lo
	global_load_b64 v[1:2], v[1:2], off
	s_waitcnt vmcnt(0)
	v_lshlrev_b64 v[1:2], 3, v[1:2]
	s_waitcnt lgkmcnt(0)
	s_delay_alu instid0(VALU_DEP_1) | instskip(NEXT) | instid1(VALU_DEP_2)
	v_add_co_u32 v1, vcc_lo, s4, v1
	v_add_co_ci_u32_e32 v2, vcc_lo, s5, v2, vcc_lo
	global_load_b128 v[1:4], v[1:2], off
	s_waitcnt vmcnt(0)
	v_sub_co_u32 v21, vcc_lo, v3, v1
	v_sub_co_ci_u32_e32 v22, vcc_lo, v4, v2, vcc_lo
	v_mov_b32_e32 v3, 0
	v_mov_b32_e32 v4, 0
	s_delay_alu instid0(VALU_DEP_3) | instskip(NEXT) | instid1(VALU_DEP_2)
	v_cmp_gt_i64_e32 vcc_lo, v[21:22], v[19:20]
	v_dual_mov_b32 v22, v4 :: v_dual_mov_b32 v21, v3
	s_and_saveexec_b32 s23, vcc_lo
	s_cbranch_execz .LBB200_9
; %bb.13:                               ;   in Loop: Header=BB200_11 Depth=1
	v_sub_co_u32 v1, vcc_lo, v1, s12
	v_subrev_co_ci_u32_e32 v2, vcc_lo, 0, v2, vcc_lo
	s_delay_alu instid0(VALU_DEP_2) | instskip(NEXT) | instid1(VALU_DEP_2)
	v_add_co_u32 v1, vcc_lo, v1, v19
	v_add_co_ci_u32_e32 v2, vcc_lo, 0, v2, vcc_lo
	s_delay_alu instid0(VALU_DEP_1) | instskip(NEXT) | instid1(VALU_DEP_1)
	v_lshlrev_b64 v[1:2], 3, v[1:2]
	v_add_co_u32 v3, vcc_lo, s6, v1
	s_delay_alu instid0(VALU_DEP_2)
	v_add_co_ci_u32_e32 v4, vcc_lo, s7, v2, vcc_lo
	v_add_co_u32 v1, vcc_lo, s8, v1
	v_add_co_ci_u32_e32 v2, vcc_lo, s9, v2, vcc_lo
	global_load_b64 v[3:4], v[3:4], off
	global_load_b64 v[21:22], v[1:2], off
	s_waitcnt vmcnt(1)
	v_sub_co_u32 v1, vcc_lo, v3, s12
	v_subrev_co_ci_u32_e32 v2, vcc_lo, 0, v4, vcc_lo
	s_waitcnt vmcnt(0)
	v_fma_f64 v[24:25], v[11:12], v[21:22], v[15:16]
	v_fma_f64 v[21:22], v[9:10], v[21:22], v[13:14]
	s_delay_alu instid0(VALU_DEP_3) | instskip(NEXT) | instid1(VALU_DEP_1)
	v_lshlrev_b64 v[1:2], 4, v[1:2]
	v_add_co_u32 v1, vcc_lo, s10, v1
	s_delay_alu instid0(VALU_DEP_2) | instskip(SKIP_4) | instid1(VALU_DEP_2)
	v_add_co_ci_u32_e32 v2, vcc_lo, s11, v2, vcc_lo
	global_load_b128 v[1:4], v[1:2], off
	s_waitcnt vmcnt(0)
	v_mul_f64 v[26:27], v[3:4], -v[24:25]
	v_mul_f64 v[28:29], v[21:22], v[3:4]
	v_fma_f64 v[3:4], v[21:22], v[1:2], v[26:27]
	s_delay_alu instid0(VALU_DEP_2)
	v_fma_f64 v[21:22], v[24:25], v[1:2], v[28:29]
	s_branch .LBB200_9
.LBB200_14:
	s_sub_i32 s3, s13, s14
	s_waitcnt vmcnt(0) lgkmcnt(0)
	s_waitcnt_vscnt null, 0x0
	v_cmp_gt_u32_e32 vcc_lo, s3, v0
	s_barrier
	buffer_gl0_inv
	s_and_b32 exec_lo, exec_lo, vcc_lo
	s_cbranch_execz .LBB200_20
; %bb.15:
	s_lshl_b64 s[4:5], s[18:19], 3
	s_mov_b32 s15, 0
	s_add_u32 s3, s16, s4
	s_addc_u32 s6, s17, s5
	s_lshl_b64 s[4:5], s[14:15], 3
	v_dual_mov_b32 v2, 0 :: v_dual_lshlrev_b32 v1, 3, v0
	s_add_u32 s4, s3, s4
	s_addc_u32 s5, s6, s5
	v_dual_mov_b32 v3, 0 :: v_dual_lshlrev_b32 v0, s2, v0
	global_load_b64 v[9:10], v1, s[4:5]
	s_load_b64 s[4:5], s[0:1], 0x68
	s_mov_b32 s0, 1
	v_lshl_add_u32 v4, v0, 4, 0
	v_dual_mov_b32 v0, v2 :: v_dual_mov_b32 v1, v3
.LBB200_16:                             ; =>This Inner Loop Header: Depth=1
	ds_load_2addr_b64 v[11:14], v4 offset1:1
	v_add_nc_u32_e32 v4, 16, v4
	s_lshr_b32 s1, s0, s2
	s_add_i32 s0, s0, 1
	s_cmp_lg_u32 s1, 0
	s_waitcnt lgkmcnt(0)
	v_add_f64 v[0:1], v[0:1], v[11:12]
	v_add_f64 v[2:3], v[2:3], v[13:14]
	s_cbranch_scc0 .LBB200_16
; %bb.17:
	v_cmp_neq_f64_e32 vcc_lo, 0, v[5:6]
	v_cmp_neq_f64_e64 s0, 0, v[7:8]
	s_waitcnt vmcnt(0)
	v_lshlrev_b64 v[9:10], 4, v[9:10]
	s_delay_alu instid0(VALU_DEP_2) | instskip(NEXT) | instid1(SALU_CYCLE_1)
	s_or_b32 s1, vcc_lo, s0
	s_and_saveexec_b32 s0, s1
	s_cbranch_execz .LBB200_19
; %bb.18:
	s_delay_alu instid0(VALU_DEP_1) | instskip(NEXT) | instid1(VALU_DEP_2)
	v_add_co_u32 v11, vcc_lo, s4, v9
	v_add_co_ci_u32_e32 v12, vcc_lo, s5, v10, vcc_lo
	global_load_b128 v[11:14], v[11:12], off
	s_waitcnt vmcnt(0)
	v_fma_f64 v[0:1], v[5:6], v[11:12], v[0:1]
	v_fma_f64 v[2:3], v[7:8], v[11:12], v[2:3]
	s_delay_alu instid0(VALU_DEP_2) | instskip(NEXT) | instid1(VALU_DEP_2)
	v_fma_f64 v[0:1], -v[7:8], v[13:14], v[0:1]
	v_fma_f64 v[2:3], v[5:6], v[13:14], v[2:3]
.LBB200_19:
	s_or_b32 exec_lo, exec_lo, s0
	s_delay_alu instid0(VALU_DEP_1)
	v_add_co_u32 v4, vcc_lo, s4, v9
	v_add_co_ci_u32_e32 v5, vcc_lo, s5, v10, vcc_lo
	global_store_b128 v[4:5], v[0:3], off
.LBB200_20:
	s_endpgm
	.section	.rodata,"a",@progbits
	.p2align	6, 0x0
	.amdhsa_kernel _ZN9rocsparseL28csrmvn_lrb_short_rows_kernelIlld21rocsparse_complex_numIdES2_S2_EEvbT_PT0_S5_jNS_24const_host_device_scalarIT4_EEPKS3_PKS4_PKT1_PKT2_S8_PT3_21rocsparse_index_base_b
		.amdhsa_group_segment_fixed_size 0
		.amdhsa_private_segment_fixed_size 24
		.amdhsa_kernarg_size 120
		.amdhsa_user_sgpr_count 15
		.amdhsa_user_sgpr_dispatch_ptr 0
		.amdhsa_user_sgpr_queue_ptr 0
		.amdhsa_user_sgpr_kernarg_segment_ptr 1
		.amdhsa_user_sgpr_dispatch_id 0
		.amdhsa_user_sgpr_private_segment_size 0
		.amdhsa_wavefront_size32 1
		.amdhsa_uses_dynamic_stack 0
		.amdhsa_enable_private_segment 1
		.amdhsa_system_sgpr_workgroup_id_x 1
		.amdhsa_system_sgpr_workgroup_id_y 0
		.amdhsa_system_sgpr_workgroup_id_z 0
		.amdhsa_system_sgpr_workgroup_info 0
		.amdhsa_system_vgpr_workitem_id 0
		.amdhsa_next_free_vgpr 30
		.amdhsa_next_free_sgpr 24
		.amdhsa_reserve_vcc 1
		.amdhsa_float_round_mode_32 0
		.amdhsa_float_round_mode_16_64 0
		.amdhsa_float_denorm_mode_32 3
		.amdhsa_float_denorm_mode_16_64 3
		.amdhsa_dx10_clamp 1
		.amdhsa_ieee_mode 1
		.amdhsa_fp16_overflow 0
		.amdhsa_workgroup_processor_mode 1
		.amdhsa_memory_ordered 1
		.amdhsa_forward_progress 0
		.amdhsa_shared_vgpr_count 0
		.amdhsa_exception_fp_ieee_invalid_op 0
		.amdhsa_exception_fp_denorm_src 0
		.amdhsa_exception_fp_ieee_div_zero 0
		.amdhsa_exception_fp_ieee_overflow 0
		.amdhsa_exception_fp_ieee_underflow 0
		.amdhsa_exception_fp_ieee_inexact 0
		.amdhsa_exception_int_div_zero 0
	.end_amdhsa_kernel
	.section	.text._ZN9rocsparseL28csrmvn_lrb_short_rows_kernelIlld21rocsparse_complex_numIdES2_S2_EEvbT_PT0_S5_jNS_24const_host_device_scalarIT4_EEPKS3_PKS4_PKT1_PKT2_S8_PT3_21rocsparse_index_base_b,"axG",@progbits,_ZN9rocsparseL28csrmvn_lrb_short_rows_kernelIlld21rocsparse_complex_numIdES2_S2_EEvbT_PT0_S5_jNS_24const_host_device_scalarIT4_EEPKS3_PKS4_PKT1_PKT2_S8_PT3_21rocsparse_index_base_b,comdat
.Lfunc_end200:
	.size	_ZN9rocsparseL28csrmvn_lrb_short_rows_kernelIlld21rocsparse_complex_numIdES2_S2_EEvbT_PT0_S5_jNS_24const_host_device_scalarIT4_EEPKS3_PKS4_PKT1_PKT2_S8_PT3_21rocsparse_index_base_b, .Lfunc_end200-_ZN9rocsparseL28csrmvn_lrb_short_rows_kernelIlld21rocsparse_complex_numIdES2_S2_EEvbT_PT0_S5_jNS_24const_host_device_scalarIT4_EEPKS3_PKS4_PKT1_PKT2_S8_PT3_21rocsparse_index_base_b
                                        ; -- End function
	.section	.AMDGPU.csdata,"",@progbits
; Kernel info:
; codeLenInByte = 1184
; NumSgprs: 26
; NumVgprs: 30
; ScratchSize: 24
; MemoryBound: 0
; FloatMode: 240
; IeeeMode: 1
; LDSByteSize: 0 bytes/workgroup (compile time only)
; SGPRBlocks: 3
; VGPRBlocks: 3
; NumSGPRsForWavesPerEU: 26
; NumVGPRsForWavesPerEU: 30
; Occupancy: 16
; WaveLimiterHint : 1
; COMPUTE_PGM_RSRC2:SCRATCH_EN: 1
; COMPUTE_PGM_RSRC2:USER_SGPR: 15
; COMPUTE_PGM_RSRC2:TRAP_HANDLER: 0
; COMPUTE_PGM_RSRC2:TGID_X_EN: 1
; COMPUTE_PGM_RSRC2:TGID_Y_EN: 0
; COMPUTE_PGM_RSRC2:TGID_Z_EN: 0
; COMPUTE_PGM_RSRC2:TIDIG_COMP_CNT: 0
	.section	.text._ZN9rocsparseL30csrmvn_lrb_short_rows_2_kernelIlld21rocsparse_complex_numIdES2_S2_EEvbT_PT0_S5_jNS_24const_host_device_scalarIT4_EEPKS3_PKS4_PKT1_PKT2_S8_PT3_21rocsparse_index_base_b,"axG",@progbits,_ZN9rocsparseL30csrmvn_lrb_short_rows_2_kernelIlld21rocsparse_complex_numIdES2_S2_EEvbT_PT0_S5_jNS_24const_host_device_scalarIT4_EEPKS3_PKS4_PKT1_PKT2_S8_PT3_21rocsparse_index_base_b,comdat
	.globl	_ZN9rocsparseL30csrmvn_lrb_short_rows_2_kernelIlld21rocsparse_complex_numIdES2_S2_EEvbT_PT0_S5_jNS_24const_host_device_scalarIT4_EEPKS3_PKS4_PKT1_PKT2_S8_PT3_21rocsparse_index_base_b ; -- Begin function _ZN9rocsparseL30csrmvn_lrb_short_rows_2_kernelIlld21rocsparse_complex_numIdES2_S2_EEvbT_PT0_S5_jNS_24const_host_device_scalarIT4_EEPKS3_PKS4_PKT1_PKT2_S8_PT3_21rocsparse_index_base_b
	.p2align	8
	.type	_ZN9rocsparseL30csrmvn_lrb_short_rows_2_kernelIlld21rocsparse_complex_numIdES2_S2_EEvbT_PT0_S5_jNS_24const_host_device_scalarIT4_EEPKS3_PKS4_PKT1_PKT2_S8_PT3_21rocsparse_index_base_b,@function
_ZN9rocsparseL30csrmvn_lrb_short_rows_2_kernelIlld21rocsparse_complex_numIdES2_S2_EEvbT_PT0_S5_jNS_24const_host_device_scalarIT4_EEPKS3_PKS4_PKT1_PKT2_S8_PT3_21rocsparse_index_base_b: ; @_ZN9rocsparseL30csrmvn_lrb_short_rows_2_kernelIlld21rocsparse_complex_numIdES2_S2_EEvbT_PT0_S5_jNS_24const_host_device_scalarIT4_EEPKS3_PKS4_PKT1_PKT2_S8_PT3_21rocsparse_index_base_b
; %bb.0:
	s_clause 0x2
	s_load_b64 s[16:17], s[0:1], 0x70
	s_load_b128 s[8:11], s[0:1], 0x28
	s_load_b128 s[4:7], s[0:1], 0x58
	s_mov_b64 s[2:3], src_private_base
	v_mov_b32_e32 v1, 0
	s_waitcnt lgkmcnt(0)
	s_bitcmp1_b32 s17, 0
	v_dual_mov_b32 v3, s8 :: v_dual_mov_b32 v6, s5
	s_cselect_b32 s2, -1, 0
	v_mov_b32_e32 v4, s9
	s_and_b32 vcc_lo, s2, exec_lo
	s_cselect_b32 s12, s3, s9
	v_cndmask_b32_e64 v1, s8, v1, s2
	v_dual_mov_b32 v5, s4 :: v_dual_mov_b32 v2, s12
	s_clause 0x1
	scratch_store_b64 off, v[3:4], off
	scratch_store_b64 off, v[5:6], off offset:8
	v_dual_mov_b32 v16, s11 :: v_dual_mov_b32 v15, s10
	flat_load_b64 v[13:14], v[1:2]
	s_xor_b32 s10, s2, -1
	s_cbranch_vccnz .LBB201_2
; %bb.1:
	v_dual_mov_b32 v1, s8 :: v_dual_mov_b32 v2, s9
	flat_load_b64 v[15:16], v[1:2] offset:8
.LBB201_2:
	s_and_b32 s8, s2, exec_lo
	s_cselect_b32 s3, s3, s5
	s_delay_alu instid0(SALU_CYCLE_1) | instskip(SKIP_2) | instid1(VALU_DEP_2)
	v_dual_mov_b32 v1, 8 :: v_dual_mov_b32 v2, s3
	v_dual_mov_b32 v12, s7 :: v_dual_mov_b32 v11, s6
	s_and_not1_b32 vcc_lo, exec_lo, s10
	v_cndmask_b32_e64 v1, s4, v1, s2
	flat_load_b64 v[9:10], v[1:2]
	s_cbranch_vccnz .LBB201_4
; %bb.3:
	v_dual_mov_b32 v1, s4 :: v_dual_mov_b32 v2, s5
	flat_load_b64 v[11:12], v[1:2] offset:8
.LBB201_4:
	s_waitcnt vmcnt(1) lgkmcnt(1)
	v_cmp_eq_f64_e32 vcc_lo, 0, v[13:14]
	v_cmp_eq_f64_e64 s2, 0, v[15:16]
	s_delay_alu instid0(VALU_DEP_1)
	s_and_b32 s4, vcc_lo, s2
	s_mov_b32 s2, -1
	s_and_saveexec_b32 s3, s4
	s_cbranch_execz .LBB201_6
; %bb.5:
	s_waitcnt vmcnt(0) lgkmcnt(0)
	v_cmp_neq_f64_e32 vcc_lo, 1.0, v[9:10]
	v_cmp_neq_f64_e64 s2, 0, v[11:12]
	s_delay_alu instid0(VALU_DEP_1) | instskip(NEXT) | instid1(SALU_CYCLE_1)
	s_or_b32 s2, vcc_lo, s2
	s_or_not1_b32 s2, s2, exec_lo
.LBB201_6:
	s_or_b32 exec_lo, exec_lo, s3
	s_and_saveexec_b32 s3, s2
	s_cbranch_execz .LBB201_32
; %bb.7:
	s_clause 0x1
	s_load_b32 s12, s[0:1], 0x20
	s_load_b128 s[8:11], s[0:1], 0x10
	v_mul_f64 v[17:18], 0x80000000, v[15:16]
	v_mul_f64 v[19:20], v[13:14], 0
	s_mov_b32 s13, 0
	v_mov_b32_e32 v22, 0
	s_mov_b32 s5, s13
	s_waitcnt lgkmcnt(0)
	s_lshl_b64 s[2:3], s[12:13], 3
	v_lshrrev_b32_e32 v1, s12, v0
	s_add_u32 s2, s10, s2
	s_addc_u32 s3, s11, s3
	s_add_i32 s4, s12, 1
	v_bfe_u32 v21, v0, 0, s12
	s_lshl_b64 s[4:5], s[4:5], 3
	s_delay_alu instid0(SALU_CYCLE_1)
	s_add_u32 s4, s10, s4
	s_addc_u32 s5, s11, s5
	s_clause 0x1
	s_load_b64 s[18:19], s[2:3], 0x0
	s_load_b32 s17, s[4:5], 0x0
	s_clause 0x1
	s_load_b64 s[10:11], s[0:1], 0x68
	s_load_b256 s[0:7], s[0:1], 0x38
	s_lshr_b32 s13, 0x400, s12
	s_delay_alu instid0(SALU_CYCLE_1) | instskip(NEXT) | instid1(SALU_CYCLE_1)
	s_mul_i32 s14, s13, s15
	s_add_i32 s15, s14, s13
	v_add_nc_u32_e32 v1, s14, v1
	s_waitcnt lgkmcnt(0)
	s_sub_i32 s17, s17, s18
	s_lshl_b64 s[18:19], s[18:19], 3
	s_min_u32 s17, s17, s15
	s_add_u32 s8, s8, s18
	s_addc_u32 s9, s9, s19
	s_mov_b32 s15, exec_lo
	v_cmpx_gt_u32_e64 s17, v1
	s_cbranch_execz .LBB201_11
; %bb.8:
	v_mov_b32_e32 v2, v22
	s_delay_alu instid0(VALU_DEP_1) | instskip(NEXT) | instid1(VALU_DEP_1)
	v_lshlrev_b64 v[1:2], 3, v[1:2]
	v_add_co_u32 v1, vcc_lo, s8, v1
	s_delay_alu instid0(VALU_DEP_2) | instskip(SKIP_3) | instid1(VALU_DEP_1)
	v_add_co_ci_u32_e32 v2, vcc_lo, s9, v2, vcc_lo
	global_load_b64 v[1:2], v[1:2], off
	s_waitcnt vmcnt(0)
	v_lshlrev_b64 v[1:2], 3, v[1:2]
	v_add_co_u32 v1, vcc_lo, s0, v1
	s_delay_alu instid0(VALU_DEP_2)
	v_add_co_ci_u32_e32 v2, vcc_lo, s1, v2, vcc_lo
	global_load_b128 v[5:8], v[1:2], off
	v_mov_b32_e32 v1, 0
	v_mov_b32_e32 v2, 0
	s_waitcnt vmcnt(0)
	v_sub_co_u32 v3, vcc_lo, v7, v5
	v_sub_co_ci_u32_e32 v4, vcc_lo, v8, v6, vcc_lo
	s_delay_alu instid0(VALU_DEP_1)
	v_cmp_gt_i64_e32 vcc_lo, v[3:4], v[21:22]
	v_dual_mov_b32 v4, v2 :: v_dual_mov_b32 v3, v1
	s_and_saveexec_b32 s18, vcc_lo
	s_cbranch_execz .LBB201_10
; %bb.9:
	v_sub_co_u32 v1, vcc_lo, v5, s16
	v_subrev_co_ci_u32_e32 v2, vcc_lo, 0, v6, vcc_lo
	s_delay_alu instid0(VALU_DEP_2) | instskip(NEXT) | instid1(VALU_DEP_2)
	v_add_co_u32 v1, vcc_lo, v1, v21
	v_add_co_ci_u32_e32 v2, vcc_lo, 0, v2, vcc_lo
	s_delay_alu instid0(VALU_DEP_1) | instskip(NEXT) | instid1(VALU_DEP_1)
	v_lshlrev_b64 v[1:2], 3, v[1:2]
	v_add_co_u32 v3, vcc_lo, s2, v1
	s_delay_alu instid0(VALU_DEP_2)
	v_add_co_ci_u32_e32 v4, vcc_lo, s3, v2, vcc_lo
	v_add_co_u32 v1, vcc_lo, s4, v1
	v_add_co_ci_u32_e32 v2, vcc_lo, s5, v2, vcc_lo
	global_load_b64 v[3:4], v[3:4], off
	global_load_b64 v[1:2], v[1:2], off
	s_waitcnt vmcnt(1)
	v_sub_co_u32 v3, vcc_lo, v3, s16
	v_subrev_co_ci_u32_e32 v4, vcc_lo, 0, v4, vcc_lo
	s_waitcnt vmcnt(0)
	v_fma_f64 v[7:8], v[15:16], v[1:2], v[19:20]
	v_fma_f64 v[1:2], v[13:14], v[1:2], v[17:18]
	s_delay_alu instid0(VALU_DEP_3) | instskip(NEXT) | instid1(VALU_DEP_1)
	v_lshlrev_b64 v[3:4], 4, v[3:4]
	v_add_co_u32 v3, vcc_lo, s6, v3
	s_delay_alu instid0(VALU_DEP_2) | instskip(SKIP_4) | instid1(VALU_DEP_2)
	v_add_co_ci_u32_e32 v4, vcc_lo, s7, v4, vcc_lo
	global_load_b128 v[3:6], v[3:4], off
	s_waitcnt vmcnt(0)
	v_mul_f64 v[23:24], v[5:6], -v[7:8]
	v_mul_f64 v[5:6], v[1:2], v[5:6]
	v_fma_f64 v[1:2], v[1:2], v[3:4], v[23:24]
	s_delay_alu instid0(VALU_DEP_2)
	v_fma_f64 v[3:4], v[7:8], v[3:4], v[5:6]
.LBB201_10:
	s_or_b32 exec_lo, exec_lo, s18
	v_lshlrev_b32_e32 v5, 4, v0
	ds_store_b128 v5, v[1:4]
.LBB201_11:
	s_or_b32 exec_lo, exec_lo, s15
	v_or_b32_e32 v1, 0x100, v0
	s_mov_b32 s15, exec_lo
	s_delay_alu instid0(VALU_DEP_1) | instskip(NEXT) | instid1(VALU_DEP_1)
	v_lshrrev_b32_e32 v1, s12, v1
	v_add_nc_u32_e32 v1, s14, v1
	s_delay_alu instid0(VALU_DEP_1)
	v_cmpx_gt_u32_e64 s17, v1
	s_cbranch_execz .LBB201_15
; %bb.12:
	v_mov_b32_e32 v2, 0
	s_delay_alu instid0(VALU_DEP_1) | instskip(NEXT) | instid1(VALU_DEP_1)
	v_lshlrev_b64 v[1:2], 3, v[1:2]
	v_add_co_u32 v1, vcc_lo, s8, v1
	s_delay_alu instid0(VALU_DEP_2) | instskip(SKIP_3) | instid1(VALU_DEP_1)
	v_add_co_ci_u32_e32 v2, vcc_lo, s9, v2, vcc_lo
	global_load_b64 v[1:2], v[1:2], off
	s_waitcnt vmcnt(0)
	v_lshlrev_b64 v[1:2], 3, v[1:2]
	v_add_co_u32 v1, vcc_lo, s0, v1
	s_delay_alu instid0(VALU_DEP_2)
	v_add_co_ci_u32_e32 v2, vcc_lo, s1, v2, vcc_lo
	global_load_b128 v[5:8], v[1:2], off
	v_mov_b32_e32 v1, 0
	v_mov_b32_e32 v2, 0
	s_waitcnt vmcnt(0)
	v_sub_co_u32 v3, vcc_lo, v7, v5
	v_sub_co_ci_u32_e32 v4, vcc_lo, v8, v6, vcc_lo
	s_delay_alu instid0(VALU_DEP_1)
	v_cmp_gt_i64_e32 vcc_lo, v[3:4], v[21:22]
	v_dual_mov_b32 v4, v2 :: v_dual_mov_b32 v3, v1
	s_and_saveexec_b32 s18, vcc_lo
	s_cbranch_execz .LBB201_14
; %bb.13:
	v_sub_co_u32 v1, vcc_lo, v5, s16
	v_subrev_co_ci_u32_e32 v2, vcc_lo, 0, v6, vcc_lo
	s_delay_alu instid0(VALU_DEP_2) | instskip(NEXT) | instid1(VALU_DEP_2)
	v_add_co_u32 v1, vcc_lo, v1, v21
	v_add_co_ci_u32_e32 v2, vcc_lo, 0, v2, vcc_lo
	s_delay_alu instid0(VALU_DEP_1) | instskip(NEXT) | instid1(VALU_DEP_1)
	v_lshlrev_b64 v[1:2], 3, v[1:2]
	v_add_co_u32 v3, vcc_lo, s2, v1
	s_delay_alu instid0(VALU_DEP_2)
	v_add_co_ci_u32_e32 v4, vcc_lo, s3, v2, vcc_lo
	v_add_co_u32 v1, vcc_lo, s4, v1
	v_add_co_ci_u32_e32 v2, vcc_lo, s5, v2, vcc_lo
	global_load_b64 v[3:4], v[3:4], off
	global_load_b64 v[1:2], v[1:2], off
	s_waitcnt vmcnt(1)
	v_sub_co_u32 v3, vcc_lo, v3, s16
	v_subrev_co_ci_u32_e32 v4, vcc_lo, 0, v4, vcc_lo
	s_waitcnt vmcnt(0)
	v_fma_f64 v[7:8], v[15:16], v[1:2], v[19:20]
	v_fma_f64 v[1:2], v[13:14], v[1:2], v[17:18]
	s_delay_alu instid0(VALU_DEP_3) | instskip(NEXT) | instid1(VALU_DEP_1)
	v_lshlrev_b64 v[3:4], 4, v[3:4]
	v_add_co_u32 v3, vcc_lo, s6, v3
	s_delay_alu instid0(VALU_DEP_2) | instskip(SKIP_4) | instid1(VALU_DEP_2)
	v_add_co_ci_u32_e32 v4, vcc_lo, s7, v4, vcc_lo
	global_load_b128 v[3:6], v[3:4], off
	s_waitcnt vmcnt(0)
	v_mul_f64 v[23:24], v[5:6], -v[7:8]
	v_mul_f64 v[5:6], v[1:2], v[5:6]
	v_fma_f64 v[1:2], v[1:2], v[3:4], v[23:24]
	s_delay_alu instid0(VALU_DEP_2)
	v_fma_f64 v[3:4], v[7:8], v[3:4], v[5:6]
.LBB201_14:
	s_or_b32 exec_lo, exec_lo, s18
	v_lshlrev_b32_e32 v5, 4, v0
	ds_store_b128 v5, v[1:4] offset:4096
.LBB201_15:
	s_or_b32 exec_lo, exec_lo, s15
	v_or_b32_e32 v1, 0x200, v0
	s_mov_b32 s15, exec_lo
	s_delay_alu instid0(VALU_DEP_1) | instskip(NEXT) | instid1(VALU_DEP_1)
	v_lshrrev_b32_e32 v1, s12, v1
	v_add_nc_u32_e32 v1, s14, v1
	s_delay_alu instid0(VALU_DEP_1)
	v_cmpx_gt_u32_e64 s17, v1
	s_cbranch_execz .LBB201_19
; %bb.16:
	v_mov_b32_e32 v2, 0
	s_delay_alu instid0(VALU_DEP_1) | instskip(NEXT) | instid1(VALU_DEP_1)
	v_lshlrev_b64 v[1:2], 3, v[1:2]
	v_add_co_u32 v1, vcc_lo, s8, v1
	s_delay_alu instid0(VALU_DEP_2) | instskip(SKIP_3) | instid1(VALU_DEP_1)
	v_add_co_ci_u32_e32 v2, vcc_lo, s9, v2, vcc_lo
	global_load_b64 v[1:2], v[1:2], off
	s_waitcnt vmcnt(0)
	v_lshlrev_b64 v[1:2], 3, v[1:2]
	v_add_co_u32 v1, vcc_lo, s0, v1
	s_delay_alu instid0(VALU_DEP_2)
	v_add_co_ci_u32_e32 v2, vcc_lo, s1, v2, vcc_lo
	global_load_b128 v[5:8], v[1:2], off
	v_mov_b32_e32 v1, 0
	v_mov_b32_e32 v2, 0
	s_waitcnt vmcnt(0)
	v_sub_co_u32 v3, vcc_lo, v7, v5
	v_sub_co_ci_u32_e32 v4, vcc_lo, v8, v6, vcc_lo
	s_delay_alu instid0(VALU_DEP_1)
	v_cmp_gt_i64_e32 vcc_lo, v[3:4], v[21:22]
	v_dual_mov_b32 v4, v2 :: v_dual_mov_b32 v3, v1
	s_and_saveexec_b32 s18, vcc_lo
	s_cbranch_execz .LBB201_18
; %bb.17:
	v_sub_co_u32 v1, vcc_lo, v5, s16
	v_subrev_co_ci_u32_e32 v2, vcc_lo, 0, v6, vcc_lo
	s_delay_alu instid0(VALU_DEP_2) | instskip(NEXT) | instid1(VALU_DEP_2)
	v_add_co_u32 v1, vcc_lo, v1, v21
	v_add_co_ci_u32_e32 v2, vcc_lo, 0, v2, vcc_lo
	s_delay_alu instid0(VALU_DEP_1) | instskip(NEXT) | instid1(VALU_DEP_1)
	v_lshlrev_b64 v[1:2], 3, v[1:2]
	v_add_co_u32 v3, vcc_lo, s2, v1
	s_delay_alu instid0(VALU_DEP_2)
	v_add_co_ci_u32_e32 v4, vcc_lo, s3, v2, vcc_lo
	v_add_co_u32 v1, vcc_lo, s4, v1
	v_add_co_ci_u32_e32 v2, vcc_lo, s5, v2, vcc_lo
	global_load_b64 v[3:4], v[3:4], off
	global_load_b64 v[1:2], v[1:2], off
	s_waitcnt vmcnt(1)
	v_sub_co_u32 v3, vcc_lo, v3, s16
	v_subrev_co_ci_u32_e32 v4, vcc_lo, 0, v4, vcc_lo
	s_waitcnt vmcnt(0)
	v_fma_f64 v[7:8], v[15:16], v[1:2], v[19:20]
	v_fma_f64 v[1:2], v[13:14], v[1:2], v[17:18]
	s_delay_alu instid0(VALU_DEP_3) | instskip(NEXT) | instid1(VALU_DEP_1)
	v_lshlrev_b64 v[3:4], 4, v[3:4]
	v_add_co_u32 v3, vcc_lo, s6, v3
	s_delay_alu instid0(VALU_DEP_2) | instskip(SKIP_4) | instid1(VALU_DEP_2)
	v_add_co_ci_u32_e32 v4, vcc_lo, s7, v4, vcc_lo
	global_load_b128 v[3:6], v[3:4], off
	s_waitcnt vmcnt(0)
	v_mul_f64 v[23:24], v[5:6], -v[7:8]
	v_mul_f64 v[5:6], v[1:2], v[5:6]
	v_fma_f64 v[1:2], v[1:2], v[3:4], v[23:24]
	s_delay_alu instid0(VALU_DEP_2)
	v_fma_f64 v[3:4], v[7:8], v[3:4], v[5:6]
.LBB201_18:
	s_or_b32 exec_lo, exec_lo, s18
	v_lshlrev_b32_e32 v5, 4, v0
	ds_store_b128 v5, v[1:4] offset:8192
.LBB201_19:
	s_or_b32 exec_lo, exec_lo, s15
	v_or_b32_e32 v1, 0x300, v0
	s_mov_b32 s15, exec_lo
	s_delay_alu instid0(VALU_DEP_1) | instskip(NEXT) | instid1(VALU_DEP_1)
	v_lshrrev_b32_e32 v1, s12, v1
	v_add_nc_u32_e32 v1, s14, v1
	s_delay_alu instid0(VALU_DEP_1)
	v_cmpx_gt_u32_e64 s17, v1
	s_cbranch_execz .LBB201_23
; %bb.20:
	v_mov_b32_e32 v2, 0
	s_delay_alu instid0(VALU_DEP_1) | instskip(NEXT) | instid1(VALU_DEP_1)
	v_lshlrev_b64 v[1:2], 3, v[1:2]
	v_add_co_u32 v1, vcc_lo, s8, v1
	s_delay_alu instid0(VALU_DEP_2) | instskip(SKIP_3) | instid1(VALU_DEP_1)
	v_add_co_ci_u32_e32 v2, vcc_lo, s9, v2, vcc_lo
	global_load_b64 v[1:2], v[1:2], off
	s_waitcnt vmcnt(0)
	v_lshlrev_b64 v[1:2], 3, v[1:2]
	v_add_co_u32 v1, vcc_lo, s0, v1
	s_delay_alu instid0(VALU_DEP_2)
	v_add_co_ci_u32_e32 v2, vcc_lo, s1, v2, vcc_lo
	global_load_b128 v[5:8], v[1:2], off
	v_mov_b32_e32 v1, 0
	v_mov_b32_e32 v2, 0
	s_waitcnt vmcnt(0)
	v_sub_co_u32 v3, vcc_lo, v7, v5
	v_sub_co_ci_u32_e32 v4, vcc_lo, v8, v6, vcc_lo
	s_delay_alu instid0(VALU_DEP_1)
	v_cmp_gt_i64_e32 vcc_lo, v[3:4], v[21:22]
	v_dual_mov_b32 v4, v2 :: v_dual_mov_b32 v3, v1
	s_and_saveexec_b32 s0, vcc_lo
	s_cbranch_execz .LBB201_22
; %bb.21:
	v_sub_co_u32 v1, vcc_lo, v5, s16
	v_subrev_co_ci_u32_e32 v2, vcc_lo, 0, v6, vcc_lo
	s_delay_alu instid0(VALU_DEP_2) | instskip(NEXT) | instid1(VALU_DEP_2)
	v_add_co_u32 v1, vcc_lo, v1, v21
	v_add_co_ci_u32_e32 v2, vcc_lo, 0, v2, vcc_lo
	s_delay_alu instid0(VALU_DEP_1) | instskip(NEXT) | instid1(VALU_DEP_1)
	v_lshlrev_b64 v[1:2], 3, v[1:2]
	v_add_co_u32 v3, vcc_lo, s2, v1
	s_delay_alu instid0(VALU_DEP_2)
	v_add_co_ci_u32_e32 v4, vcc_lo, s3, v2, vcc_lo
	v_add_co_u32 v1, vcc_lo, s4, v1
	v_add_co_ci_u32_e32 v2, vcc_lo, s5, v2, vcc_lo
	global_load_b64 v[3:4], v[3:4], off
	global_load_b64 v[1:2], v[1:2], off
	s_waitcnt vmcnt(1)
	v_sub_co_u32 v3, vcc_lo, v3, s16
	v_subrev_co_ci_u32_e32 v4, vcc_lo, 0, v4, vcc_lo
	s_waitcnt vmcnt(0)
	v_fma_f64 v[7:8], v[15:16], v[1:2], v[19:20]
	v_fma_f64 v[1:2], v[13:14], v[1:2], v[17:18]
	s_delay_alu instid0(VALU_DEP_3) | instskip(NEXT) | instid1(VALU_DEP_1)
	v_lshlrev_b64 v[3:4], 4, v[3:4]
	v_add_co_u32 v3, vcc_lo, s6, v3
	s_delay_alu instid0(VALU_DEP_2) | instskip(SKIP_4) | instid1(VALU_DEP_2)
	v_add_co_ci_u32_e32 v4, vcc_lo, s7, v4, vcc_lo
	global_load_b128 v[3:6], v[3:4], off
	s_waitcnt vmcnt(0)
	v_mul_f64 v[13:14], v[5:6], -v[7:8]
	v_mul_f64 v[5:6], v[1:2], v[5:6]
	v_fma_f64 v[1:2], v[1:2], v[3:4], v[13:14]
	s_delay_alu instid0(VALU_DEP_2)
	v_fma_f64 v[3:4], v[7:8], v[3:4], v[5:6]
.LBB201_22:
	s_or_b32 exec_lo, exec_lo, s0
	v_lshlrev_b32_e32 v5, 4, v0
	ds_store_b128 v5, v[1:4] offset:12288
.LBB201_23:
	s_or_b32 exec_lo, exec_lo, s15
	s_cmp_lt_u32 s12, 11
	s_waitcnt vmcnt(0) lgkmcnt(0)
	s_waitcnt_vscnt null, 0x0
	s_barrier
	buffer_gl0_inv
	s_cbranch_scc0 .LBB201_32
; %bb.24:
	v_cmp_neq_f64_e32 vcc_lo, 0, v[9:10]
	v_cmp_neq_f64_e64 s0, 0, v[11:12]
	s_mov_b32 s15, 0
	v_mov_b32_e32 v5, 0
	s_lshl_b64 s[2:3], s[14:15], 3
	s_sub_i32 s1, s17, s14
	s_add_u32 s2, s8, s2
	s_addc_u32 s3, s9, s3
	s_delay_alu instid0(VALU_DEP_2)
	s_or_b32 s0, vcc_lo, s0
	s_branch .LBB201_27
.LBB201_25:                             ;   in Loop: Header=BB201_27 Depth=1
	s_or_b32 exec_lo, exec_lo, s5
	s_delay_alu instid0(VALU_DEP_1) | instskip(NEXT) | instid1(VALU_DEP_2)
	v_add_co_u32 v6, vcc_lo, s10, v6
	v_add_co_ci_u32_e32 v7, vcc_lo, s11, v7, vcc_lo
	global_store_b128 v[6:7], v[1:4], off
.LBB201_26:                             ;   in Loop: Header=BB201_27 Depth=1
	s_or_b32 exec_lo, exec_lo, s4
	s_addk_i32 s15, 0x100
	s_delay_alu instid0(SALU_CYCLE_1)
	s_cmp_lt_u32 s15, s13
	s_cbranch_scc0 .LBB201_32
.LBB201_27:                             ; =>This Loop Header: Depth=1
                                        ;     Child Loop BB201_29 Depth 2
	v_add_nc_u32_e32 v4, s15, v0
	s_mov_b32 s4, exec_lo
	s_delay_alu instid0(VALU_DEP_1)
	v_cmpx_gt_u32_e64 s1, v4
	s_cbranch_execz .LBB201_26
; %bb.28:                               ;   in Loop: Header=BB201_27 Depth=1
	v_lshlrev_b64 v[1:2], 3, v[4:5]
	s_mov_b32 s5, 1
	s_delay_alu instid0(VALU_DEP_1) | instskip(NEXT) | instid1(VALU_DEP_2)
	v_add_co_u32 v1, vcc_lo, s2, v1
	v_add_co_ci_u32_e32 v2, vcc_lo, s3, v2, vcc_lo
	global_load_b64 v[6:7], v[1:2], off
	v_lshlrev_b32_e32 v1, s12, v4
	v_mov_b32_e32 v3, 0
	v_mov_b32_e32 v4, 0
	s_delay_alu instid0(VALU_DEP_2) | instskip(NEXT) | instid1(VALU_DEP_2)
	v_dual_mov_b32 v1, v3 :: v_dual_lshlrev_b32 v8, 4, v1
	v_mov_b32_e32 v2, v4
.LBB201_29:                             ;   Parent Loop BB201_27 Depth=1
                                        ; =>  This Inner Loop Header: Depth=2
	ds_load_b128 v[13:16], v8
	v_add_nc_u32_e32 v8, 16, v8
	s_lshr_b32 s6, s5, s12
	s_add_i32 s5, s5, 1
	s_cmp_lg_u32 s6, 0
	s_waitcnt lgkmcnt(0)
	v_add_f64 v[1:2], v[1:2], v[13:14]
	v_add_f64 v[3:4], v[3:4], v[15:16]
	s_cbranch_scc0 .LBB201_29
; %bb.30:                               ;   in Loop: Header=BB201_27 Depth=1
	s_waitcnt vmcnt(0)
	v_lshlrev_b64 v[6:7], 4, v[6:7]
	s_and_saveexec_b32 s5, s0
	s_cbranch_execz .LBB201_25
; %bb.31:                               ;   in Loop: Header=BB201_27 Depth=1
	s_delay_alu instid0(VALU_DEP_1) | instskip(NEXT) | instid1(VALU_DEP_2)
	v_add_co_u32 v13, vcc_lo, s10, v6
	v_add_co_ci_u32_e32 v14, vcc_lo, s11, v7, vcc_lo
	global_load_b128 v[13:16], v[13:14], off
	s_waitcnt vmcnt(0)
	v_fma_f64 v[1:2], v[9:10], v[13:14], v[1:2]
	v_fma_f64 v[3:4], v[11:12], v[13:14], v[3:4]
	s_delay_alu instid0(VALU_DEP_2) | instskip(NEXT) | instid1(VALU_DEP_2)
	v_fma_f64 v[1:2], -v[11:12], v[15:16], v[1:2]
	v_fma_f64 v[3:4], v[9:10], v[15:16], v[3:4]
	s_branch .LBB201_25
.LBB201_32:
	s_endpgm
	.section	.rodata,"a",@progbits
	.p2align	6, 0x0
	.amdhsa_kernel _ZN9rocsparseL30csrmvn_lrb_short_rows_2_kernelIlld21rocsparse_complex_numIdES2_S2_EEvbT_PT0_S5_jNS_24const_host_device_scalarIT4_EEPKS3_PKS4_PKT1_PKT2_S8_PT3_21rocsparse_index_base_b
		.amdhsa_group_segment_fixed_size 16384
		.amdhsa_private_segment_fixed_size 24
		.amdhsa_kernarg_size 120
		.amdhsa_user_sgpr_count 15
		.amdhsa_user_sgpr_dispatch_ptr 0
		.amdhsa_user_sgpr_queue_ptr 0
		.amdhsa_user_sgpr_kernarg_segment_ptr 1
		.amdhsa_user_sgpr_dispatch_id 0
		.amdhsa_user_sgpr_private_segment_size 0
		.amdhsa_wavefront_size32 1
		.amdhsa_uses_dynamic_stack 0
		.amdhsa_enable_private_segment 1
		.amdhsa_system_sgpr_workgroup_id_x 1
		.amdhsa_system_sgpr_workgroup_id_y 0
		.amdhsa_system_sgpr_workgroup_id_z 0
		.amdhsa_system_sgpr_workgroup_info 0
		.amdhsa_system_vgpr_workitem_id 0
		.amdhsa_next_free_vgpr 25
		.amdhsa_next_free_sgpr 20
		.amdhsa_reserve_vcc 1
		.amdhsa_float_round_mode_32 0
		.amdhsa_float_round_mode_16_64 0
		.amdhsa_float_denorm_mode_32 3
		.amdhsa_float_denorm_mode_16_64 3
		.amdhsa_dx10_clamp 1
		.amdhsa_ieee_mode 1
		.amdhsa_fp16_overflow 0
		.amdhsa_workgroup_processor_mode 1
		.amdhsa_memory_ordered 1
		.amdhsa_forward_progress 0
		.amdhsa_shared_vgpr_count 0
		.amdhsa_exception_fp_ieee_invalid_op 0
		.amdhsa_exception_fp_denorm_src 0
		.amdhsa_exception_fp_ieee_div_zero 0
		.amdhsa_exception_fp_ieee_overflow 0
		.amdhsa_exception_fp_ieee_underflow 0
		.amdhsa_exception_fp_ieee_inexact 0
		.amdhsa_exception_int_div_zero 0
	.end_amdhsa_kernel
	.section	.text._ZN9rocsparseL30csrmvn_lrb_short_rows_2_kernelIlld21rocsparse_complex_numIdES2_S2_EEvbT_PT0_S5_jNS_24const_host_device_scalarIT4_EEPKS3_PKS4_PKT1_PKT2_S8_PT3_21rocsparse_index_base_b,"axG",@progbits,_ZN9rocsparseL30csrmvn_lrb_short_rows_2_kernelIlld21rocsparse_complex_numIdES2_S2_EEvbT_PT0_S5_jNS_24const_host_device_scalarIT4_EEPKS3_PKS4_PKT1_PKT2_S8_PT3_21rocsparse_index_base_b,comdat
.Lfunc_end201:
	.size	_ZN9rocsparseL30csrmvn_lrb_short_rows_2_kernelIlld21rocsparse_complex_numIdES2_S2_EEvbT_PT0_S5_jNS_24const_host_device_scalarIT4_EEPKS3_PKS4_PKT1_PKT2_S8_PT3_21rocsparse_index_base_b, .Lfunc_end201-_ZN9rocsparseL30csrmvn_lrb_short_rows_2_kernelIlld21rocsparse_complex_numIdES2_S2_EEvbT_PT0_S5_jNS_24const_host_device_scalarIT4_EEPKS3_PKS4_PKT1_PKT2_S8_PT3_21rocsparse_index_base_b
                                        ; -- End function
	.section	.AMDGPU.csdata,"",@progbits
; Kernel info:
; codeLenInByte = 2324
; NumSgprs: 22
; NumVgprs: 25
; ScratchSize: 24
; MemoryBound: 0
; FloatMode: 240
; IeeeMode: 1
; LDSByteSize: 16384 bytes/workgroup (compile time only)
; SGPRBlocks: 2
; VGPRBlocks: 3
; NumSGPRsForWavesPerEU: 22
; NumVGPRsForWavesPerEU: 25
; Occupancy: 16
; WaveLimiterHint : 1
; COMPUTE_PGM_RSRC2:SCRATCH_EN: 1
; COMPUTE_PGM_RSRC2:USER_SGPR: 15
; COMPUTE_PGM_RSRC2:TRAP_HANDLER: 0
; COMPUTE_PGM_RSRC2:TGID_X_EN: 1
; COMPUTE_PGM_RSRC2:TGID_Y_EN: 0
; COMPUTE_PGM_RSRC2:TGID_Z_EN: 0
; COMPUTE_PGM_RSRC2:TIDIG_COMP_CNT: 0
	.section	.text._ZN9rocsparseL41csrmvn_lrb_medium_rows_warp_reduce_kernelILj256ELj32Elld21rocsparse_complex_numIdES2_S2_EEvbT1_lPT2_S5_jNS_24const_host_device_scalarIT6_EEPKS3_PKS4_PKT3_PKT4_S8_PT5_21rocsparse_index_base_b,"axG",@progbits,_ZN9rocsparseL41csrmvn_lrb_medium_rows_warp_reduce_kernelILj256ELj32Elld21rocsparse_complex_numIdES2_S2_EEvbT1_lPT2_S5_jNS_24const_host_device_scalarIT6_EEPKS3_PKS4_PKT3_PKT4_S8_PT5_21rocsparse_index_base_b,comdat
	.globl	_ZN9rocsparseL41csrmvn_lrb_medium_rows_warp_reduce_kernelILj256ELj32Elld21rocsparse_complex_numIdES2_S2_EEvbT1_lPT2_S5_jNS_24const_host_device_scalarIT6_EEPKS3_PKS4_PKT3_PKT4_S8_PT5_21rocsparse_index_base_b ; -- Begin function _ZN9rocsparseL41csrmvn_lrb_medium_rows_warp_reduce_kernelILj256ELj32Elld21rocsparse_complex_numIdES2_S2_EEvbT1_lPT2_S5_jNS_24const_host_device_scalarIT6_EEPKS3_PKS4_PKT3_PKT4_S8_PT5_21rocsparse_index_base_b
	.p2align	8
	.type	_ZN9rocsparseL41csrmvn_lrb_medium_rows_warp_reduce_kernelILj256ELj32Elld21rocsparse_complex_numIdES2_S2_EEvbT1_lPT2_S5_jNS_24const_host_device_scalarIT6_EEPKS3_PKS4_PKT3_PKT4_S8_PT5_21rocsparse_index_base_b,@function
_ZN9rocsparseL41csrmvn_lrb_medium_rows_warp_reduce_kernelILj256ELj32Elld21rocsparse_complex_numIdES2_S2_EEvbT1_lPT2_S5_jNS_24const_host_device_scalarIT6_EEPKS3_PKS4_PKT3_PKT4_S8_PT5_21rocsparse_index_base_b: ; @_ZN9rocsparseL41csrmvn_lrb_medium_rows_warp_reduce_kernelILj256ELj32Elld21rocsparse_complex_numIdES2_S2_EEvbT1_lPT2_S5_jNS_24const_host_device_scalarIT6_EEPKS3_PKS4_PKT3_PKT4_S8_PT5_21rocsparse_index_base_b
; %bb.0:
	s_clause 0x1
	s_load_b64 s[12:13], s[2:3], 0x78
	s_load_b128 s[4:7], s[2:3], 0x30
	s_load_b64 s[16:17], s[0:1], 0x4
	s_mov_b64 s[0:1], src_shared_base
	v_and_b32_e32 v10, 0x3ff, v0
	s_load_b128 s[8:11], s[2:3], 0x60
	v_bfe_u32 v2, v0, 10, 10
	v_bfe_u32 v0, v0, 20, 10
	s_waitcnt lgkmcnt(0)
	s_bitcmp1_b32 s13, 0
	s_cselect_b32 s0, -1, 0
	s_delay_alu instid0(SALU_CYCLE_1) | instskip(SKIP_4) | instid1(SALU_CYCLE_1)
	s_and_b32 vcc_lo, s0, exec_lo
	s_cselect_b32 s13, s1, s5
	s_lshr_b32 s14, s16, 16
	v_mov_b32_e32 v6, s13
	s_mul_i32 s14, s14, s17
	v_mul_lo_u32 v1, s14, v10
	s_delay_alu instid0(VALU_DEP_1) | instskip(SKIP_1) | instid1(VALU_DEP_2)
	v_mad_u32_u24 v1, v2, s17, v1
	v_dual_mov_b32 v2, s8 :: v_dual_mov_b32 v3, s9
	v_add_lshl_u32 v4, v1, v0, 3
	v_dual_mov_b32 v0, s4 :: v_dual_mov_b32 v1, s5
	s_delay_alu instid0(VALU_DEP_2)
	v_add_nc_u32_e32 v5, 0x800, v4
	ds_store_2addr_stride64_b64 v4, v[2:3], v[0:1] offset1:4
	v_dual_mov_b32 v2, s6 :: v_dual_mov_b32 v3, s7
	v_cndmask_b32_e64 v5, s4, v5, s0
	s_xor_b32 s6, s0, -1
	flat_load_b64 v[0:1], v[5:6]
	s_cbranch_vccnz .LBB202_2
; %bb.1:
	v_dual_mov_b32 v2, s4 :: v_dual_mov_b32 v3, s5
	flat_load_b64 v[2:3], v[2:3] offset:8
.LBB202_2:
	s_and_b32 s4, s0, exec_lo
	s_cselect_b32 s1, s1, s9
	v_cndmask_b32_e64 v4, s8, v4, s0
	v_dual_mov_b32 v5, s1 :: v_dual_mov_b32 v6, s10
	v_mov_b32_e32 v7, s11
	s_and_not1_b32 vcc_lo, exec_lo, s6
	flat_load_b64 v[4:5], v[4:5]
	s_cbranch_vccnz .LBB202_4
; %bb.3:
	v_dual_mov_b32 v6, s8 :: v_dual_mov_b32 v7, s9
	flat_load_b64 v[6:7], v[6:7] offset:8
.LBB202_4:
	s_waitcnt vmcnt(1) lgkmcnt(1)
	v_cmp_eq_f64_e32 vcc_lo, 0, v[0:1]
	v_cmp_eq_f64_e64 s0, 0, v[2:3]
	s_delay_alu instid0(VALU_DEP_1)
	s_and_b32 s4, vcc_lo, s0
	s_mov_b32 s0, -1
	s_and_saveexec_b32 s1, s4
	s_cbranch_execz .LBB202_6
; %bb.5:
	s_waitcnt vmcnt(0) lgkmcnt(0)
	v_cmp_neq_f64_e32 vcc_lo, 1.0, v[4:5]
	v_cmp_neq_f64_e64 s0, 0, v[6:7]
	s_delay_alu instid0(VALU_DEP_1) | instskip(NEXT) | instid1(SALU_CYCLE_1)
	s_or_b32 s0, vcc_lo, s0
	s_or_not1_b32 s0, s0, exec_lo
.LBB202_6:
	s_or_b32 exec_lo, exec_lo, s1
	s_and_saveexec_b32 s1, s0
	s_cbranch_execz .LBB202_16
; %bb.7:
	s_load_b64 s[0:1], s[2:3], 0x10
	v_lshrrev_b32_e32 v8, 5, v10
	s_delay_alu instid0(VALU_DEP_1) | instskip(NEXT) | instid1(VALU_DEP_1)
	v_lshl_or_b32 v8, s15, 3, v8
	v_ashrrev_i32_e32 v9, 31, v8
	s_waitcnt lgkmcnt(0)
	s_delay_alu instid0(VALU_DEP_1)
	v_cmp_gt_i64_e32 vcc_lo, s[0:1], v[8:9]
	s_and_b32 exec_lo, exec_lo, vcc_lo
	s_cbranch_execz .LBB202_16
; %bb.8:
	s_clause 0x1
	s_load_b32 s0, s[2:3], 0x28
	s_load_b128 s[4:7], s[2:3], 0x18
	s_mov_b32 s1, 0
	v_lshlrev_b64 v[8:9], 3, v[8:9]
	v_and_b32_e32 v26, 31, v10
	s_waitcnt lgkmcnt(0)
	s_lshl_b64 s[8:9], s[0:1], 3
	s_delay_alu instid0(SALU_CYCLE_1) | instskip(SKIP_4) | instid1(SALU_CYCLE_1)
	s_add_u32 s6, s6, s8
	s_addc_u32 s7, s7, s9
	s_load_b64 s[6:7], s[6:7], 0x0
	s_waitcnt lgkmcnt(0)
	s_lshl_b64 s[6:7], s[6:7], 3
	s_add_u32 s0, s4, s6
	s_addc_u32 s4, s5, s7
	v_add_co_u32 v8, vcc_lo, s0, v8
	v_add_co_ci_u32_e32 v9, vcc_lo, s4, v9, vcc_lo
	s_load_b64 s[4:5], s[2:3], 0x40
	v_sub_co_u32 v10, s0, v26, s12
	global_load_b64 v[8:9], v[8:9], off
	s_mov_b32 s6, exec_lo
	s_waitcnt vmcnt(0)
	v_lshlrev_b64 v[11:12], 3, v[8:9]
	s_waitcnt lgkmcnt(0)
	s_delay_alu instid0(VALU_DEP_1) | instskip(NEXT) | instid1(VALU_DEP_2)
	v_add_co_u32 v11, vcc_lo, s4, v11
	v_add_co_ci_u32_e32 v12, vcc_lo, s5, v12, vcc_lo
	s_load_b64 s[4:5], s[2:3], 0x70
	global_load_b128 v[12:15], v[11:12], off
	v_sub_co_ci_u32_e64 v11, null, 0, 0, s0
	s_waitcnt vmcnt(0)
	v_sub_co_u32 v14, vcc_lo, v14, s12
	v_subrev_co_ci_u32_e32 v15, vcc_lo, 0, v15, vcc_lo
	v_add_co_u32 v16, vcc_lo, v12, v10
	v_add_co_ci_u32_e32 v17, vcc_lo, v13, v11, vcc_lo
	v_mov_b32_e32 v10, 0
	v_mov_b32_e32 v11, 0
	s_delay_alu instid0(VALU_DEP_1) | instskip(NEXT) | instid1(VALU_DEP_4)
	v_dual_mov_b32 v13, v11 :: v_dual_mov_b32 v12, v10
	v_cmpx_lt_i64_e64 v[16:17], v[14:15]
	s_cbranch_execz .LBB202_12
; %bb.9:
	v_mul_f64 v[18:19], 0x80000000, v[2:3]
	v_mul_f64 v[20:21], v[0:1], 0
	s_clause 0x1
	s_load_b128 s[8:11], s[2:3], 0x48
	s_load_b64 s[2:3], s[2:3], 0x58
	v_lshlrev_b64 v[12:13], 3, v[16:17]
	v_mov_b32_e32 v10, 0
	v_mov_b32_e32 v11, 0
	s_waitcnt lgkmcnt(0)
	s_delay_alu instid0(VALU_DEP_3) | instskip(NEXT) | instid1(VALU_DEP_4)
	v_add_co_u32 v22, vcc_lo, s10, v12
	v_add_co_ci_u32_e32 v23, vcc_lo, s11, v13, vcc_lo
	v_add_co_u32 v24, vcc_lo, s8, v12
	v_add_co_ci_u32_e32 v25, vcc_lo, s9, v13, vcc_lo
	v_dual_mov_b32 v13, v11 :: v_dual_mov_b32 v12, v10
	s_set_inst_prefetch_distance 0x1
	.p2align	6
.LBB202_10:                             ; =>This Inner Loop Header: Depth=1
	global_load_b64 v[27:28], v[24:25], off
	global_load_b64 v[31:32], v[22:23], off
	v_add_co_u32 v24, s0, 0x100, v24
	s_delay_alu instid0(VALU_DEP_1)
	v_add_co_ci_u32_e64 v25, s0, 0, v25, s0
	s_waitcnt vmcnt(1)
	v_sub_co_u32 v27, vcc_lo, v27, s12
	v_subrev_co_ci_u32_e32 v28, vcc_lo, 0, v28, vcc_lo
	s_waitcnt vmcnt(0)
	v_fma_f64 v[33:34], v[0:1], v[31:32], v[18:19]
	v_fma_f64 v[31:32], v[2:3], v[31:32], v[20:21]
	s_delay_alu instid0(VALU_DEP_3) | instskip(NEXT) | instid1(VALU_DEP_1)
	v_lshlrev_b64 v[27:28], 4, v[27:28]
	v_add_co_u32 v27, vcc_lo, s2, v27
	s_delay_alu instid0(VALU_DEP_2)
	v_add_co_ci_u32_e32 v28, vcc_lo, s3, v28, vcc_lo
	v_add_co_u32 v16, vcc_lo, v16, 32
	v_add_co_ci_u32_e32 v17, vcc_lo, 0, v17, vcc_lo
	global_load_b128 v[27:30], v[27:28], off
	v_add_co_u32 v22, vcc_lo, 0x100, v22
	v_add_co_ci_u32_e32 v23, vcc_lo, 0, v23, vcc_lo
	v_cmp_ge_i64_e32 vcc_lo, v[16:17], v[14:15]
	s_or_b32 s1, vcc_lo, s1
	s_waitcnt vmcnt(0)
	v_fma_f64 v[12:13], v[33:34], v[27:28], v[12:13]
	v_fma_f64 v[10:11], v[31:32], v[27:28], v[10:11]
	s_delay_alu instid0(VALU_DEP_2) | instskip(NEXT) | instid1(VALU_DEP_2)
	v_fma_f64 v[12:13], -v[31:32], v[29:30], v[12:13]
	v_fma_f64 v[10:11], v[33:34], v[29:30], v[10:11]
	s_and_not1_b32 exec_lo, exec_lo, s1
	s_cbranch_execnz .LBB202_10
; %bb.11:
	s_set_inst_prefetch_distance 0x2
	s_or_b32 exec_lo, exec_lo, s1
.LBB202_12:
	s_delay_alu instid0(SALU_CYCLE_1) | instskip(SKIP_1) | instid1(VALU_DEP_1)
	s_or_b32 exec_lo, exec_lo, s6
	v_mbcnt_lo_u32_b32 v14, -1, 0
	v_xor_b32_e32 v0, 16, v14
	s_delay_alu instid0(VALU_DEP_1) | instskip(SKIP_1) | instid1(VALU_DEP_1)
	v_cmp_gt_i32_e32 vcc_lo, 32, v0
	v_cndmask_b32_e32 v0, v14, v0, vcc_lo
	v_lshlrev_b32_e32 v3, 2, v0
	ds_bpermute_b32 v0, v3, v12
	ds_bpermute_b32 v1, v3, v13
	;; [unrolled: 1-line block ×4, first 2 shown]
	s_waitcnt lgkmcnt(0)
	v_add_f64 v[0:1], v[12:13], v[0:1]
	v_add_f64 v[2:3], v[10:11], v[2:3]
	v_xor_b32_e32 v10, 8, v14
	s_delay_alu instid0(VALU_DEP_1) | instskip(SKIP_1) | instid1(VALU_DEP_1)
	v_cmp_gt_i32_e32 vcc_lo, 32, v10
	v_cndmask_b32_e32 v10, v14, v10, vcc_lo
	v_lshlrev_b32_e32 v13, 2, v10
	ds_bpermute_b32 v10, v13, v0
	ds_bpermute_b32 v11, v13, v1
	;; [unrolled: 1-line block ×4, first 2 shown]
	s_waitcnt lgkmcnt(2)
	v_add_f64 v[0:1], v[0:1], v[10:11]
	v_xor_b32_e32 v10, 4, v14
	s_waitcnt lgkmcnt(0)
	v_add_f64 v[2:3], v[2:3], v[12:13]
	s_delay_alu instid0(VALU_DEP_2) | instskip(SKIP_1) | instid1(VALU_DEP_1)
	v_cmp_gt_i32_e32 vcc_lo, 32, v10
	v_cndmask_b32_e32 v10, v14, v10, vcc_lo
	v_lshlrev_b32_e32 v13, 2, v10
	ds_bpermute_b32 v10, v13, v0
	ds_bpermute_b32 v11, v13, v1
	;; [unrolled: 1-line block ×4, first 2 shown]
	s_waitcnt lgkmcnt(2)
	v_add_f64 v[0:1], v[0:1], v[10:11]
	v_xor_b32_e32 v10, 2, v14
	s_waitcnt lgkmcnt(0)
	v_add_f64 v[2:3], v[2:3], v[12:13]
	s_delay_alu instid0(VALU_DEP_2) | instskip(SKIP_1) | instid1(VALU_DEP_1)
	v_cmp_gt_i32_e32 vcc_lo, 32, v10
	v_cndmask_b32_e32 v10, v14, v10, vcc_lo
	v_lshlrev_b32_e32 v13, 2, v10
	ds_bpermute_b32 v10, v13, v0
	ds_bpermute_b32 v11, v13, v1
	ds_bpermute_b32 v12, v13, v2
	ds_bpermute_b32 v13, v13, v3
	s_waitcnt lgkmcnt(2)
	v_add_f64 v[0:1], v[0:1], v[10:11]
	v_xor_b32_e32 v10, 1, v14
	s_waitcnt lgkmcnt(0)
	v_add_f64 v[2:3], v[2:3], v[12:13]
	s_delay_alu instid0(VALU_DEP_2) | instskip(SKIP_2) | instid1(VALU_DEP_2)
	v_cmp_gt_i32_e32 vcc_lo, 32, v10
	v_cndmask_b32_e32 v10, v14, v10, vcc_lo
	v_cmp_eq_u32_e32 vcc_lo, 31, v26
	v_lshlrev_b32_e32 v13, 2, v10
	ds_bpermute_b32 v10, v13, v0
	ds_bpermute_b32 v11, v13, v1
	;; [unrolled: 1-line block ×4, first 2 shown]
	s_and_b32 exec_lo, exec_lo, vcc_lo
	s_cbranch_execz .LBB202_16
; %bb.13:
	v_cmp_neq_f64_e32 vcc_lo, 0, v[4:5]
	v_cmp_neq_f64_e64 s0, 0, v[6:7]
	s_waitcnt lgkmcnt(2)
	v_add_f64 v[0:1], v[0:1], v[10:11]
	s_waitcnt lgkmcnt(0)
	v_add_f64 v[2:3], v[2:3], v[12:13]
	v_lshlrev_b64 v[8:9], 4, v[8:9]
	s_delay_alu instid0(VALU_DEP_4) | instskip(NEXT) | instid1(SALU_CYCLE_1)
	s_or_b32 s1, vcc_lo, s0
	s_and_saveexec_b32 s0, s1
	s_cbranch_execz .LBB202_15
; %bb.14:
	s_delay_alu instid0(VALU_DEP_1) | instskip(NEXT) | instid1(VALU_DEP_2)
	v_add_co_u32 v10, vcc_lo, s4, v8
	v_add_co_ci_u32_e32 v11, vcc_lo, s5, v9, vcc_lo
	global_load_b128 v[10:13], v[10:11], off
	s_waitcnt vmcnt(0)
	v_fma_f64 v[0:1], v[4:5], v[10:11], v[0:1]
	v_fma_f64 v[2:3], v[6:7], v[10:11], v[2:3]
	s_delay_alu instid0(VALU_DEP_2) | instskip(NEXT) | instid1(VALU_DEP_2)
	v_fma_f64 v[0:1], -v[6:7], v[12:13], v[0:1]
	v_fma_f64 v[2:3], v[4:5], v[12:13], v[2:3]
.LBB202_15:
	s_or_b32 exec_lo, exec_lo, s0
	s_delay_alu instid0(VALU_DEP_1)
	v_add_co_u32 v4, vcc_lo, s4, v8
	v_add_co_ci_u32_e32 v5, vcc_lo, s5, v9, vcc_lo
	global_store_b128 v[4:5], v[0:3], off
.LBB202_16:
	s_nop 0
	s_sendmsg sendmsg(MSG_DEALLOC_VGPRS)
	s_endpgm
	.section	.rodata,"a",@progbits
	.p2align	6, 0x0
	.amdhsa_kernel _ZN9rocsparseL41csrmvn_lrb_medium_rows_warp_reduce_kernelILj256ELj32Elld21rocsparse_complex_numIdES2_S2_EEvbT1_lPT2_S5_jNS_24const_host_device_scalarIT6_EEPKS3_PKS4_PKT3_PKT4_S8_PT5_21rocsparse_index_base_b
		.amdhsa_group_segment_fixed_size 4096
		.amdhsa_private_segment_fixed_size 0
		.amdhsa_kernarg_size 128
		.amdhsa_user_sgpr_count 15
		.amdhsa_user_sgpr_dispatch_ptr 1
		.amdhsa_user_sgpr_queue_ptr 0
		.amdhsa_user_sgpr_kernarg_segment_ptr 1
		.amdhsa_user_sgpr_dispatch_id 0
		.amdhsa_user_sgpr_private_segment_size 0
		.amdhsa_wavefront_size32 1
		.amdhsa_uses_dynamic_stack 0
		.amdhsa_enable_private_segment 0
		.amdhsa_system_sgpr_workgroup_id_x 1
		.amdhsa_system_sgpr_workgroup_id_y 0
		.amdhsa_system_sgpr_workgroup_id_z 0
		.amdhsa_system_sgpr_workgroup_info 0
		.amdhsa_system_vgpr_workitem_id 2
		.amdhsa_next_free_vgpr 35
		.amdhsa_next_free_sgpr 18
		.amdhsa_reserve_vcc 1
		.amdhsa_float_round_mode_32 0
		.amdhsa_float_round_mode_16_64 0
		.amdhsa_float_denorm_mode_32 3
		.amdhsa_float_denorm_mode_16_64 3
		.amdhsa_dx10_clamp 1
		.amdhsa_ieee_mode 1
		.amdhsa_fp16_overflow 0
		.amdhsa_workgroup_processor_mode 1
		.amdhsa_memory_ordered 1
		.amdhsa_forward_progress 0
		.amdhsa_shared_vgpr_count 0
		.amdhsa_exception_fp_ieee_invalid_op 0
		.amdhsa_exception_fp_denorm_src 0
		.amdhsa_exception_fp_ieee_div_zero 0
		.amdhsa_exception_fp_ieee_overflow 0
		.amdhsa_exception_fp_ieee_underflow 0
		.amdhsa_exception_fp_ieee_inexact 0
		.amdhsa_exception_int_div_zero 0
	.end_amdhsa_kernel
	.section	.text._ZN9rocsparseL41csrmvn_lrb_medium_rows_warp_reduce_kernelILj256ELj32Elld21rocsparse_complex_numIdES2_S2_EEvbT1_lPT2_S5_jNS_24const_host_device_scalarIT6_EEPKS3_PKS4_PKT3_PKT4_S8_PT5_21rocsparse_index_base_b,"axG",@progbits,_ZN9rocsparseL41csrmvn_lrb_medium_rows_warp_reduce_kernelILj256ELj32Elld21rocsparse_complex_numIdES2_S2_EEvbT1_lPT2_S5_jNS_24const_host_device_scalarIT6_EEPKS3_PKS4_PKT3_PKT4_S8_PT5_21rocsparse_index_base_b,comdat
.Lfunc_end202:
	.size	_ZN9rocsparseL41csrmvn_lrb_medium_rows_warp_reduce_kernelILj256ELj32Elld21rocsparse_complex_numIdES2_S2_EEvbT1_lPT2_S5_jNS_24const_host_device_scalarIT6_EEPKS3_PKS4_PKT3_PKT4_S8_PT5_21rocsparse_index_base_b, .Lfunc_end202-_ZN9rocsparseL41csrmvn_lrb_medium_rows_warp_reduce_kernelILj256ELj32Elld21rocsparse_complex_numIdES2_S2_EEvbT1_lPT2_S5_jNS_24const_host_device_scalarIT6_EEPKS3_PKS4_PKT3_PKT4_S8_PT5_21rocsparse_index_base_b
                                        ; -- End function
	.section	.AMDGPU.csdata,"",@progbits
; Kernel info:
; codeLenInByte = 1480
; NumSgprs: 20
; NumVgprs: 35
; ScratchSize: 0
; MemoryBound: 0
; FloatMode: 240
; IeeeMode: 1
; LDSByteSize: 4096 bytes/workgroup (compile time only)
; SGPRBlocks: 2
; VGPRBlocks: 4
; NumSGPRsForWavesPerEU: 20
; NumVGPRsForWavesPerEU: 35
; Occupancy: 16
; WaveLimiterHint : 1
; COMPUTE_PGM_RSRC2:SCRATCH_EN: 0
; COMPUTE_PGM_RSRC2:USER_SGPR: 15
; COMPUTE_PGM_RSRC2:TRAP_HANDLER: 0
; COMPUTE_PGM_RSRC2:TGID_X_EN: 1
; COMPUTE_PGM_RSRC2:TGID_Y_EN: 0
; COMPUTE_PGM_RSRC2:TGID_Z_EN: 0
; COMPUTE_PGM_RSRC2:TIDIG_COMP_CNT: 2
	.section	.text._ZN9rocsparseL41csrmvn_lrb_medium_rows_warp_reduce_kernelILj256ELj64Elld21rocsparse_complex_numIdES2_S2_EEvbT1_lPT2_S5_jNS_24const_host_device_scalarIT6_EEPKS3_PKS4_PKT3_PKT4_S8_PT5_21rocsparse_index_base_b,"axG",@progbits,_ZN9rocsparseL41csrmvn_lrb_medium_rows_warp_reduce_kernelILj256ELj64Elld21rocsparse_complex_numIdES2_S2_EEvbT1_lPT2_S5_jNS_24const_host_device_scalarIT6_EEPKS3_PKS4_PKT3_PKT4_S8_PT5_21rocsparse_index_base_b,comdat
	.globl	_ZN9rocsparseL41csrmvn_lrb_medium_rows_warp_reduce_kernelILj256ELj64Elld21rocsparse_complex_numIdES2_S2_EEvbT1_lPT2_S5_jNS_24const_host_device_scalarIT6_EEPKS3_PKS4_PKT3_PKT4_S8_PT5_21rocsparse_index_base_b ; -- Begin function _ZN9rocsparseL41csrmvn_lrb_medium_rows_warp_reduce_kernelILj256ELj64Elld21rocsparse_complex_numIdES2_S2_EEvbT1_lPT2_S5_jNS_24const_host_device_scalarIT6_EEPKS3_PKS4_PKT3_PKT4_S8_PT5_21rocsparse_index_base_b
	.p2align	8
	.type	_ZN9rocsparseL41csrmvn_lrb_medium_rows_warp_reduce_kernelILj256ELj64Elld21rocsparse_complex_numIdES2_S2_EEvbT1_lPT2_S5_jNS_24const_host_device_scalarIT6_EEPKS3_PKS4_PKT3_PKT4_S8_PT5_21rocsparse_index_base_b,@function
_ZN9rocsparseL41csrmvn_lrb_medium_rows_warp_reduce_kernelILj256ELj64Elld21rocsparse_complex_numIdES2_S2_EEvbT1_lPT2_S5_jNS_24const_host_device_scalarIT6_EEPKS3_PKS4_PKT3_PKT4_S8_PT5_21rocsparse_index_base_b: ; @_ZN9rocsparseL41csrmvn_lrb_medium_rows_warp_reduce_kernelILj256ELj64Elld21rocsparse_complex_numIdES2_S2_EEvbT1_lPT2_S5_jNS_24const_host_device_scalarIT6_EEPKS3_PKS4_PKT3_PKT4_S8_PT5_21rocsparse_index_base_b
; %bb.0:
	s_clause 0x1
	s_load_b64 s[12:13], s[2:3], 0x78
	s_load_b128 s[4:7], s[2:3], 0x30
	s_load_b64 s[16:17], s[0:1], 0x4
	s_mov_b64 s[0:1], src_shared_base
	v_and_b32_e32 v10, 0x3ff, v0
	s_load_b128 s[8:11], s[2:3], 0x60
	v_bfe_u32 v2, v0, 10, 10
	v_bfe_u32 v0, v0, 20, 10
	s_waitcnt lgkmcnt(0)
	s_bitcmp1_b32 s13, 0
	s_cselect_b32 s0, -1, 0
	s_delay_alu instid0(SALU_CYCLE_1) | instskip(SKIP_4) | instid1(SALU_CYCLE_1)
	s_and_b32 vcc_lo, s0, exec_lo
	s_cselect_b32 s13, s1, s5
	s_lshr_b32 s14, s16, 16
	v_mov_b32_e32 v6, s13
	s_mul_i32 s14, s14, s17
	v_mul_lo_u32 v1, s14, v10
	s_delay_alu instid0(VALU_DEP_1) | instskip(SKIP_1) | instid1(VALU_DEP_2)
	v_mad_u32_u24 v1, v2, s17, v1
	v_dual_mov_b32 v2, s8 :: v_dual_mov_b32 v3, s9
	v_add_lshl_u32 v4, v1, v0, 3
	v_dual_mov_b32 v0, s4 :: v_dual_mov_b32 v1, s5
	s_delay_alu instid0(VALU_DEP_2)
	v_add_nc_u32_e32 v5, 0x800, v4
	ds_store_2addr_stride64_b64 v4, v[2:3], v[0:1] offset1:4
	v_dual_mov_b32 v2, s6 :: v_dual_mov_b32 v3, s7
	v_cndmask_b32_e64 v5, s4, v5, s0
	s_xor_b32 s6, s0, -1
	flat_load_b64 v[0:1], v[5:6]
	s_cbranch_vccnz .LBB203_2
; %bb.1:
	v_dual_mov_b32 v2, s4 :: v_dual_mov_b32 v3, s5
	flat_load_b64 v[2:3], v[2:3] offset:8
.LBB203_2:
	s_and_b32 s4, s0, exec_lo
	s_cselect_b32 s1, s1, s9
	v_cndmask_b32_e64 v4, s8, v4, s0
	v_dual_mov_b32 v5, s1 :: v_dual_mov_b32 v6, s10
	v_mov_b32_e32 v7, s11
	s_and_not1_b32 vcc_lo, exec_lo, s6
	flat_load_b64 v[4:5], v[4:5]
	s_cbranch_vccnz .LBB203_4
; %bb.3:
	v_dual_mov_b32 v6, s8 :: v_dual_mov_b32 v7, s9
	flat_load_b64 v[6:7], v[6:7] offset:8
.LBB203_4:
	s_waitcnt vmcnt(1) lgkmcnt(1)
	v_cmp_eq_f64_e32 vcc_lo, 0, v[0:1]
	v_cmp_eq_f64_e64 s0, 0, v[2:3]
	s_delay_alu instid0(VALU_DEP_1)
	s_and_b32 s4, vcc_lo, s0
	s_mov_b32 s0, -1
	s_and_saveexec_b32 s1, s4
	s_cbranch_execz .LBB203_6
; %bb.5:
	s_waitcnt vmcnt(0) lgkmcnt(0)
	v_cmp_neq_f64_e32 vcc_lo, 1.0, v[4:5]
	v_cmp_neq_f64_e64 s0, 0, v[6:7]
	s_delay_alu instid0(VALU_DEP_1) | instskip(NEXT) | instid1(SALU_CYCLE_1)
	s_or_b32 s0, vcc_lo, s0
	s_or_not1_b32 s0, s0, exec_lo
.LBB203_6:
	s_or_b32 exec_lo, exec_lo, s1
	s_and_saveexec_b32 s1, s0
	s_cbranch_execz .LBB203_16
; %bb.7:
	s_load_b64 s[0:1], s[2:3], 0x10
	v_lshrrev_b32_e32 v8, 6, v10
	s_delay_alu instid0(VALU_DEP_1) | instskip(NEXT) | instid1(VALU_DEP_1)
	v_lshl_or_b32 v8, s15, 2, v8
	v_ashrrev_i32_e32 v9, 31, v8
	s_waitcnt lgkmcnt(0)
	s_delay_alu instid0(VALU_DEP_1)
	v_cmp_gt_i64_e32 vcc_lo, s[0:1], v[8:9]
	s_and_b32 exec_lo, exec_lo, vcc_lo
	s_cbranch_execz .LBB203_16
; %bb.8:
	s_clause 0x1
	s_load_b32 s0, s[2:3], 0x28
	s_load_b128 s[4:7], s[2:3], 0x18
	s_mov_b32 s1, 0
	v_lshlrev_b64 v[8:9], 3, v[8:9]
	v_and_b32_e32 v26, 63, v10
	s_waitcnt lgkmcnt(0)
	s_lshl_b64 s[8:9], s[0:1], 3
	s_delay_alu instid0(SALU_CYCLE_1) | instskip(SKIP_4) | instid1(SALU_CYCLE_1)
	s_add_u32 s6, s6, s8
	s_addc_u32 s7, s7, s9
	s_load_b64 s[6:7], s[6:7], 0x0
	s_waitcnt lgkmcnt(0)
	s_lshl_b64 s[6:7], s[6:7], 3
	s_add_u32 s0, s4, s6
	s_addc_u32 s4, s5, s7
	v_add_co_u32 v8, vcc_lo, s0, v8
	v_add_co_ci_u32_e32 v9, vcc_lo, s4, v9, vcc_lo
	s_load_b64 s[4:5], s[2:3], 0x40
	v_sub_co_u32 v10, s0, v26, s12
	global_load_b64 v[8:9], v[8:9], off
	s_mov_b32 s6, exec_lo
	s_waitcnt vmcnt(0)
	v_lshlrev_b64 v[11:12], 3, v[8:9]
	s_waitcnt lgkmcnt(0)
	s_delay_alu instid0(VALU_DEP_1) | instskip(NEXT) | instid1(VALU_DEP_2)
	v_add_co_u32 v11, vcc_lo, s4, v11
	v_add_co_ci_u32_e32 v12, vcc_lo, s5, v12, vcc_lo
	s_load_b64 s[4:5], s[2:3], 0x70
	global_load_b128 v[12:15], v[11:12], off
	v_sub_co_ci_u32_e64 v11, null, 0, 0, s0
	s_waitcnt vmcnt(0)
	v_sub_co_u32 v14, vcc_lo, v14, s12
	v_subrev_co_ci_u32_e32 v15, vcc_lo, 0, v15, vcc_lo
	v_add_co_u32 v16, vcc_lo, v12, v10
	v_add_co_ci_u32_e32 v17, vcc_lo, v13, v11, vcc_lo
	v_mov_b32_e32 v10, 0
	v_mov_b32_e32 v11, 0
	s_delay_alu instid0(VALU_DEP_1) | instskip(NEXT) | instid1(VALU_DEP_4)
	v_dual_mov_b32 v13, v11 :: v_dual_mov_b32 v12, v10
	v_cmpx_lt_i64_e64 v[16:17], v[14:15]
	s_cbranch_execz .LBB203_12
; %bb.9:
	v_mul_f64 v[18:19], 0x80000000, v[2:3]
	v_mul_f64 v[20:21], v[0:1], 0
	s_clause 0x1
	s_load_b128 s[8:11], s[2:3], 0x48
	s_load_b64 s[2:3], s[2:3], 0x58
	v_lshlrev_b64 v[12:13], 3, v[16:17]
	v_mov_b32_e32 v10, 0
	v_mov_b32_e32 v11, 0
	s_waitcnt lgkmcnt(0)
	s_delay_alu instid0(VALU_DEP_3) | instskip(NEXT) | instid1(VALU_DEP_4)
	v_add_co_u32 v22, vcc_lo, s10, v12
	v_add_co_ci_u32_e32 v23, vcc_lo, s11, v13, vcc_lo
	v_add_co_u32 v24, vcc_lo, s8, v12
	v_add_co_ci_u32_e32 v25, vcc_lo, s9, v13, vcc_lo
	v_dual_mov_b32 v13, v11 :: v_dual_mov_b32 v12, v10
	s_set_inst_prefetch_distance 0x1
	.p2align	6
.LBB203_10:                             ; =>This Inner Loop Header: Depth=1
	global_load_b64 v[27:28], v[24:25], off
	global_load_b64 v[31:32], v[22:23], off
	v_add_co_u32 v24, s0, 0x200, v24
	s_delay_alu instid0(VALU_DEP_1)
	v_add_co_ci_u32_e64 v25, s0, 0, v25, s0
	s_waitcnt vmcnt(1)
	v_sub_co_u32 v27, vcc_lo, v27, s12
	v_subrev_co_ci_u32_e32 v28, vcc_lo, 0, v28, vcc_lo
	s_waitcnt vmcnt(0)
	v_fma_f64 v[33:34], v[0:1], v[31:32], v[18:19]
	v_fma_f64 v[31:32], v[2:3], v[31:32], v[20:21]
	s_delay_alu instid0(VALU_DEP_3) | instskip(NEXT) | instid1(VALU_DEP_1)
	v_lshlrev_b64 v[27:28], 4, v[27:28]
	v_add_co_u32 v27, vcc_lo, s2, v27
	s_delay_alu instid0(VALU_DEP_2)
	v_add_co_ci_u32_e32 v28, vcc_lo, s3, v28, vcc_lo
	v_add_co_u32 v16, vcc_lo, v16, 64
	v_add_co_ci_u32_e32 v17, vcc_lo, 0, v17, vcc_lo
	global_load_b128 v[27:30], v[27:28], off
	v_add_co_u32 v22, vcc_lo, 0x200, v22
	v_add_co_ci_u32_e32 v23, vcc_lo, 0, v23, vcc_lo
	v_cmp_ge_i64_e32 vcc_lo, v[16:17], v[14:15]
	s_or_b32 s1, vcc_lo, s1
	s_waitcnt vmcnt(0)
	v_fma_f64 v[12:13], v[33:34], v[27:28], v[12:13]
	v_fma_f64 v[10:11], v[31:32], v[27:28], v[10:11]
	s_delay_alu instid0(VALU_DEP_2) | instskip(NEXT) | instid1(VALU_DEP_2)
	v_fma_f64 v[12:13], -v[31:32], v[29:30], v[12:13]
	v_fma_f64 v[10:11], v[33:34], v[29:30], v[10:11]
	s_and_not1_b32 exec_lo, exec_lo, s1
	s_cbranch_execnz .LBB203_10
; %bb.11:
	s_set_inst_prefetch_distance 0x2
	s_or_b32 exec_lo, exec_lo, s1
.LBB203_12:
	s_delay_alu instid0(SALU_CYCLE_1) | instskip(SKIP_1) | instid1(VALU_DEP_1)
	s_or_b32 exec_lo, exec_lo, s6
	v_mbcnt_lo_u32_b32 v14, -1, 0
	v_or_b32_e32 v0, 32, v14
	s_delay_alu instid0(VALU_DEP_1) | instskip(SKIP_1) | instid1(VALU_DEP_1)
	v_cmp_gt_i32_e32 vcc_lo, 32, v0
	v_cndmask_b32_e32 v0, v14, v0, vcc_lo
	v_lshlrev_b32_e32 v3, 2, v0
	ds_bpermute_b32 v0, v3, v12
	ds_bpermute_b32 v1, v3, v13
	;; [unrolled: 1-line block ×4, first 2 shown]
	s_waitcnt lgkmcnt(0)
	v_add_f64 v[0:1], v[12:13], v[0:1]
	v_add_f64 v[2:3], v[10:11], v[2:3]
	v_xor_b32_e32 v10, 16, v14
	s_delay_alu instid0(VALU_DEP_1) | instskip(SKIP_1) | instid1(VALU_DEP_1)
	v_cmp_gt_i32_e32 vcc_lo, 32, v10
	v_cndmask_b32_e32 v10, v14, v10, vcc_lo
	v_lshlrev_b32_e32 v13, 2, v10
	ds_bpermute_b32 v10, v13, v0
	ds_bpermute_b32 v11, v13, v1
	ds_bpermute_b32 v12, v13, v2
	ds_bpermute_b32 v13, v13, v3
	s_waitcnt lgkmcnt(2)
	v_add_f64 v[0:1], v[0:1], v[10:11]
	v_xor_b32_e32 v10, 8, v14
	s_waitcnt lgkmcnt(0)
	v_add_f64 v[2:3], v[2:3], v[12:13]
	s_delay_alu instid0(VALU_DEP_2) | instskip(SKIP_1) | instid1(VALU_DEP_1)
	v_cmp_gt_i32_e32 vcc_lo, 32, v10
	v_cndmask_b32_e32 v10, v14, v10, vcc_lo
	v_lshlrev_b32_e32 v13, 2, v10
	ds_bpermute_b32 v10, v13, v0
	ds_bpermute_b32 v11, v13, v1
	ds_bpermute_b32 v12, v13, v2
	ds_bpermute_b32 v13, v13, v3
	s_waitcnt lgkmcnt(2)
	v_add_f64 v[0:1], v[0:1], v[10:11]
	v_xor_b32_e32 v10, 4, v14
	s_waitcnt lgkmcnt(0)
	v_add_f64 v[2:3], v[2:3], v[12:13]
	s_delay_alu instid0(VALU_DEP_2) | instskip(SKIP_1) | instid1(VALU_DEP_1)
	;; [unrolled: 13-line block ×3, first 2 shown]
	v_cmp_gt_i32_e32 vcc_lo, 32, v10
	v_cndmask_b32_e32 v10, v14, v10, vcc_lo
	v_lshlrev_b32_e32 v13, 2, v10
	ds_bpermute_b32 v10, v13, v0
	ds_bpermute_b32 v11, v13, v1
	;; [unrolled: 1-line block ×4, first 2 shown]
	s_waitcnt lgkmcnt(2)
	v_add_f64 v[0:1], v[0:1], v[10:11]
	v_xor_b32_e32 v10, 1, v14
	s_waitcnt lgkmcnt(0)
	v_add_f64 v[2:3], v[2:3], v[12:13]
	s_delay_alu instid0(VALU_DEP_2) | instskip(SKIP_2) | instid1(VALU_DEP_2)
	v_cmp_gt_i32_e32 vcc_lo, 32, v10
	v_cndmask_b32_e32 v10, v14, v10, vcc_lo
	v_cmp_eq_u32_e32 vcc_lo, 63, v26
	v_lshlrev_b32_e32 v13, 2, v10
	ds_bpermute_b32 v10, v13, v0
	ds_bpermute_b32 v11, v13, v1
	;; [unrolled: 1-line block ×4, first 2 shown]
	s_and_b32 exec_lo, exec_lo, vcc_lo
	s_cbranch_execz .LBB203_16
; %bb.13:
	v_cmp_neq_f64_e32 vcc_lo, 0, v[4:5]
	v_cmp_neq_f64_e64 s0, 0, v[6:7]
	s_waitcnt lgkmcnt(2)
	v_add_f64 v[0:1], v[0:1], v[10:11]
	s_waitcnt lgkmcnt(0)
	v_add_f64 v[2:3], v[2:3], v[12:13]
	v_lshlrev_b64 v[8:9], 4, v[8:9]
	s_delay_alu instid0(VALU_DEP_4) | instskip(NEXT) | instid1(SALU_CYCLE_1)
	s_or_b32 s1, vcc_lo, s0
	s_and_saveexec_b32 s0, s1
	s_cbranch_execz .LBB203_15
; %bb.14:
	s_delay_alu instid0(VALU_DEP_1) | instskip(NEXT) | instid1(VALU_DEP_2)
	v_add_co_u32 v10, vcc_lo, s4, v8
	v_add_co_ci_u32_e32 v11, vcc_lo, s5, v9, vcc_lo
	global_load_b128 v[10:13], v[10:11], off
	s_waitcnt vmcnt(0)
	v_fma_f64 v[0:1], v[4:5], v[10:11], v[0:1]
	v_fma_f64 v[2:3], v[6:7], v[10:11], v[2:3]
	s_delay_alu instid0(VALU_DEP_2) | instskip(NEXT) | instid1(VALU_DEP_2)
	v_fma_f64 v[0:1], -v[6:7], v[12:13], v[0:1]
	v_fma_f64 v[2:3], v[4:5], v[12:13], v[2:3]
.LBB203_15:
	s_or_b32 exec_lo, exec_lo, s0
	s_delay_alu instid0(VALU_DEP_1)
	v_add_co_u32 v4, vcc_lo, s4, v8
	v_add_co_ci_u32_e32 v5, vcc_lo, s5, v9, vcc_lo
	global_store_b128 v[4:5], v[0:3], off
.LBB203_16:
	s_nop 0
	s_sendmsg sendmsg(MSG_DEALLOC_VGPRS)
	s_endpgm
	.section	.rodata,"a",@progbits
	.p2align	6, 0x0
	.amdhsa_kernel _ZN9rocsparseL41csrmvn_lrb_medium_rows_warp_reduce_kernelILj256ELj64Elld21rocsparse_complex_numIdES2_S2_EEvbT1_lPT2_S5_jNS_24const_host_device_scalarIT6_EEPKS3_PKS4_PKT3_PKT4_S8_PT5_21rocsparse_index_base_b
		.amdhsa_group_segment_fixed_size 4096
		.amdhsa_private_segment_fixed_size 0
		.amdhsa_kernarg_size 128
		.amdhsa_user_sgpr_count 15
		.amdhsa_user_sgpr_dispatch_ptr 1
		.amdhsa_user_sgpr_queue_ptr 0
		.amdhsa_user_sgpr_kernarg_segment_ptr 1
		.amdhsa_user_sgpr_dispatch_id 0
		.amdhsa_user_sgpr_private_segment_size 0
		.amdhsa_wavefront_size32 1
		.amdhsa_uses_dynamic_stack 0
		.amdhsa_enable_private_segment 0
		.amdhsa_system_sgpr_workgroup_id_x 1
		.amdhsa_system_sgpr_workgroup_id_y 0
		.amdhsa_system_sgpr_workgroup_id_z 0
		.amdhsa_system_sgpr_workgroup_info 0
		.amdhsa_system_vgpr_workitem_id 2
		.amdhsa_next_free_vgpr 35
		.amdhsa_next_free_sgpr 18
		.amdhsa_reserve_vcc 1
		.amdhsa_float_round_mode_32 0
		.amdhsa_float_round_mode_16_64 0
		.amdhsa_float_denorm_mode_32 3
		.amdhsa_float_denorm_mode_16_64 3
		.amdhsa_dx10_clamp 1
		.amdhsa_ieee_mode 1
		.amdhsa_fp16_overflow 0
		.amdhsa_workgroup_processor_mode 1
		.amdhsa_memory_ordered 1
		.amdhsa_forward_progress 0
		.amdhsa_shared_vgpr_count 0
		.amdhsa_exception_fp_ieee_invalid_op 0
		.amdhsa_exception_fp_denorm_src 0
		.amdhsa_exception_fp_ieee_div_zero 0
		.amdhsa_exception_fp_ieee_overflow 0
		.amdhsa_exception_fp_ieee_underflow 0
		.amdhsa_exception_fp_ieee_inexact 0
		.amdhsa_exception_int_div_zero 0
	.end_amdhsa_kernel
	.section	.text._ZN9rocsparseL41csrmvn_lrb_medium_rows_warp_reduce_kernelILj256ELj64Elld21rocsparse_complex_numIdES2_S2_EEvbT1_lPT2_S5_jNS_24const_host_device_scalarIT6_EEPKS3_PKS4_PKT3_PKT4_S8_PT5_21rocsparse_index_base_b,"axG",@progbits,_ZN9rocsparseL41csrmvn_lrb_medium_rows_warp_reduce_kernelILj256ELj64Elld21rocsparse_complex_numIdES2_S2_EEvbT1_lPT2_S5_jNS_24const_host_device_scalarIT6_EEPKS3_PKS4_PKT3_PKT4_S8_PT5_21rocsparse_index_base_b,comdat
.Lfunc_end203:
	.size	_ZN9rocsparseL41csrmvn_lrb_medium_rows_warp_reduce_kernelILj256ELj64Elld21rocsparse_complex_numIdES2_S2_EEvbT1_lPT2_S5_jNS_24const_host_device_scalarIT6_EEPKS3_PKS4_PKT3_PKT4_S8_PT5_21rocsparse_index_base_b, .Lfunc_end203-_ZN9rocsparseL41csrmvn_lrb_medium_rows_warp_reduce_kernelILj256ELj64Elld21rocsparse_complex_numIdES2_S2_EEvbT1_lPT2_S5_jNS_24const_host_device_scalarIT6_EEPKS3_PKS4_PKT3_PKT4_S8_PT5_21rocsparse_index_base_b
                                        ; -- End function
	.section	.AMDGPU.csdata,"",@progbits
; Kernel info:
; codeLenInByte = 1556
; NumSgprs: 20
; NumVgprs: 35
; ScratchSize: 0
; MemoryBound: 0
; FloatMode: 240
; IeeeMode: 1
; LDSByteSize: 4096 bytes/workgroup (compile time only)
; SGPRBlocks: 2
; VGPRBlocks: 4
; NumSGPRsForWavesPerEU: 20
; NumVGPRsForWavesPerEU: 35
; Occupancy: 16
; WaveLimiterHint : 1
; COMPUTE_PGM_RSRC2:SCRATCH_EN: 0
; COMPUTE_PGM_RSRC2:USER_SGPR: 15
; COMPUTE_PGM_RSRC2:TRAP_HANDLER: 0
; COMPUTE_PGM_RSRC2:TGID_X_EN: 1
; COMPUTE_PGM_RSRC2:TGID_Y_EN: 0
; COMPUTE_PGM_RSRC2:TGID_Z_EN: 0
; COMPUTE_PGM_RSRC2:TIDIG_COMP_CNT: 2
	.section	.text._ZN9rocsparseL29csrmvn_lrb_medium_rows_kernelILj256Elld21rocsparse_complex_numIdES2_S2_EEvbT0_PT1_S5_jNS_24const_host_device_scalarIT5_EEPKS3_PKS4_PKT2_PKT3_S8_PT4_21rocsparse_index_base_b,"axG",@progbits,_ZN9rocsparseL29csrmvn_lrb_medium_rows_kernelILj256Elld21rocsparse_complex_numIdES2_S2_EEvbT0_PT1_S5_jNS_24const_host_device_scalarIT5_EEPKS3_PKS4_PKT2_PKT3_S8_PT4_21rocsparse_index_base_b,comdat
	.globl	_ZN9rocsparseL29csrmvn_lrb_medium_rows_kernelILj256Elld21rocsparse_complex_numIdES2_S2_EEvbT0_PT1_S5_jNS_24const_host_device_scalarIT5_EEPKS3_PKS4_PKT2_PKT3_S8_PT4_21rocsparse_index_base_b ; -- Begin function _ZN9rocsparseL29csrmvn_lrb_medium_rows_kernelILj256Elld21rocsparse_complex_numIdES2_S2_EEvbT0_PT1_S5_jNS_24const_host_device_scalarIT5_EEPKS3_PKS4_PKT2_PKT3_S8_PT4_21rocsparse_index_base_b
	.p2align	8
	.type	_ZN9rocsparseL29csrmvn_lrb_medium_rows_kernelILj256Elld21rocsparse_complex_numIdES2_S2_EEvbT0_PT1_S5_jNS_24const_host_device_scalarIT5_EEPKS3_PKS4_PKT2_PKT3_S8_PT4_21rocsparse_index_base_b,@function
_ZN9rocsparseL29csrmvn_lrb_medium_rows_kernelILj256Elld21rocsparse_complex_numIdES2_S2_EEvbT0_PT1_S5_jNS_24const_host_device_scalarIT5_EEPKS3_PKS4_PKT2_PKT3_S8_PT4_21rocsparse_index_base_b: ; @_ZN9rocsparseL29csrmvn_lrb_medium_rows_kernelILj256Elld21rocsparse_complex_numIdES2_S2_EEvbT0_PT1_S5_jNS_24const_host_device_scalarIT5_EEPKS3_PKS4_PKT2_PKT3_S8_PT4_21rocsparse_index_base_b
; %bb.0:
	s_clause 0x1
	s_load_b64 s[12:13], s[2:3], 0x70
	s_load_b128 s[4:7], s[2:3], 0x28
	s_load_b64 s[16:17], s[0:1], 0x4
	s_mov_b64 s[0:1], src_shared_base
	v_and_b32_e32 v22, 0x3ff, v0
	s_mov_b32 s14, s15
	s_load_b128 s[8:11], s[2:3], 0x58
	v_bfe_u32 v2, v0, 10, 10
	v_bfe_u32 v0, v0, 20, 10
	s_waitcnt lgkmcnt(0)
	s_bitcmp1_b32 s13, 0
	v_mov_b32_e32 v11, s7
	s_cselect_b32 s0, -1, 0
	v_mov_b32_e32 v10, s6
	s_and_b32 vcc_lo, s0, exec_lo
	s_cselect_b32 s13, s1, s5
	s_lshr_b32 s15, s16, 16
	s_xor_b32 s6, s0, -1
	s_mul_i32 s15, s15, s17
	v_mov_b32_e32 v5, s13
	v_mul_lo_u32 v1, s15, v22
	s_delay_alu instid0(VALU_DEP_1) | instskip(SKIP_1) | instid1(VALU_DEP_2)
	v_mad_u32_u24 v1, v2, s17, v1
	v_dual_mov_b32 v2, s8 :: v_dual_mov_b32 v3, s9
	v_add_lshl_u32 v6, v1, v0, 3
	v_dual_mov_b32 v0, s4 :: v_dual_mov_b32 v1, s5
	s_delay_alu instid0(VALU_DEP_2)
	v_add_nc_u32_e32 v4, 0x1800, v6
	ds_store_2addr_stride64_b64 v6, v[2:3], v[0:1] offset0:8 offset1:12
	v_add_nc_u32_e32 v0, 0x1000, v6
	v_cndmask_b32_e64 v4, s4, v4, s0
	flat_load_b64 v[8:9], v[4:5]
	s_cbranch_vccnz .LBB204_2
; %bb.1:
	v_dual_mov_b32 v1, s4 :: v_dual_mov_b32 v2, s5
	flat_load_b64 v[10:11], v[1:2] offset:8
.LBB204_2:
	s_and_b32 s4, s0, exec_lo
	s_cselect_b32 s1, s1, s9
	v_cndmask_b32_e64 v0, s8, v0, s0
	v_dual_mov_b32 v1, s1 :: v_dual_mov_b32 v6, s10
	v_mov_b32_e32 v7, s11
	s_and_not1_b32 vcc_lo, exec_lo, s6
	flat_load_b64 v[4:5], v[0:1]
	s_cbranch_vccnz .LBB204_4
; %bb.3:
	v_dual_mov_b32 v0, s8 :: v_dual_mov_b32 v1, s9
	flat_load_b64 v[6:7], v[0:1] offset:8
.LBB204_4:
	s_waitcnt vmcnt(1) lgkmcnt(1)
	v_cmp_eq_f64_e32 vcc_lo, 0, v[8:9]
	v_cmp_eq_f64_e64 s0, 0, v[10:11]
	s_delay_alu instid0(VALU_DEP_1)
	s_and_b32 s4, vcc_lo, s0
	s_mov_b32 s0, -1
	s_and_saveexec_b32 s1, s4
	s_cbranch_execz .LBB204_6
; %bb.5:
	s_waitcnt vmcnt(0) lgkmcnt(0)
	v_cmp_neq_f64_e32 vcc_lo, 1.0, v[4:5]
	v_cmp_neq_f64_e64 s0, 0, v[6:7]
	s_delay_alu instid0(VALU_DEP_1) | instskip(NEXT) | instid1(SALU_CYCLE_1)
	s_or_b32 s0, vcc_lo, s0
	s_or_not1_b32 s0, s0, exec_lo
.LBB204_6:
	s_or_b32 exec_lo, exec_lo, s1
	s_and_saveexec_b32 s1, s0
	s_cbranch_execz .LBB204_31
; %bb.7:
	s_clause 0x1
	s_load_b32 s0, s[2:3], 0x20
	s_load_b128 s[4:7], s[2:3], 0x10
	s_mov_b32 s1, 0
	v_mov_b32_e32 v2, 0
	v_mov_b32_e32 v3, 0
	s_waitcnt lgkmcnt(0)
	s_lshl_b64 s[8:9], s[0:1], 3
	s_delay_alu instid0(SALU_CYCLE_1)
	s_add_u32 s6, s6, s8
	s_addc_u32 s7, s7, s9
	s_ashr_i32 s15, s14, 31
	s_load_b64 s[6:7], s[6:7], 0x0
	s_waitcnt lgkmcnt(0)
	s_lshl_b64 s[6:7], s[6:7], 3
	s_delay_alu instid0(SALU_CYCLE_1) | instskip(SKIP_2) | instid1(SALU_CYCLE_1)
	s_add_u32 s0, s4, s6
	s_addc_u32 s6, s5, s7
	s_lshl_b64 s[4:5], s[14:15], 3
	s_add_u32 s4, s0, s4
	s_addc_u32 s5, s6, s5
	s_load_b64 s[4:5], s[4:5], 0x0
	s_load_b64 s[6:7], s[2:3], 0x38
	v_sub_co_u32 v0, s0, v22, s12
	s_delay_alu instid0(VALU_DEP_1) | instskip(SKIP_2) | instid1(SALU_CYCLE_1)
	v_sub_co_ci_u32_e64 v1, null, 0, 0, s0
	s_waitcnt lgkmcnt(0)
	s_lshl_b64 s[8:9], s[4:5], 3
	s_add_u32 s6, s6, s8
	s_addc_u32 s7, s7, s9
	s_load_b128 s[8:11], s[6:7], 0x0
	s_load_b64 s[6:7], s[2:3], 0x68
	s_waitcnt lgkmcnt(0)
	v_add_co_u32 v12, vcc_lo, s8, v0
	v_add_co_ci_u32_e32 v13, vcc_lo, s9, v1, vcc_lo
	v_dual_mov_b32 v0, v2 :: v_dual_mov_b32 v1, v3
	s_sub_u32 s8, s10, s12
	s_subb_u32 s9, s11, 0
	s_mov_b32 s10, exec_lo
	v_cmpx_gt_i64_e64 s[8:9], v[12:13]
	s_cbranch_execz .LBB204_11
; %bb.8:
	v_mul_f64 v[14:15], 0x80000000, v[10:11]
	v_mul_f64 v[16:17], v[8:9], 0
	s_clause 0x1
	s_load_b128 s[16:19], s[2:3], 0x40
	s_load_b64 s[2:3], s[2:3], 0x50
	v_lshlrev_b64 v[0:1], 3, v[12:13]
	v_mov_b32_e32 v2, 0
	v_mov_b32_e32 v3, 0
	s_waitcnt lgkmcnt(0)
	s_delay_alu instid0(VALU_DEP_3) | instskip(NEXT) | instid1(VALU_DEP_4)
	v_add_co_u32 v18, vcc_lo, s18, v0
	v_add_co_ci_u32_e32 v19, vcc_lo, s19, v1, vcc_lo
	v_add_co_u32 v20, vcc_lo, s16, v0
	v_add_co_ci_u32_e32 v21, vcc_lo, s17, v1, vcc_lo
	v_dual_mov_b32 v0, v2 :: v_dual_mov_b32 v1, v3
	s_set_inst_prefetch_distance 0x1
	.p2align	6
.LBB204_9:                              ; =>This Inner Loop Header: Depth=1
	global_load_b64 v[23:24], v[20:21], off
	global_load_b64 v[27:28], v[18:19], off
	v_add_co_u32 v20, s0, 0x800, v20
	s_delay_alu instid0(VALU_DEP_1)
	v_add_co_ci_u32_e64 v21, s0, 0, v21, s0
	s_waitcnt vmcnt(1)
	v_sub_co_u32 v23, vcc_lo, v23, s12
	v_subrev_co_ci_u32_e32 v24, vcc_lo, 0, v24, vcc_lo
	s_waitcnt vmcnt(0)
	v_fma_f64 v[29:30], v[8:9], v[27:28], v[14:15]
	v_fma_f64 v[27:28], v[10:11], v[27:28], v[16:17]
	s_delay_alu instid0(VALU_DEP_3) | instskip(NEXT) | instid1(VALU_DEP_1)
	v_lshlrev_b64 v[23:24], 4, v[23:24]
	v_add_co_u32 v23, vcc_lo, s2, v23
	s_delay_alu instid0(VALU_DEP_2)
	v_add_co_ci_u32_e32 v24, vcc_lo, s3, v24, vcc_lo
	v_add_co_u32 v12, vcc_lo, 0x100, v12
	v_add_co_ci_u32_e32 v13, vcc_lo, 0, v13, vcc_lo
	global_load_b128 v[23:26], v[23:24], off
	v_add_co_u32 v18, vcc_lo, 0x800, v18
	v_add_co_ci_u32_e32 v19, vcc_lo, 0, v19, vcc_lo
	v_cmp_le_i64_e32 vcc_lo, s[8:9], v[12:13]
	s_or_b32 s1, vcc_lo, s1
	s_waitcnt vmcnt(0)
	v_fma_f64 v[0:1], v[29:30], v[23:24], v[0:1]
	v_fma_f64 v[2:3], v[27:28], v[23:24], v[2:3]
	s_delay_alu instid0(VALU_DEP_2) | instskip(NEXT) | instid1(VALU_DEP_2)
	v_fma_f64 v[0:1], -v[27:28], v[25:26], v[0:1]
	v_fma_f64 v[2:3], v[29:30], v[25:26], v[2:3]
	s_and_not1_b32 exec_lo, exec_lo, s1
	s_cbranch_execnz .LBB204_9
; %bb.10:
	s_set_inst_prefetch_distance 0x2
	s_or_b32 exec_lo, exec_lo, s1
.LBB204_11:
	s_delay_alu instid0(SALU_CYCLE_1)
	s_or_b32 exec_lo, exec_lo, s10
	v_lshlrev_b32_e32 v8, 4, v22
	s_mov_b32 s0, exec_lo
	ds_store_b128 v8, v[0:3]
	s_waitcnt vmcnt(0) lgkmcnt(0)
	s_barrier
	buffer_gl0_inv
	v_cmpx_gt_u32_e32 0x80, v22
	s_cbranch_execz .LBB204_13
; %bb.12:
	ds_load_b128 v[0:3], v8 offset:2048
	ds_load_b128 v[9:12], v8
	s_waitcnt lgkmcnt(0)
	v_add_f64 v[0:1], v[0:1], v[9:10]
	v_add_f64 v[2:3], v[2:3], v[11:12]
	ds_store_b128 v8, v[0:3]
.LBB204_13:
	s_or_b32 exec_lo, exec_lo, s0
	s_delay_alu instid0(SALU_CYCLE_1)
	s_mov_b32 s0, exec_lo
	s_waitcnt lgkmcnt(0)
	s_barrier
	buffer_gl0_inv
	v_cmpx_gt_u32_e32 64, v22
	s_cbranch_execz .LBB204_15
; %bb.14:
	ds_load_b128 v[0:3], v8 offset:1024
	ds_load_b128 v[9:12], v8
	s_waitcnt lgkmcnt(0)
	v_add_f64 v[0:1], v[0:1], v[9:10]
	v_add_f64 v[2:3], v[2:3], v[11:12]
	ds_store_b128 v8, v[0:3]
.LBB204_15:
	s_or_b32 exec_lo, exec_lo, s0
	s_delay_alu instid0(SALU_CYCLE_1)
	s_mov_b32 s0, exec_lo
	s_waitcnt lgkmcnt(0)
	;; [unrolled: 16-line block ×6, first 2 shown]
	s_barrier
	buffer_gl0_inv
	v_cmpx_gt_u32_e32 2, v22
	s_cbranch_execz .LBB204_25
; %bb.24:
	ds_load_b128 v[0:3], v8
	ds_load_b128 v[9:12], v8 offset:32
	s_waitcnt lgkmcnt(0)
	v_add_f64 v[0:1], v[9:10], v[0:1]
	v_add_f64 v[2:3], v[11:12], v[2:3]
	ds_store_b128 v8, v[0:3]
.LBB204_25:
	s_or_b32 exec_lo, exec_lo, s0
	v_cmp_eq_u32_e32 vcc_lo, 0, v22
	s_waitcnt lgkmcnt(0)
	s_barrier
	buffer_gl0_inv
	s_and_saveexec_b32 s0, vcc_lo
	s_cbranch_execz .LBB204_27
; %bb.26:
	v_mov_b32_e32 v12, 0
	ds_load_b128 v[0:3], v12
	ds_load_b128 v[8:11], v12 offset:16
	s_waitcnt lgkmcnt(0)
	v_add_f64 v[0:1], v[8:9], v[0:1]
	v_add_f64 v[2:3], v[10:11], v[2:3]
	ds_store_b128 v12, v[0:3]
.LBB204_27:
	s_or_b32 exec_lo, exec_lo, s0
	s_waitcnt lgkmcnt(0)
	s_barrier
	buffer_gl0_inv
	s_and_b32 exec_lo, exec_lo, vcc_lo
	s_cbranch_execz .LBB204_31
; %bb.28:
	v_cmp_neq_f64_e32 vcc_lo, 0, v[4:5]
	v_cmp_neq_f64_e64 s0, 0, v[6:7]
	v_mov_b32_e32 v8, 0
	ds_load_b128 v[0:3], v8
	s_or_b32 s1, vcc_lo, s0
	s_delay_alu instid0(SALU_CYCLE_1)
	s_and_saveexec_b32 s0, s1
	s_cbranch_execz .LBB204_30
; %bb.29:
	s_lshl_b64 s[2:3], s[4:5], 4
	s_delay_alu instid0(SALU_CYCLE_1)
	s_add_u32 s2, s6, s2
	s_addc_u32 s3, s7, s3
	s_load_b128 s[8:11], s[2:3], 0x0
	s_waitcnt lgkmcnt(0)
	v_fma_f64 v[0:1], v[4:5], s[8:9], v[0:1]
	v_fma_f64 v[2:3], v[6:7], s[8:9], v[2:3]
	s_delay_alu instid0(VALU_DEP_2) | instskip(NEXT) | instid1(VALU_DEP_2)
	v_fma_f64 v[0:1], -v[6:7], s[10:11], v[0:1]
	v_fma_f64 v[2:3], v[4:5], s[10:11], v[2:3]
.LBB204_30:
	s_or_b32 exec_lo, exec_lo, s0
	s_lshl_b64 s[0:1], s[4:5], 4
	s_delay_alu instid0(SALU_CYCLE_1)
	s_add_u32 s0, s6, s0
	s_addc_u32 s1, s7, s1
	s_waitcnt lgkmcnt(0)
	global_store_b128 v8, v[0:3], s[0:1]
.LBB204_31:
	s_nop 0
	s_sendmsg sendmsg(MSG_DEALLOC_VGPRS)
	s_endpgm
	.section	.rodata,"a",@progbits
	.p2align	6, 0x0
	.amdhsa_kernel _ZN9rocsparseL29csrmvn_lrb_medium_rows_kernelILj256Elld21rocsparse_complex_numIdES2_S2_EEvbT0_PT1_S5_jNS_24const_host_device_scalarIT5_EEPKS3_PKS4_PKT2_PKT3_S8_PT4_21rocsparse_index_base_b
		.amdhsa_group_segment_fixed_size 8192
		.amdhsa_private_segment_fixed_size 0
		.amdhsa_kernarg_size 120
		.amdhsa_user_sgpr_count 15
		.amdhsa_user_sgpr_dispatch_ptr 1
		.amdhsa_user_sgpr_queue_ptr 0
		.amdhsa_user_sgpr_kernarg_segment_ptr 1
		.amdhsa_user_sgpr_dispatch_id 0
		.amdhsa_user_sgpr_private_segment_size 0
		.amdhsa_wavefront_size32 1
		.amdhsa_uses_dynamic_stack 0
		.amdhsa_enable_private_segment 0
		.amdhsa_system_sgpr_workgroup_id_x 1
		.amdhsa_system_sgpr_workgroup_id_y 0
		.amdhsa_system_sgpr_workgroup_id_z 0
		.amdhsa_system_sgpr_workgroup_info 0
		.amdhsa_system_vgpr_workitem_id 2
		.amdhsa_next_free_vgpr 31
		.amdhsa_next_free_sgpr 20
		.amdhsa_reserve_vcc 1
		.amdhsa_float_round_mode_32 0
		.amdhsa_float_round_mode_16_64 0
		.amdhsa_float_denorm_mode_32 3
		.amdhsa_float_denorm_mode_16_64 3
		.amdhsa_dx10_clamp 1
		.amdhsa_ieee_mode 1
		.amdhsa_fp16_overflow 0
		.amdhsa_workgroup_processor_mode 1
		.amdhsa_memory_ordered 1
		.amdhsa_forward_progress 0
		.amdhsa_shared_vgpr_count 0
		.amdhsa_exception_fp_ieee_invalid_op 0
		.amdhsa_exception_fp_denorm_src 0
		.amdhsa_exception_fp_ieee_div_zero 0
		.amdhsa_exception_fp_ieee_overflow 0
		.amdhsa_exception_fp_ieee_underflow 0
		.amdhsa_exception_fp_ieee_inexact 0
		.amdhsa_exception_int_div_zero 0
	.end_amdhsa_kernel
	.section	.text._ZN9rocsparseL29csrmvn_lrb_medium_rows_kernelILj256Elld21rocsparse_complex_numIdES2_S2_EEvbT0_PT1_S5_jNS_24const_host_device_scalarIT5_EEPKS3_PKS4_PKT2_PKT3_S8_PT4_21rocsparse_index_base_b,"axG",@progbits,_ZN9rocsparseL29csrmvn_lrb_medium_rows_kernelILj256Elld21rocsparse_complex_numIdES2_S2_EEvbT0_PT1_S5_jNS_24const_host_device_scalarIT5_EEPKS3_PKS4_PKT2_PKT3_S8_PT4_21rocsparse_index_base_b,comdat
.Lfunc_end204:
	.size	_ZN9rocsparseL29csrmvn_lrb_medium_rows_kernelILj256Elld21rocsparse_complex_numIdES2_S2_EEvbT0_PT1_S5_jNS_24const_host_device_scalarIT5_EEPKS3_PKS4_PKT2_PKT3_S8_PT4_21rocsparse_index_base_b, .Lfunc_end204-_ZN9rocsparseL29csrmvn_lrb_medium_rows_kernelILj256Elld21rocsparse_complex_numIdES2_S2_EEvbT0_PT1_S5_jNS_24const_host_device_scalarIT5_EEPKS3_PKS4_PKT2_PKT3_S8_PT4_21rocsparse_index_base_b
                                        ; -- End function
	.section	.AMDGPU.csdata,"",@progbits
; Kernel info:
; codeLenInByte = 1708
; NumSgprs: 22
; NumVgprs: 31
; ScratchSize: 0
; MemoryBound: 0
; FloatMode: 240
; IeeeMode: 1
; LDSByteSize: 8192 bytes/workgroup (compile time only)
; SGPRBlocks: 2
; VGPRBlocks: 3
; NumSGPRsForWavesPerEU: 22
; NumVGPRsForWavesPerEU: 31
; Occupancy: 16
; WaveLimiterHint : 1
; COMPUTE_PGM_RSRC2:SCRATCH_EN: 0
; COMPUTE_PGM_RSRC2:USER_SGPR: 15
; COMPUTE_PGM_RSRC2:TRAP_HANDLER: 0
; COMPUTE_PGM_RSRC2:TGID_X_EN: 1
; COMPUTE_PGM_RSRC2:TGID_Y_EN: 0
; COMPUTE_PGM_RSRC2:TGID_Z_EN: 0
; COMPUTE_PGM_RSRC2:TIDIG_COMP_CNT: 2
	.section	.text._ZN9rocsparseL27csrmvn_lrb_long_rows_kernelIlld21rocsparse_complex_numIdES2_S2_EEvbT_PjPT0_S6_jNS_24const_host_device_scalarIT4_EEPKS3_PKS5_PKT1_PKT2_S9_PT3_21rocsparse_index_base_b,"axG",@progbits,_ZN9rocsparseL27csrmvn_lrb_long_rows_kernelIlld21rocsparse_complex_numIdES2_S2_EEvbT_PjPT0_S6_jNS_24const_host_device_scalarIT4_EEPKS3_PKS5_PKT1_PKT2_S9_PT3_21rocsparse_index_base_b,comdat
	.globl	_ZN9rocsparseL27csrmvn_lrb_long_rows_kernelIlld21rocsparse_complex_numIdES2_S2_EEvbT_PjPT0_S6_jNS_24const_host_device_scalarIT4_EEPKS3_PKS5_PKT1_PKT2_S9_PT3_21rocsparse_index_base_b ; -- Begin function _ZN9rocsparseL27csrmvn_lrb_long_rows_kernelIlld21rocsparse_complex_numIdES2_S2_EEvbT_PjPT0_S6_jNS_24const_host_device_scalarIT4_EEPKS3_PKS5_PKT1_PKT2_S9_PT3_21rocsparse_index_base_b
	.p2align	8
	.type	_ZN9rocsparseL27csrmvn_lrb_long_rows_kernelIlld21rocsparse_complex_numIdES2_S2_EEvbT_PjPT0_S6_jNS_24const_host_device_scalarIT4_EEPKS3_PKS5_PKT1_PKT2_S9_PT3_21rocsparse_index_base_b,@function
_ZN9rocsparseL27csrmvn_lrb_long_rows_kernelIlld21rocsparse_complex_numIdES2_S2_EEvbT_PjPT0_S6_jNS_24const_host_device_scalarIT4_EEPKS3_PKS5_PKT1_PKT2_S9_PT3_21rocsparse_index_base_b: ; @_ZN9rocsparseL27csrmvn_lrb_long_rows_kernelIlld21rocsparse_complex_numIdES2_S2_EEvbT_PjPT0_S6_jNS_24const_host_device_scalarIT4_EEPKS3_PKS5_PKT1_PKT2_S9_PT3_21rocsparse_index_base_b
; %bb.0:
	s_mov_b32 s12, s15
	s_clause 0x1
	s_load_b64 s[22:23], s[2:3], 0x78
	s_load_b128 s[4:7], s[2:3], 0x30
	s_load_b64 s[14:15], s[0:1], 0x4
	s_mov_b64 s[0:1], src_shared_base
	v_and_b32_e32 v18, 0x3ff, v0
	s_load_b128 s[8:11], s[2:3], 0x60
	v_bfe_u32 v2, v0, 10, 10
	v_bfe_u32 v0, v0, 20, 10
	s_waitcnt lgkmcnt(0)
	s_bitcmp1_b32 s23, 0
	s_cselect_b32 s0, -1, 0
	s_delay_alu instid0(SALU_CYCLE_1) | instskip(SKIP_4) | instid1(SALU_CYCLE_1)
	s_and_b32 vcc_lo, s0, exec_lo
	s_cselect_b32 s13, s1, s5
	s_lshr_b32 s14, s14, 16
	v_mov_b32_e32 v5, s13
	s_mul_i32 s14, s14, s15
	v_mul_lo_u32 v1, s14, v18
	s_delay_alu instid0(VALU_DEP_1) | instskip(SKIP_1) | instid1(VALU_DEP_2)
	v_mad_u32_u24 v1, v2, s15, v1
	v_dual_mov_b32 v2, s8 :: v_dual_mov_b32 v3, s9
	v_add_lshl_u32 v6, v1, v0, 3
	v_dual_mov_b32 v0, s4 :: v_dual_mov_b32 v1, s5
	s_delay_alu instid0(VALU_DEP_2)
	v_add_nc_u32_e32 v4, 0x1800, v6
	ds_store_2addr_stride64_b64 v6, v[2:3], v[0:1] offset0:8 offset1:12
	v_add_nc_u32_e32 v0, 0x1000, v6
	v_mov_b32_e32 v6, s6
	v_cndmask_b32_e64 v4, s4, v4, s0
	v_mov_b32_e32 v7, s7
	s_xor_b32 s6, s0, -1
	flat_load_b64 v[4:5], v[4:5]
	s_cbranch_vccnz .LBB205_2
; %bb.1:
	v_dual_mov_b32 v1, s4 :: v_dual_mov_b32 v2, s5
	flat_load_b64 v[6:7], v[1:2] offset:8
.LBB205_2:
	s_and_b32 s4, s0, exec_lo
	s_cselect_b32 s1, s1, s9
	v_cndmask_b32_e64 v0, s8, v0, s0
	v_dual_mov_b32 v1, s1 :: v_dual_mov_b32 v8, s10
	v_mov_b32_e32 v9, s11
	s_and_not1_b32 vcc_lo, exec_lo, s6
	flat_load_b64 v[10:11], v[0:1]
	s_cbranch_vccnz .LBB205_4
; %bb.3:
	v_dual_mov_b32 v0, s8 :: v_dual_mov_b32 v1, s9
	flat_load_b64 v[8:9], v[0:1] offset:8
.LBB205_4:
	s_waitcnt vmcnt(1) lgkmcnt(1)
	v_cmp_eq_f64_e32 vcc_lo, 0, v[4:5]
	v_cmp_eq_f64_e64 s0, 0, v[6:7]
	s_delay_alu instid0(VALU_DEP_1)
	s_and_b32 s4, vcc_lo, s0
	s_mov_b32 s0, -1
	s_and_saveexec_b32 s1, s4
	s_cbranch_execz .LBB205_6
; %bb.5:
	s_waitcnt vmcnt(0) lgkmcnt(0)
	v_cmp_neq_f64_e32 vcc_lo, 1.0, v[10:11]
	v_cmp_neq_f64_e64 s0, 0, v[8:9]
	s_delay_alu instid0(VALU_DEP_1) | instskip(NEXT) | instid1(SALU_CYCLE_1)
	s_or_b32 s0, vcc_lo, s0
	s_or_not1_b32 s0, s0, exec_lo
.LBB205_6:
	s_or_b32 exec_lo, exec_lo, s1
	s_and_saveexec_b32 s1, s0
	s_cbranch_execz .LBB205_44
; %bb.7:
	s_clause 0x1
	s_load_b32 s8, s[2:3], 0x28
	s_load_b64 s[0:1], s[2:3], 0x20
	s_mov_b32 s9, 0
	s_load_b64 s[16:17], s[2:3], 0x70
	s_waitcnt lgkmcnt(0)
	s_lshl_b64 s[4:5], s[8:9], 3
	s_delay_alu instid0(SALU_CYCLE_1) | instskip(SKIP_4) | instid1(SALU_CYCLE_1)
	s_add_u32 s0, s0, s4
	s_addc_u32 s1, s1, s5
	s_lshl_b32 s4, -1, s8
	s_load_b64 s[0:1], s[0:1], 0x0
	s_not_b32 s4, s4
	s_mul_hi_u32 s4, s4, 0x2aaaaaab
	s_delay_alu instid0(SALU_CYCLE_1) | instskip(NEXT) | instid1(SALU_CYCLE_1)
	s_lshr_b32 s4, s4, 7
	s_add_i32 s10, s4, 1
	s_not_b32 s4, s4
	v_cvt_f32_u32_e32 v0, s10
	s_delay_alu instid0(VALU_DEP_1) | instskip(SKIP_2) | instid1(VALU_DEP_1)
	v_rcp_iflag_f32_e32 v0, v0
	s_waitcnt_depctr 0xfff
	v_mul_f32_e32 v0, 0x4f7ffffe, v0
	v_cvt_u32_f32_e32 v0, v0
	s_delay_alu instid0(VALU_DEP_1) | instskip(SKIP_2) | instid1(VALU_DEP_3)
	v_readfirstlane_b32 s5, v0
	v_mov_b32_e32 v0, 0
	v_mov_b32_e32 v1, 0
	s_mul_i32 s4, s4, s5
	s_delay_alu instid0(SALU_CYCLE_1) | instskip(NEXT) | instid1(SALU_CYCLE_1)
	s_mul_hi_u32 s4, s5, s4
	s_add_i32 s8, s5, s4
	s_load_b128 s[4:7], s[2:3], 0x10
	s_mul_hi_u32 s8, s12, s8
	s_delay_alu instid0(SALU_CYCLE_1) | instskip(SKIP_2) | instid1(SALU_CYCLE_1)
	s_mul_i32 s11, s8, s10
	s_add_i32 s13, s8, 1
	s_sub_i32 s11, s12, s11
	s_sub_i32 s14, s11, s10
	s_cmp_ge_u32 s11, s10
	s_cselect_b32 s8, s13, s8
	s_cselect_b32 s11, s14, s11
	s_add_i32 s13, s8, 1
	s_cmp_ge_u32 s11, s10
	s_cselect_b32 s8, s13, s8
	s_delay_alu instid0(SALU_CYCLE_1)
	s_mul_i32 s13, s8, s10
	s_waitcnt lgkmcnt(0)
	s_lshl_b64 s[10:11], s[0:1], 3
	s_sub_i32 s1, s12, s13
	s_add_u32 s0, s6, s10
	s_addc_u32 s10, s7, s11
	s_lshl_b64 s[6:7], s[8:9], 3
	v_or_b32_e32 v2, s1, v18
	s_add_u32 s6, s0, s6
	s_addc_u32 s7, s10, s7
	s_load_b64 s[6:7], s[6:7], 0x0
	s_load_b64 s[8:9], s[2:3], 0x40
	v_cmp_eq_u32_e32 vcc_lo, 0, v2
	v_dual_mov_b32 v3, v1 :: v_dual_mov_b32 v2, v0
	s_waitcnt lgkmcnt(0)
	s_lshl_b64 s[10:11], s[6:7], 3
	s_delay_alu instid0(SALU_CYCLE_1)
	s_add_u32 s8, s8, s10
	s_addc_u32 s9, s9, s11
	s_ashr_i32 s13, s12, 31
	s_sub_u32 s20, s12, s1
	s_subb_u32 s21, s13, 0
	s_lshl_b64 s[10:11], s[12:13], 2
	s_delay_alu instid0(SALU_CYCLE_1)
	s_add_u32 s18, s4, s10
	s_addc_u32 s19, s5, s11
	s_load_b128 s[8:11], s[8:9], 0x0
	s_load_b32 s23, s[18:19], 0x0
	s_and_saveexec_b32 s0, vcc_lo
	s_cbranch_execz .LBB205_11
; %bb.8:
	s_waitcnt vmcnt(0)
	v_add_f64 v[0:1], v[10:11], -1.0
	s_lshl_b64 s[12:13], s[6:7], 4
	s_mov_b32 s24, exec_lo
	s_add_u32 s12, s16, s12
	s_addc_u32 s13, s17, s13
	v_mbcnt_lo_u32_b32 v12, s24, 0
	s_load_b128 s[12:15], s[12:13], 0x0
	s_waitcnt vmcnt(0) expcnt(0) lgkmcnt(0)
	v_mul_f64 v[2:3], s[14:15], -v[8:9]
	s_delay_alu instid0(VALU_DEP_3)
	v_mul_f64 v[10:11], v[0:1], s[14:15]
	s_mov_b32 s14, exec_lo
	v_cmpx_eq_u32_e32 0, v12
	s_cbranch_execz .LBB205_10
; %bb.9:
	s_lshl_b64 s[26:27], s[20:21], 2
	s_delay_alu instid0(SALU_CYCLE_1) | instskip(SKIP_2) | instid1(SALU_CYCLE_1)
	s_add_u32 s26, s4, s26
	s_addc_u32 s27, s5, s27
	s_bcnt1_i32_b32 s15, s24
	s_and_b32 s15, s15, 1
	s_delay_alu instid0(SALU_CYCLE_1)
	v_dual_mov_b32 v12, 0 :: v_dual_mov_b32 v13, s15
	global_atomic_xor_b32 v12, v13, s[26:27]
.LBB205_10:
	s_or_b32 exec_lo, exec_lo, s14
	s_delay_alu instid0(VALU_DEP_3) | instskip(NEXT) | instid1(VALU_DEP_3)
	v_fma_f64 v[0:1], v[0:1], s[12:13], v[2:3]
	v_fma_f64 v[2:3], v[8:9], s[12:13], v[10:11]
.LBB205_11:
	s_or_b32 exec_lo, exec_lo, s0
	s_mul_i32 s12, s1, 0x300
	s_waitcnt lgkmcnt(0)
	s_sub_u32 s8, s8, s22
	s_mul_hi_u32 s0, s1, 0x300
	s_subb_u32 s9, s9, 0
	s_add_u32 s12, s8, s12
	s_addc_u32 s0, s9, s0
	s_sub_u32 s8, s10, s22
	s_subb_u32 s9, s11, 0
	s_add_u32 s10, s12, 0x300
	s_addc_u32 s11, s0, 0
	s_waitcnt vmcnt(0)
	v_add_co_u32 v8, s12, s12, v18
	v_cmp_lt_i64_e64 s13, s[10:11], s[8:9]
	v_add_co_ci_u32_e64 v9, null, s0, 0, s12
	s_delay_alu instid0(VALU_DEP_2)
	s_and_b32 s0, s13, exec_lo
	s_cselect_b32 s9, s11, s9
	s_cselect_b32 s8, s10, s8
	s_mov_b32 s10, exec_lo
	v_cmpx_gt_i64_e64 s[8:9], v[8:9]
	s_cbranch_execz .LBB205_15
; %bb.12:
	v_mul_f64 v[10:11], 0x80000000, v[6:7]
	v_mul_f64 v[12:13], v[4:5], 0
	s_clause 0x1
	s_load_b128 s[12:15], s[2:3], 0x48
	s_load_b64 s[2:3], s[2:3], 0x58
	v_lshlrev_b64 v[16:17], 3, v[8:9]
	s_mov_b32 s11, 0
	s_waitcnt lgkmcnt(0)
	s_delay_alu instid0(VALU_DEP_1) | instskip(NEXT) | instid1(VALU_DEP_2)
	v_add_co_u32 v14, vcc_lo, s14, v16
	v_add_co_ci_u32_e32 v15, vcc_lo, s15, v17, vcc_lo
	v_add_co_u32 v16, vcc_lo, s12, v16
	v_add_co_ci_u32_e32 v17, vcc_lo, s13, v17, vcc_lo
	s_set_inst_prefetch_distance 0x1
	.p2align	6
.LBB205_13:                             ; =>This Inner Loop Header: Depth=1
	global_load_b64 v[19:20], v[16:17], off
	global_load_b64 v[23:24], v[14:15], off
	v_add_co_u32 v16, s0, 0x800, v16
	s_delay_alu instid0(VALU_DEP_1)
	v_add_co_ci_u32_e64 v17, s0, 0, v17, s0
	s_waitcnt vmcnt(1)
	v_sub_co_u32 v19, vcc_lo, v19, s22
	v_subrev_co_ci_u32_e32 v20, vcc_lo, 0, v20, vcc_lo
	s_waitcnt vmcnt(0)
	v_fma_f64 v[25:26], v[4:5], v[23:24], v[10:11]
	v_fma_f64 v[23:24], v[6:7], v[23:24], v[12:13]
	s_delay_alu instid0(VALU_DEP_3) | instskip(NEXT) | instid1(VALU_DEP_1)
	v_lshlrev_b64 v[19:20], 4, v[19:20]
	v_add_co_u32 v19, vcc_lo, s2, v19
	s_delay_alu instid0(VALU_DEP_2)
	v_add_co_ci_u32_e32 v20, vcc_lo, s3, v20, vcc_lo
	v_add_co_u32 v8, vcc_lo, 0x100, v8
	v_add_co_ci_u32_e32 v9, vcc_lo, 0, v9, vcc_lo
	global_load_b128 v[19:22], v[19:20], off
	v_add_co_u32 v14, vcc_lo, 0x800, v14
	v_add_co_ci_u32_e32 v15, vcc_lo, 0, v15, vcc_lo
	v_cmp_le_i64_e32 vcc_lo, s[8:9], v[8:9]
	s_or_b32 s11, vcc_lo, s11
	s_waitcnt vmcnt(0)
	v_fma_f64 v[0:1], v[25:26], v[19:20], v[0:1]
	v_fma_f64 v[2:3], v[23:24], v[19:20], v[2:3]
	s_delay_alu instid0(VALU_DEP_2) | instskip(NEXT) | instid1(VALU_DEP_2)
	v_fma_f64 v[0:1], -v[23:24], v[21:22], v[0:1]
	v_fma_f64 v[2:3], v[25:26], v[21:22], v[2:3]
	s_and_not1_b32 exec_lo, exec_lo, s11
	s_cbranch_execnz .LBB205_13
; %bb.14:
	s_set_inst_prefetch_distance 0x2
	s_or_b32 exec_lo, exec_lo, s11
.LBB205_15:
	s_delay_alu instid0(SALU_CYCLE_1)
	s_or_b32 exec_lo, exec_lo, s10
	v_lshlrev_b32_e32 v4, 4, v18
	s_mov_b32 s0, exec_lo
	ds_store_b128 v4, v[0:3]
	s_waitcnt lgkmcnt(0)
	s_waitcnt_vscnt null, 0x0
	s_barrier
	buffer_gl0_inv
	v_cmpx_gt_u32_e32 0x80, v18
	s_cbranch_execz .LBB205_17
; %bb.16:
	ds_load_b128 v[0:3], v4 offset:2048
	ds_load_b128 v[5:8], v4
	s_waitcnt lgkmcnt(0)
	v_add_f64 v[0:1], v[0:1], v[5:6]
	v_add_f64 v[2:3], v[2:3], v[7:8]
	ds_store_b128 v4, v[0:3]
.LBB205_17:
	s_or_b32 exec_lo, exec_lo, s0
	s_delay_alu instid0(SALU_CYCLE_1)
	s_mov_b32 s0, exec_lo
	s_waitcnt lgkmcnt(0)
	s_barrier
	buffer_gl0_inv
	v_cmpx_gt_u32_e32 64, v18
	s_cbranch_execz .LBB205_19
; %bb.18:
	ds_load_b128 v[0:3], v4 offset:1024
	ds_load_b128 v[5:8], v4
	s_waitcnt lgkmcnt(0)
	v_add_f64 v[0:1], v[0:1], v[5:6]
	v_add_f64 v[2:3], v[2:3], v[7:8]
	ds_store_b128 v4, v[0:3]
.LBB205_19:
	s_or_b32 exec_lo, exec_lo, s0
	s_delay_alu instid0(SALU_CYCLE_1)
	s_mov_b32 s0, exec_lo
	s_waitcnt lgkmcnt(0)
	;; [unrolled: 16-line block ×6, first 2 shown]
	s_barrier
	buffer_gl0_inv
	v_cmpx_gt_u32_e32 2, v18
	s_cbranch_execz .LBB205_29
; %bb.28:
	ds_load_b128 v[0:3], v4
	ds_load_b128 v[5:8], v4 offset:32
	s_waitcnt lgkmcnt(0)
	v_add_f64 v[0:1], v[5:6], v[0:1]
	v_add_f64 v[2:3], v[7:8], v[2:3]
	ds_store_b128 v4, v[0:3]
.LBB205_29:
	s_or_b32 exec_lo, exec_lo, s0
	v_cmp_eq_u32_e32 vcc_lo, 0, v18
	s_waitcnt lgkmcnt(0)
	s_barrier
	buffer_gl0_inv
	s_and_saveexec_b32 s0, vcc_lo
	s_cbranch_execz .LBB205_31
; %bb.30:
	v_mov_b32_e32 v8, 0
	ds_load_b128 v[0:3], v8
	ds_load_b128 v[4:7], v8 offset:16
	s_waitcnt lgkmcnt(0)
	v_add_f64 v[0:1], v[4:5], v[0:1]
	v_add_f64 v[2:3], v[6:7], v[2:3]
	ds_store_b128 v8, v[0:3]
.LBB205_31:
	s_or_b32 exec_lo, exec_lo, s0
	s_waitcnt lgkmcnt(0)
	s_barrier
	buffer_gl0_inv
	s_and_b32 exec_lo, exec_lo, vcc_lo
	s_cbranch_execz .LBB205_44
; %bb.32:
	s_cmp_eq_u32 s1, 0
	s_cbranch_scc1 .LBB205_38
; %bb.33:
	s_lshl_b64 s[0:1], s[20:21], 2
	v_mov_b32_e32 v0, 0
	s_add_u32 s0, s4, s0
	s_addc_u32 s1, s5, s1
	s_branch .LBB205_35
.LBB205_34:                             ;   in Loop: Header=BB205_35 Depth=1
	s_or_b32 exec_lo, exec_lo, s2
	s_waitcnt vmcnt(0)
	v_readfirstlane_b32 s2, v1
	s_delay_alu instid0(VALU_DEP_1)
	s_cmp_eq_u32 s2, s23
	s_cbranch_scc0 .LBB205_37
.LBB205_35:                             ; =>This Inner Loop Header: Depth=1
	v_mbcnt_lo_u32_b32 v1, exec_lo, 0
	s_delay_alu instid0(VALU_DEP_1)
	v_cmp_eq_u32_e32 vcc_lo, 0, v1
                                        ; implicit-def: $vgpr1
	s_and_saveexec_b32 s2, vcc_lo
	s_cbranch_execz .LBB205_34
; %bb.36:                               ;   in Loop: Header=BB205_35 Depth=1
	global_load_b32 v1, v0, s[0:1] glc
	s_branch .LBB205_34
.LBB205_37:
	v_mov_b32_e32 v0, 0
	global_load_b32 v1, v0, s[18:19]
	s_waitcnt vmcnt(0)
	v_xor_b32_e32 v1, 1, v1
	global_store_b32 v0, v1, s[18:19]
.LBB205_38:
	v_mov_b32_e32 v8, 0
	s_mov_b32 s3, exec_lo
	s_lshl_b64 s[0:1], s[6:7], 4
	v_mbcnt_lo_u32_b32 v4, s3, 0
	s_add_u32 s0, s16, s0
	ds_load_b128 v[0:3], v8
	s_addc_u32 s1, s17, s1
	s_mov_b32 s2, exec_lo
	v_cmpx_eq_u32_e32 0, v4
	s_cbranch_execz .LBB205_41
; %bb.39:
	global_load_b64 v[6:7], v8, s[0:1]
	s_bcnt1_i32_b32 s3, s3
	s_delay_alu instid0(SALU_CYCLE_1) | instskip(SKIP_2) | instid1(VALU_DEP_1)
	v_cvt_f64_u32_e32 v[4:5], s3
	s_mov_b32 s3, 0
	s_waitcnt lgkmcnt(0)
	v_mul_f64 v[0:1], v[0:1], v[4:5]
.LBB205_40:                             ; =>This Inner Loop Header: Depth=1
	s_waitcnt vmcnt(0)
	s_delay_alu instid0(VALU_DEP_1)
	v_add_f64 v[4:5], v[6:7], v[0:1]
	global_atomic_cmpswap_b64 v[4:5], v8, v[4:7], s[0:1] glc
	s_waitcnt vmcnt(0)
	v_cmp_eq_u64_e32 vcc_lo, v[4:5], v[6:7]
	v_dual_mov_b32 v7, v5 :: v_dual_mov_b32 v6, v4
	s_or_b32 s3, vcc_lo, s3
	s_delay_alu instid0(SALU_CYCLE_1)
	s_and_not1_b32 exec_lo, exec_lo, s3
	s_cbranch_execnz .LBB205_40
.LBB205_41:
	s_or_b32 exec_lo, exec_lo, s2
	s_delay_alu instid0(SALU_CYCLE_1) | instskip(SKIP_3) | instid1(VALU_DEP_1)
	s_mov_b32 s3, exec_lo
	s_mov_b32 s2, 0
	s_waitcnt lgkmcnt(0)
	v_mbcnt_lo_u32_b32 v0, s3, 0
	v_cmp_eq_u32_e32 vcc_lo, 0, v0
	s_and_b32 s4, exec_lo, vcc_lo
	s_delay_alu instid0(SALU_CYCLE_1)
	s_mov_b32 exec_lo, s4
	s_cbranch_execz .LBB205_44
; %bb.42:
	v_mov_b32_e32 v6, 0
	s_bcnt1_i32_b32 s3, s3
	s_delay_alu instid0(SALU_CYCLE_1)
	v_cvt_f64_u32_e32 v[0:1], s3
	global_load_b64 v[4:5], v6, s[0:1] offset:8
	v_mul_f64 v[0:1], v[2:3], v[0:1]
.LBB205_43:                             ; =>This Inner Loop Header: Depth=1
	s_waitcnt vmcnt(0)
	s_delay_alu instid0(VALU_DEP_1)
	v_add_f64 v[2:3], v[4:5], v[0:1]
	global_atomic_cmpswap_b64 v[2:3], v6, v[2:5], s[0:1] offset:8 glc
	s_waitcnt vmcnt(0)
	v_cmp_eq_u64_e32 vcc_lo, v[2:3], v[4:5]
	v_dual_mov_b32 v5, v3 :: v_dual_mov_b32 v4, v2
	s_or_b32 s2, vcc_lo, s2
	s_delay_alu instid0(SALU_CYCLE_1)
	s_and_not1_b32 exec_lo, exec_lo, s2
	s_cbranch_execnz .LBB205_43
.LBB205_44:
	s_nop 0
	s_sendmsg sendmsg(MSG_DEALLOC_VGPRS)
	s_endpgm
	.section	.rodata,"a",@progbits
	.p2align	6, 0x0
	.amdhsa_kernel _ZN9rocsparseL27csrmvn_lrb_long_rows_kernelIlld21rocsparse_complex_numIdES2_S2_EEvbT_PjPT0_S6_jNS_24const_host_device_scalarIT4_EEPKS3_PKS5_PKT1_PKT2_S9_PT3_21rocsparse_index_base_b
		.amdhsa_group_segment_fixed_size 8192
		.amdhsa_private_segment_fixed_size 0
		.amdhsa_kernarg_size 128
		.amdhsa_user_sgpr_count 15
		.amdhsa_user_sgpr_dispatch_ptr 1
		.amdhsa_user_sgpr_queue_ptr 0
		.amdhsa_user_sgpr_kernarg_segment_ptr 1
		.amdhsa_user_sgpr_dispatch_id 0
		.amdhsa_user_sgpr_private_segment_size 0
		.amdhsa_wavefront_size32 1
		.amdhsa_uses_dynamic_stack 0
		.amdhsa_enable_private_segment 0
		.amdhsa_system_sgpr_workgroup_id_x 1
		.amdhsa_system_sgpr_workgroup_id_y 0
		.amdhsa_system_sgpr_workgroup_id_z 0
		.amdhsa_system_sgpr_workgroup_info 0
		.amdhsa_system_vgpr_workitem_id 2
		.amdhsa_next_free_vgpr 27
		.amdhsa_next_free_sgpr 28
		.amdhsa_reserve_vcc 1
		.amdhsa_float_round_mode_32 0
		.amdhsa_float_round_mode_16_64 0
		.amdhsa_float_denorm_mode_32 3
		.amdhsa_float_denorm_mode_16_64 3
		.amdhsa_dx10_clamp 1
		.amdhsa_ieee_mode 1
		.amdhsa_fp16_overflow 0
		.amdhsa_workgroup_processor_mode 1
		.amdhsa_memory_ordered 1
		.amdhsa_forward_progress 0
		.amdhsa_shared_vgpr_count 0
		.amdhsa_exception_fp_ieee_invalid_op 0
		.amdhsa_exception_fp_denorm_src 0
		.amdhsa_exception_fp_ieee_div_zero 0
		.amdhsa_exception_fp_ieee_overflow 0
		.amdhsa_exception_fp_ieee_underflow 0
		.amdhsa_exception_fp_ieee_inexact 0
		.amdhsa_exception_int_div_zero 0
	.end_amdhsa_kernel
	.section	.text._ZN9rocsparseL27csrmvn_lrb_long_rows_kernelIlld21rocsparse_complex_numIdES2_S2_EEvbT_PjPT0_S6_jNS_24const_host_device_scalarIT4_EEPKS3_PKS5_PKT1_PKT2_S9_PT3_21rocsparse_index_base_b,"axG",@progbits,_ZN9rocsparseL27csrmvn_lrb_long_rows_kernelIlld21rocsparse_complex_numIdES2_S2_EEvbT_PjPT0_S6_jNS_24const_host_device_scalarIT4_EEPKS3_PKS5_PKT1_PKT2_S9_PT3_21rocsparse_index_base_b,comdat
.Lfunc_end205:
	.size	_ZN9rocsparseL27csrmvn_lrb_long_rows_kernelIlld21rocsparse_complex_numIdES2_S2_EEvbT_PjPT0_S6_jNS_24const_host_device_scalarIT4_EEPKS3_PKS5_PKT1_PKT2_S9_PT3_21rocsparse_index_base_b, .Lfunc_end205-_ZN9rocsparseL27csrmvn_lrb_long_rows_kernelIlld21rocsparse_complex_numIdES2_S2_EEvbT_PjPT0_S6_jNS_24const_host_device_scalarIT4_EEPKS3_PKS5_PKT1_PKT2_S9_PT3_21rocsparse_index_base_b
                                        ; -- End function
	.section	.AMDGPU.csdata,"",@progbits
; Kernel info:
; codeLenInByte = 2368
; NumSgprs: 30
; NumVgprs: 27
; ScratchSize: 0
; MemoryBound: 0
; FloatMode: 240
; IeeeMode: 1
; LDSByteSize: 8192 bytes/workgroup (compile time only)
; SGPRBlocks: 3
; VGPRBlocks: 3
; NumSGPRsForWavesPerEU: 30
; NumVGPRsForWavesPerEU: 27
; Occupancy: 16
; WaveLimiterHint : 1
; COMPUTE_PGM_RSRC2:SCRATCH_EN: 0
; COMPUTE_PGM_RSRC2:USER_SGPR: 15
; COMPUTE_PGM_RSRC2:TRAP_HANDLER: 0
; COMPUTE_PGM_RSRC2:TGID_X_EN: 1
; COMPUTE_PGM_RSRC2:TGID_Y_EN: 0
; COMPUTE_PGM_RSRC2:TGID_Z_EN: 0
; COMPUTE_PGM_RSRC2:TIDIG_COMP_CNT: 2
	.section	.text._ZN9rocsparseL28csrmvn_lrb_short_rows_kernelIii21rocsparse_complex_numIfES1_IdES3_S3_EEvbT_PT0_S6_jNS_24const_host_device_scalarIT4_EEPKS4_PKS5_PKT1_PKT2_S9_PT3_21rocsparse_index_base_b,"axG",@progbits,_ZN9rocsparseL28csrmvn_lrb_short_rows_kernelIii21rocsparse_complex_numIfES1_IdES3_S3_EEvbT_PT0_S6_jNS_24const_host_device_scalarIT4_EEPKS4_PKS5_PKT1_PKT2_S9_PT3_21rocsparse_index_base_b,comdat
	.globl	_ZN9rocsparseL28csrmvn_lrb_short_rows_kernelIii21rocsparse_complex_numIfES1_IdES3_S3_EEvbT_PT0_S6_jNS_24const_host_device_scalarIT4_EEPKS4_PKS5_PKT1_PKT2_S9_PT3_21rocsparse_index_base_b ; -- Begin function _ZN9rocsparseL28csrmvn_lrb_short_rows_kernelIii21rocsparse_complex_numIfES1_IdES3_S3_EEvbT_PT0_S6_jNS_24const_host_device_scalarIT4_EEPKS4_PKS5_PKT1_PKT2_S9_PT3_21rocsparse_index_base_b
	.p2align	8
	.type	_ZN9rocsparseL28csrmvn_lrb_short_rows_kernelIii21rocsparse_complex_numIfES1_IdES3_S3_EEvbT_PT0_S6_jNS_24const_host_device_scalarIT4_EEPKS4_PKS5_PKT1_PKT2_S9_PT3_21rocsparse_index_base_b,@function
_ZN9rocsparseL28csrmvn_lrb_short_rows_kernelIii21rocsparse_complex_numIfES1_IdES3_S3_EEvbT_PT0_S6_jNS_24const_host_device_scalarIT4_EEPKS4_PKS5_PKT1_PKT2_S9_PT3_21rocsparse_index_base_b: ; @_ZN9rocsparseL28csrmvn_lrb_short_rows_kernelIii21rocsparse_complex_numIfES1_IdES3_S3_EEvbT_PT0_S6_jNS_24const_host_device_scalarIT4_EEPKS4_PKS5_PKT1_PKT2_S9_PT3_21rocsparse_index_base_b
; %bb.0:
	s_clause 0x2
	s_load_b64 s[12:13], s[0:1], 0x68
	s_load_b128 s[8:11], s[0:1], 0x20
	s_load_b128 s[4:7], s[0:1], 0x50
	s_mov_b64 s[2:3], src_private_base
	v_mov_b32_e32 v1, 0
	s_waitcnt lgkmcnt(0)
	s_bitcmp1_b32 s13, 0
	v_dual_mov_b32 v3, s8 :: v_dual_mov_b32 v6, s5
	s_cselect_b32 s2, -1, 0
	v_mov_b32_e32 v4, s9
	s_and_b32 vcc_lo, s2, exec_lo
	s_cselect_b32 s13, s3, s9
	v_cndmask_b32_e64 v1, s8, v1, s2
	v_dual_mov_b32 v5, s4 :: v_dual_mov_b32 v2, s13
	s_clause 0x1
	scratch_store_b64 off, v[3:4], off
	scratch_store_b64 off, v[5:6], off offset:8
	v_dual_mov_b32 v8, s10 :: v_dual_mov_b32 v9, s11
	flat_load_b64 v[1:2], v[1:2]
	s_xor_b32 s10, s2, -1
	s_cbranch_vccnz .LBB206_2
; %bb.1:
	v_dual_mov_b32 v3, s8 :: v_dual_mov_b32 v4, s9
	flat_load_b64 v[8:9], v[3:4] offset:8
.LBB206_2:
	s_and_b32 s8, s2, exec_lo
	s_cselect_b32 s3, s3, s5
	s_delay_alu instid0(SALU_CYCLE_1) | instskip(SKIP_2) | instid1(VALU_DEP_2)
	v_dual_mov_b32 v3, 8 :: v_dual_mov_b32 v4, s3
	v_dual_mov_b32 v6, s6 :: v_dual_mov_b32 v7, s7
	s_and_not1_b32 vcc_lo, exec_lo, s10
	v_cndmask_b32_e64 v3, s4, v3, s2
	flat_load_b64 v[4:5], v[3:4]
	s_cbranch_vccnz .LBB206_4
; %bb.3:
	v_dual_mov_b32 v7, s5 :: v_dual_mov_b32 v6, s4
	flat_load_b64 v[6:7], v[6:7] offset:8
.LBB206_4:
	s_waitcnt vmcnt(1) lgkmcnt(1)
	v_cmp_eq_f64_e32 vcc_lo, 0, v[1:2]
	v_cmp_eq_f64_e64 s2, 0, v[8:9]
	s_delay_alu instid0(VALU_DEP_1)
	s_and_b32 s4, vcc_lo, s2
	s_mov_b32 s2, -1
	s_and_saveexec_b32 s3, s4
	s_cbranch_execz .LBB206_6
; %bb.5:
	s_waitcnt vmcnt(0) lgkmcnt(0)
	v_cmp_neq_f64_e32 vcc_lo, 1.0, v[4:5]
	v_cmp_neq_f64_e64 s2, 0, v[6:7]
	s_delay_alu instid0(VALU_DEP_1) | instskip(NEXT) | instid1(SALU_CYCLE_1)
	s_or_b32 s2, vcc_lo, s2
	s_or_not1_b32 s2, s2, exec_lo
.LBB206_6:
	s_or_b32 exec_lo, exec_lo, s3
	s_and_saveexec_b32 s3, s2
	s_cbranch_execz .LBB206_20
; %bb.7:
	s_clause 0x1
	s_load_b32 s2, s[0:1], 0x18
	s_load_b128 s[16:19], s[0:1], 0x8
	s_mov_b32 s3, 0
	s_delay_alu instid0(SALU_CYCLE_1) | instskip(SKIP_2) | instid1(SALU_CYCLE_1)
	s_mov_b32 s7, s3
	s_waitcnt lgkmcnt(0)
	s_lshl_b64 s[4:5], s[2:3], 2
	s_add_u32 s4, s18, s4
	s_addc_u32 s5, s19, s5
	s_add_i32 s6, s2, 1
	s_delay_alu instid0(SALU_CYCLE_1) | instskip(NEXT) | instid1(SALU_CYCLE_1)
	s_lshl_b64 s[6:7], s[6:7], 2
	s_add_u32 s6, s18, s6
	s_addc_u32 s7, s19, s7
	s_clause 0x1
	s_load_b32 s13, s[4:5], 0x0
	s_load_b32 s4, s[6:7], 0x0
	s_lshl_b32 s14, s15, 8
	s_delay_alu instid0(SALU_CYCLE_1) | instskip(SKIP_2) | instid1(SALU_CYCLE_1)
	s_add_i32 s5, s14, 0x100
	s_waitcnt lgkmcnt(0)
	s_sub_i32 s4, s4, s13
	s_min_u32 s15, s4, s5
	s_cmp_gt_u32 s2, 23
	s_cbranch_scc1 .LBB206_14
; %bb.8:
	s_clause 0x1
	s_load_b32 s19, s[0:1], 0x0
	s_load_b256 s[4:11], s[0:1], 0x30
	v_bfe_u32 v3, v0, 0, s2
	s_lshl_b32 s18, 0x100, s2
	v_lshl_add_u32 v19, v0, 4, 0
	v_mov_b32_e32 v11, 0
	s_delay_alu instid0(VALU_DEP_3)
	v_subrev_nc_u32_e32 v18, s12, v3
	s_waitcnt lgkmcnt(0)
	s_bitcmp1_b32 s19, 0
	s_cselect_b32 s19, -1, 0
	s_branch .LBB206_11
.LBB206_9:                              ;   in Loop: Header=BB206_11 Depth=1
	s_or_b32 exec_lo, exec_lo, s21
	ds_store_2addr_b64 v19, v[12:13], v[14:15] offset1:1
.LBB206_10:                             ;   in Loop: Header=BB206_11 Depth=1
	s_or_b32 exec_lo, exec_lo, s20
	v_add_nc_u32_e32 v19, 0x1000, v19
	s_addk_i32 s3, 0x100
	s_delay_alu instid0(SALU_CYCLE_1)
	s_cmp_ge_u32 s3, s18
	s_cbranch_scc1 .LBB206_14
.LBB206_11:                             ; =>This Inner Loop Header: Depth=1
	v_add_nc_u32_e32 v10, s3, v0
	s_mov_b32 s20, exec_lo
	s_delay_alu instid0(VALU_DEP_1) | instskip(NEXT) | instid1(VALU_DEP_1)
	v_lshrrev_b32_e32 v10, s2, v10
	v_add_nc_u32_e32 v10, s14, v10
	s_delay_alu instid0(VALU_DEP_1)
	v_cmpx_gt_u32_e64 s15, v10
	s_cbranch_execz .LBB206_10
; %bb.12:                               ;   in Loop: Header=BB206_11 Depth=1
	v_add_nc_u32_e32 v10, s13, v10
	s_mov_b32 s21, exec_lo
	s_delay_alu instid0(VALU_DEP_1) | instskip(NEXT) | instid1(VALU_DEP_1)
	v_lshlrev_b64 v[12:13], 2, v[10:11]
	v_add_co_u32 v12, vcc_lo, s16, v12
	s_delay_alu instid0(VALU_DEP_2) | instskip(SKIP_3) | instid1(VALU_DEP_1)
	v_add_co_ci_u32_e32 v13, vcc_lo, s17, v13, vcc_lo
	global_load_b32 v12, v[12:13], off
	s_waitcnt vmcnt(0)
	v_ashrrev_i32_e32 v13, 31, v12
	v_lshlrev_b64 v[12:13], 2, v[12:13]
	s_delay_alu instid0(VALU_DEP_1) | instskip(NEXT) | instid1(VALU_DEP_2)
	v_add_co_u32 v12, vcc_lo, s4, v12
	v_add_co_ci_u32_e32 v13, vcc_lo, s5, v13, vcc_lo
	global_load_b64 v[16:17], v[12:13], off
	v_mov_b32_e32 v12, 0
	v_mov_b32_e32 v13, 0
	s_delay_alu instid0(VALU_DEP_1) | instskip(SKIP_2) | instid1(VALU_DEP_1)
	v_dual_mov_b32 v15, v13 :: v_dual_mov_b32 v14, v12
	s_waitcnt vmcnt(0)
	v_sub_nc_u32_e32 v10, v17, v16
	v_cmpx_lt_u32_e64 v3, v10
	s_cbranch_execz .LBB206_9
; %bb.13:                               ;   in Loop: Header=BB206_11 Depth=1
	v_add_nc_u32_e32 v10, v18, v16
	s_delay_alu instid0(VALU_DEP_1) | instskip(NEXT) | instid1(VALU_DEP_1)
	v_lshlrev_b64 v[12:13], 2, v[10:11]
	v_add_co_u32 v12, vcc_lo, s6, v12
	s_delay_alu instid0(VALU_DEP_2) | instskip(SKIP_2) | instid1(VALU_DEP_1)
	v_add_co_ci_u32_e32 v13, vcc_lo, s7, v13, vcc_lo
	global_load_b32 v14, v[12:13], off
	v_lshlrev_b64 v[12:13], 3, v[10:11]
	v_add_co_u32 v12, vcc_lo, s8, v12
	s_delay_alu instid0(VALU_DEP_2) | instskip(SKIP_3) | instid1(VALU_DEP_1)
	v_add_co_ci_u32_e32 v13, vcc_lo, s9, v13, vcc_lo
	global_load_b64 v[12:13], v[12:13], off
	s_waitcnt vmcnt(1)
	v_subrev_nc_u32_e32 v14, s12, v14
	v_ashrrev_i32_e32 v15, 31, v14
	s_delay_alu instid0(VALU_DEP_1) | instskip(SKIP_3) | instid1(VALU_DEP_3)
	v_lshlrev_b64 v[14:15], 4, v[14:15]
	s_waitcnt vmcnt(0)
	v_cndmask_b32_e64 v10, v13, -v13, s19
	v_cvt_f64_f32_e32 v[12:13], v12
	v_add_co_u32 v14, vcc_lo, s10, v14
	s_delay_alu instid0(VALU_DEP_4) | instskip(NEXT) | instid1(VALU_DEP_4)
	v_add_co_ci_u32_e32 v15, vcc_lo, s11, v15, vcc_lo
	v_cvt_f64_f32_e32 v[20:21], v10
	global_load_b128 v[14:17], v[14:15], off
	v_mul_f64 v[22:23], v[1:2], v[20:21]
	v_mul_f64 v[20:21], -v[8:9], v[20:21]
	s_delay_alu instid0(VALU_DEP_2) | instskip(NEXT) | instid1(VALU_DEP_2)
	v_fma_f64 v[22:23], v[8:9], v[12:13], v[22:23]
	v_fma_f64 v[12:13], v[1:2], v[12:13], v[20:21]
	s_waitcnt vmcnt(0)
	s_delay_alu instid0(VALU_DEP_2) | instskip(NEXT) | instid1(VALU_DEP_2)
	v_mul_f64 v[20:21], v[16:17], -v[22:23]
	v_mul_f64 v[16:17], v[16:17], v[12:13]
	s_delay_alu instid0(VALU_DEP_2) | instskip(NEXT) | instid1(VALU_DEP_2)
	v_fma_f64 v[12:13], v[12:13], v[14:15], v[20:21]
	v_fma_f64 v[14:15], v[22:23], v[14:15], v[16:17]
	s_branch .LBB206_9
.LBB206_14:
	s_sub_i32 s3, s15, s14
	s_waitcnt vmcnt(0) lgkmcnt(0)
	s_waitcnt_vscnt null, 0x0
	v_cmp_gt_u32_e32 vcc_lo, s3, v0
	s_barrier
	buffer_gl0_inv
	s_and_b32 exec_lo, exec_lo, vcc_lo
	s_cbranch_execz .LBB206_20
; %bb.15:
	v_add3_u32 v1, s13, s14, v0
	v_mov_b32_e32 v2, 0
	s_load_b64 s[4:5], s[0:1], 0x60
	v_lshlrev_b32_e32 v0, s2, v0
	s_mov_b32 s0, 1
	s_delay_alu instid0(VALU_DEP_2) | instskip(NEXT) | instid1(VALU_DEP_1)
	v_lshlrev_b64 v[1:2], 2, v[1:2]
	v_add_co_u32 v1, vcc_lo, s16, v1
	s_delay_alu instid0(VALU_DEP_2) | instskip(SKIP_4) | instid1(VALU_DEP_2)
	v_add_co_ci_u32_e32 v2, vcc_lo, s17, v2, vcc_lo
	global_load_b32 v8, v[1:2], off
	v_mov_b32_e32 v2, 0
	v_mov_b32_e32 v3, 0
	v_lshl_add_u32 v9, v0, 4, 0
	v_dual_mov_b32 v0, v2 :: v_dual_mov_b32 v1, v3
.LBB206_16:                             ; =>This Inner Loop Header: Depth=1
	ds_load_2addr_b64 v[10:13], v9 offset1:1
	v_add_nc_u32_e32 v9, 16, v9
	s_lshr_b32 s1, s0, s2
	s_add_i32 s0, s0, 1
	s_cmp_lg_u32 s1, 0
	s_waitcnt lgkmcnt(0)
	v_add_f64 v[0:1], v[0:1], v[10:11]
	v_add_f64 v[2:3], v[2:3], v[12:13]
	s_cbranch_scc0 .LBB206_16
; %bb.17:
	v_cmp_neq_f64_e32 vcc_lo, 0, v[4:5]
	v_cmp_neq_f64_e64 s0, 0, v[6:7]
	s_waitcnt vmcnt(0)
	v_ashrrev_i32_e32 v9, 31, v8
	s_delay_alu instid0(VALU_DEP_1) | instskip(NEXT) | instid1(VALU_DEP_3)
	v_lshlrev_b64 v[8:9], 4, v[8:9]
	s_or_b32 s1, vcc_lo, s0
	s_delay_alu instid0(SALU_CYCLE_1)
	s_and_saveexec_b32 s0, s1
	s_cbranch_execz .LBB206_19
; %bb.18:
	s_delay_alu instid0(VALU_DEP_1) | instskip(NEXT) | instid1(VALU_DEP_2)
	v_add_co_u32 v10, vcc_lo, s4, v8
	v_add_co_ci_u32_e32 v11, vcc_lo, s5, v9, vcc_lo
	global_load_b128 v[10:13], v[10:11], off
	s_waitcnt vmcnt(0)
	v_fma_f64 v[0:1], v[4:5], v[10:11], v[0:1]
	v_fma_f64 v[2:3], v[6:7], v[10:11], v[2:3]
	s_delay_alu instid0(VALU_DEP_2) | instskip(NEXT) | instid1(VALU_DEP_2)
	v_fma_f64 v[0:1], -v[6:7], v[12:13], v[0:1]
	v_fma_f64 v[2:3], v[4:5], v[12:13], v[2:3]
.LBB206_19:
	s_or_b32 exec_lo, exec_lo, s0
	s_delay_alu instid0(VALU_DEP_1)
	v_add_co_u32 v4, vcc_lo, s4, v8
	v_add_co_ci_u32_e32 v5, vcc_lo, s5, v9, vcc_lo
	global_store_b128 v[4:5], v[0:3], off
.LBB206_20:
	s_endpgm
	.section	.rodata,"a",@progbits
	.p2align	6, 0x0
	.amdhsa_kernel _ZN9rocsparseL28csrmvn_lrb_short_rows_kernelIii21rocsparse_complex_numIfES1_IdES3_S3_EEvbT_PT0_S6_jNS_24const_host_device_scalarIT4_EEPKS4_PKS5_PKT1_PKT2_S9_PT3_21rocsparse_index_base_b
		.amdhsa_group_segment_fixed_size 0
		.amdhsa_private_segment_fixed_size 24
		.amdhsa_kernarg_size 112
		.amdhsa_user_sgpr_count 15
		.amdhsa_user_sgpr_dispatch_ptr 0
		.amdhsa_user_sgpr_queue_ptr 0
		.amdhsa_user_sgpr_kernarg_segment_ptr 1
		.amdhsa_user_sgpr_dispatch_id 0
		.amdhsa_user_sgpr_private_segment_size 0
		.amdhsa_wavefront_size32 1
		.amdhsa_uses_dynamic_stack 0
		.amdhsa_enable_private_segment 1
		.amdhsa_system_sgpr_workgroup_id_x 1
		.amdhsa_system_sgpr_workgroup_id_y 0
		.amdhsa_system_sgpr_workgroup_id_z 0
		.amdhsa_system_sgpr_workgroup_info 0
		.amdhsa_system_vgpr_workitem_id 0
		.amdhsa_next_free_vgpr 24
		.amdhsa_next_free_sgpr 22
		.amdhsa_reserve_vcc 1
		.amdhsa_float_round_mode_32 0
		.amdhsa_float_round_mode_16_64 0
		.amdhsa_float_denorm_mode_32 3
		.amdhsa_float_denorm_mode_16_64 3
		.amdhsa_dx10_clamp 1
		.amdhsa_ieee_mode 1
		.amdhsa_fp16_overflow 0
		.amdhsa_workgroup_processor_mode 1
		.amdhsa_memory_ordered 1
		.amdhsa_forward_progress 0
		.amdhsa_shared_vgpr_count 0
		.amdhsa_exception_fp_ieee_invalid_op 0
		.amdhsa_exception_fp_denorm_src 0
		.amdhsa_exception_fp_ieee_div_zero 0
		.amdhsa_exception_fp_ieee_overflow 0
		.amdhsa_exception_fp_ieee_underflow 0
		.amdhsa_exception_fp_ieee_inexact 0
		.amdhsa_exception_int_div_zero 0
	.end_amdhsa_kernel
	.section	.text._ZN9rocsparseL28csrmvn_lrb_short_rows_kernelIii21rocsparse_complex_numIfES1_IdES3_S3_EEvbT_PT0_S6_jNS_24const_host_device_scalarIT4_EEPKS4_PKS5_PKT1_PKT2_S9_PT3_21rocsparse_index_base_b,"axG",@progbits,_ZN9rocsparseL28csrmvn_lrb_short_rows_kernelIii21rocsparse_complex_numIfES1_IdES3_S3_EEvbT_PT0_S6_jNS_24const_host_device_scalarIT4_EEPKS4_PKS5_PKT1_PKT2_S9_PT3_21rocsparse_index_base_b,comdat
.Lfunc_end206:
	.size	_ZN9rocsparseL28csrmvn_lrb_short_rows_kernelIii21rocsparse_complex_numIfES1_IdES3_S3_EEvbT_PT0_S6_jNS_24const_host_device_scalarIT4_EEPKS4_PKS5_PKT1_PKT2_S9_PT3_21rocsparse_index_base_b, .Lfunc_end206-_ZN9rocsparseL28csrmvn_lrb_short_rows_kernelIii21rocsparse_complex_numIfES1_IdES3_S3_EEvbT_PT0_S6_jNS_24const_host_device_scalarIT4_EEPKS4_PKS5_PKT1_PKT2_S9_PT3_21rocsparse_index_base_b
                                        ; -- End function
	.section	.AMDGPU.csdata,"",@progbits
; Kernel info:
; codeLenInByte = 1224
; NumSgprs: 24
; NumVgprs: 24
; ScratchSize: 24
; MemoryBound: 0
; FloatMode: 240
; IeeeMode: 1
; LDSByteSize: 0 bytes/workgroup (compile time only)
; SGPRBlocks: 2
; VGPRBlocks: 2
; NumSGPRsForWavesPerEU: 24
; NumVGPRsForWavesPerEU: 24
; Occupancy: 16
; WaveLimiterHint : 1
; COMPUTE_PGM_RSRC2:SCRATCH_EN: 1
; COMPUTE_PGM_RSRC2:USER_SGPR: 15
; COMPUTE_PGM_RSRC2:TRAP_HANDLER: 0
; COMPUTE_PGM_RSRC2:TGID_X_EN: 1
; COMPUTE_PGM_RSRC2:TGID_Y_EN: 0
; COMPUTE_PGM_RSRC2:TGID_Z_EN: 0
; COMPUTE_PGM_RSRC2:TIDIG_COMP_CNT: 0
	.section	.text._ZN9rocsparseL30csrmvn_lrb_short_rows_2_kernelIii21rocsparse_complex_numIfES1_IdES3_S3_EEvbT_PT0_S6_jNS_24const_host_device_scalarIT4_EEPKS4_PKS5_PKT1_PKT2_S9_PT3_21rocsparse_index_base_b,"axG",@progbits,_ZN9rocsparseL30csrmvn_lrb_short_rows_2_kernelIii21rocsparse_complex_numIfES1_IdES3_S3_EEvbT_PT0_S6_jNS_24const_host_device_scalarIT4_EEPKS4_PKS5_PKT1_PKT2_S9_PT3_21rocsparse_index_base_b,comdat
	.globl	_ZN9rocsparseL30csrmvn_lrb_short_rows_2_kernelIii21rocsparse_complex_numIfES1_IdES3_S3_EEvbT_PT0_S6_jNS_24const_host_device_scalarIT4_EEPKS4_PKS5_PKT1_PKT2_S9_PT3_21rocsparse_index_base_b ; -- Begin function _ZN9rocsparseL30csrmvn_lrb_short_rows_2_kernelIii21rocsparse_complex_numIfES1_IdES3_S3_EEvbT_PT0_S6_jNS_24const_host_device_scalarIT4_EEPKS4_PKS5_PKT1_PKT2_S9_PT3_21rocsparse_index_base_b
	.p2align	8
	.type	_ZN9rocsparseL30csrmvn_lrb_short_rows_2_kernelIii21rocsparse_complex_numIfES1_IdES3_S3_EEvbT_PT0_S6_jNS_24const_host_device_scalarIT4_EEPKS4_PKS5_PKT1_PKT2_S9_PT3_21rocsparse_index_base_b,@function
_ZN9rocsparseL30csrmvn_lrb_short_rows_2_kernelIii21rocsparse_complex_numIfES1_IdES3_S3_EEvbT_PT0_S6_jNS_24const_host_device_scalarIT4_EEPKS4_PKS5_PKT1_PKT2_S9_PT3_21rocsparse_index_base_b: ; @_ZN9rocsparseL30csrmvn_lrb_short_rows_2_kernelIii21rocsparse_complex_numIfES1_IdES3_S3_EEvbT_PT0_S6_jNS_24const_host_device_scalarIT4_EEPKS4_PKS5_PKT1_PKT2_S9_PT3_21rocsparse_index_base_b
; %bb.0:
	s_clause 0x2
	s_load_b64 s[16:17], s[0:1], 0x68
	s_load_b128 s[8:11], s[0:1], 0x20
	s_load_b128 s[4:7], s[0:1], 0x50
	s_mov_b64 s[2:3], src_private_base
	v_mov_b32_e32 v1, 0
	s_waitcnt lgkmcnt(0)
	s_bitcmp1_b32 s17, 0
	v_dual_mov_b32 v3, s8 :: v_dual_mov_b32 v6, s5
	s_cselect_b32 s2, -1, 0
	v_mov_b32_e32 v4, s9
	s_and_b32 vcc_lo, s2, exec_lo
	s_cselect_b32 s12, s3, s9
	v_cndmask_b32_e64 v1, s8, v1, s2
	v_dual_mov_b32 v5, s4 :: v_dual_mov_b32 v2, s12
	s_clause 0x1
	scratch_store_b64 off, v[3:4], off
	scratch_store_b64 off, v[5:6], off offset:8
	v_dual_mov_b32 v12, s11 :: v_dual_mov_b32 v11, s10
	flat_load_b64 v[9:10], v[1:2]
	s_xor_b32 s10, s2, -1
	s_cbranch_vccnz .LBB207_2
; %bb.1:
	v_dual_mov_b32 v1, s8 :: v_dual_mov_b32 v2, s9
	flat_load_b64 v[11:12], v[1:2] offset:8
.LBB207_2:
	s_and_b32 s8, s2, exec_lo
	s_cselect_b32 s3, s3, s5
	s_delay_alu instid0(SALU_CYCLE_1) | instskip(SKIP_2) | instid1(VALU_DEP_2)
	v_dual_mov_b32 v1, 8 :: v_dual_mov_b32 v2, s3
	v_dual_mov_b32 v8, s7 :: v_dual_mov_b32 v7, s6
	s_and_not1_b32 vcc_lo, exec_lo, s10
	v_cndmask_b32_e64 v1, s4, v1, s2
	flat_load_b64 v[5:6], v[1:2]
	s_cbranch_vccnz .LBB207_4
; %bb.3:
	v_dual_mov_b32 v1, s4 :: v_dual_mov_b32 v2, s5
	flat_load_b64 v[7:8], v[1:2] offset:8
.LBB207_4:
	s_waitcnt vmcnt(1) lgkmcnt(1)
	v_cmp_eq_f64_e32 vcc_lo, 0, v[9:10]
	v_cmp_eq_f64_e64 s2, 0, v[11:12]
	s_delay_alu instid0(VALU_DEP_1)
	s_and_b32 s4, vcc_lo, s2
	s_mov_b32 s2, -1
	s_and_saveexec_b32 s3, s4
	s_cbranch_execz .LBB207_6
; %bb.5:
	s_waitcnt vmcnt(0) lgkmcnt(0)
	v_cmp_neq_f64_e32 vcc_lo, 1.0, v[5:6]
	v_cmp_neq_f64_e64 s2, 0, v[7:8]
	s_delay_alu instid0(VALU_DEP_1) | instskip(NEXT) | instid1(SALU_CYCLE_1)
	s_or_b32 s2, vcc_lo, s2
	s_or_not1_b32 s2, s2, exec_lo
.LBB207_6:
	s_or_b32 exec_lo, exec_lo, s3
	s_and_saveexec_b32 s3, s2
	s_cbranch_execz .LBB207_32
; %bb.7:
	s_clause 0x2
	s_load_b32 s12, s[0:1], 0x18
	s_load_b32 s2, s[0:1], 0x0
	s_load_b128 s[8:11], s[0:1], 0x8
	s_mov_b32 s13, 0
	s_delay_alu instid0(SALU_CYCLE_1)
	s_mov_b32 s5, s13
	s_waitcnt lgkmcnt(0)
	v_lshrrev_b32_e32 v1, s12, v0
	s_bitcmp1_b32 s2, 0
	v_bfe_u32 v18, v0, 0, s12
	s_cselect_b32 s18, -1, 0
	s_lshl_b64 s[2:3], s[12:13], 2
	s_delay_alu instid0(SALU_CYCLE_1) | instskip(SKIP_4) | instid1(SALU_CYCLE_1)
	s_add_u32 s2, s10, s2
	s_addc_u32 s3, s11, s3
	s_add_i32 s4, s12, 1
	v_subrev_nc_u32_e32 v17, s16, v18
	s_lshl_b64 s[4:5], s[4:5], 2
	s_add_u32 s4, s10, s4
	s_addc_u32 s5, s11, s5
	s_clause 0x1
	s_load_b32 s14, s[2:3], 0x0
	s_load_b32 s17, s[4:5], 0x0
	s_clause 0x1
	s_load_b64 s[10:11], s[0:1], 0x60
	s_load_b256 s[0:7], s[0:1], 0x30
	s_lshr_b32 s13, 0x400, s12
	s_delay_alu instid0(SALU_CYCLE_1) | instskip(NEXT) | instid1(SALU_CYCLE_1)
	s_mul_i32 s15, s13, s15
	v_add_nc_u32_e32 v1, s15, v1
	s_add_i32 s19, s15, s13
	s_waitcnt lgkmcnt(0)
	s_sub_i32 s17, s17, s14
	s_delay_alu instid0(SALU_CYCLE_1)
	s_min_u32 s17, s17, s19
	s_mov_b32 s19, exec_lo
	v_cmpx_gt_u32_e64 s17, v1
	s_cbranch_execz .LBB207_11
; %bb.8:
	v_dual_mov_b32 v14, 0 :: v_dual_add_nc_u32 v13, s14, v1
	s_delay_alu instid0(VALU_DEP_1) | instskip(NEXT) | instid1(VALU_DEP_1)
	v_lshlrev_b64 v[1:2], 2, v[13:14]
	v_add_co_u32 v1, vcc_lo, s8, v1
	s_delay_alu instid0(VALU_DEP_2) | instskip(SKIP_3) | instid1(VALU_DEP_1)
	v_add_co_ci_u32_e32 v2, vcc_lo, s9, v2, vcc_lo
	global_load_b32 v1, v[1:2], off
	s_waitcnt vmcnt(0)
	v_ashrrev_i32_e32 v2, 31, v1
	v_lshlrev_b64 v[1:2], 2, v[1:2]
	s_delay_alu instid0(VALU_DEP_1) | instskip(NEXT) | instid1(VALU_DEP_2)
	v_add_co_u32 v1, vcc_lo, s0, v1
	v_add_co_ci_u32_e32 v2, vcc_lo, s1, v2, vcc_lo
	global_load_b64 v[15:16], v[1:2], off
	v_mov_b32_e32 v1, 0
	v_mov_b32_e32 v2, 0
	s_waitcnt vmcnt(0)
	v_sub_nc_u32_e32 v3, v16, v15
	s_delay_alu instid0(VALU_DEP_1) | instskip(NEXT) | instid1(VALU_DEP_3)
	v_cmp_lt_u32_e32 vcc_lo, v18, v3
	v_dual_mov_b32 v4, v2 :: v_dual_mov_b32 v3, v1
	s_and_saveexec_b32 s20, vcc_lo
	s_cbranch_execz .LBB207_10
; %bb.9:
	v_add_nc_u32_e32 v13, v15, v17
	s_delay_alu instid0(VALU_DEP_1) | instskip(NEXT) | instid1(VALU_DEP_1)
	v_lshlrev_b64 v[1:2], 2, v[13:14]
	v_add_co_u32 v1, vcc_lo, s2, v1
	s_delay_alu instid0(VALU_DEP_2) | instskip(SKIP_2) | instid1(VALU_DEP_1)
	v_add_co_ci_u32_e32 v2, vcc_lo, s3, v2, vcc_lo
	global_load_b32 v3, v[1:2], off
	v_lshlrev_b64 v[1:2], 3, v[13:14]
	v_add_co_u32 v1, vcc_lo, s4, v1
	s_delay_alu instid0(VALU_DEP_2) | instskip(SKIP_3) | instid1(VALU_DEP_1)
	v_add_co_ci_u32_e32 v2, vcc_lo, s5, v2, vcc_lo
	global_load_b64 v[1:2], v[1:2], off
	s_waitcnt vmcnt(1)
	v_subrev_nc_u32_e32 v3, s16, v3
	v_ashrrev_i32_e32 v4, 31, v3
	s_delay_alu instid0(VALU_DEP_1) | instskip(SKIP_3) | instid1(VALU_DEP_3)
	v_lshlrev_b64 v[3:4], 4, v[3:4]
	s_waitcnt vmcnt(0)
	v_cndmask_b32_e64 v2, v2, -v2, s18
	v_cvt_f64_f32_e32 v[19:20], v1
	v_add_co_u32 v3, vcc_lo, s6, v3
	s_delay_alu instid0(VALU_DEP_4) | instskip(SKIP_2) | instid1(VALU_DEP_1)
	v_add_co_ci_u32_e32 v4, vcc_lo, s7, v4, vcc_lo
	global_load_b128 v[13:16], v[3:4], off
	v_cvt_f64_f32_e32 v[2:3], v2
	v_mul_f64 v[21:22], v[9:10], v[2:3]
	v_mul_f64 v[1:2], -v[11:12], v[2:3]
	s_delay_alu instid0(VALU_DEP_2) | instskip(NEXT) | instid1(VALU_DEP_2)
	v_fma_f64 v[3:4], v[11:12], v[19:20], v[21:22]
	v_fma_f64 v[1:2], v[9:10], v[19:20], v[1:2]
	s_waitcnt vmcnt(0)
	s_delay_alu instid0(VALU_DEP_2) | instskip(NEXT) | instid1(VALU_DEP_2)
	v_mul_f64 v[19:20], v[15:16], -v[3:4]
	v_mul_f64 v[15:16], v[15:16], v[1:2]
	s_delay_alu instid0(VALU_DEP_2) | instskip(NEXT) | instid1(VALU_DEP_2)
	v_fma_f64 v[1:2], v[1:2], v[13:14], v[19:20]
	v_fma_f64 v[3:4], v[3:4], v[13:14], v[15:16]
.LBB207_10:
	s_or_b32 exec_lo, exec_lo, s20
	v_lshlrev_b32_e32 v13, 4, v0
	ds_store_b128 v13, v[1:4]
.LBB207_11:
	s_or_b32 exec_lo, exec_lo, s19
	v_or_b32_e32 v1, 0x100, v0
	s_mov_b32 s19, exec_lo
	s_delay_alu instid0(VALU_DEP_1) | instskip(NEXT) | instid1(VALU_DEP_1)
	v_lshrrev_b32_e32 v1, s12, v1
	v_add_nc_u32_e32 v1, s15, v1
	s_delay_alu instid0(VALU_DEP_1)
	v_cmpx_gt_u32_e64 s17, v1
	s_cbranch_execz .LBB207_15
; %bb.12:
	v_dual_mov_b32 v14, 0 :: v_dual_add_nc_u32 v13, s14, v1
	s_delay_alu instid0(VALU_DEP_1) | instskip(NEXT) | instid1(VALU_DEP_1)
	v_lshlrev_b64 v[1:2], 2, v[13:14]
	v_add_co_u32 v1, vcc_lo, s8, v1
	s_delay_alu instid0(VALU_DEP_2) | instskip(SKIP_3) | instid1(VALU_DEP_1)
	v_add_co_ci_u32_e32 v2, vcc_lo, s9, v2, vcc_lo
	global_load_b32 v1, v[1:2], off
	s_waitcnt vmcnt(0)
	v_ashrrev_i32_e32 v2, 31, v1
	v_lshlrev_b64 v[1:2], 2, v[1:2]
	s_delay_alu instid0(VALU_DEP_1) | instskip(NEXT) | instid1(VALU_DEP_2)
	v_add_co_u32 v1, vcc_lo, s0, v1
	v_add_co_ci_u32_e32 v2, vcc_lo, s1, v2, vcc_lo
	global_load_b64 v[15:16], v[1:2], off
	v_mov_b32_e32 v1, 0
	v_mov_b32_e32 v2, 0
	s_waitcnt vmcnt(0)
	v_sub_nc_u32_e32 v3, v16, v15
	s_delay_alu instid0(VALU_DEP_1) | instskip(NEXT) | instid1(VALU_DEP_3)
	v_cmp_lt_u32_e32 vcc_lo, v18, v3
	v_dual_mov_b32 v4, v2 :: v_dual_mov_b32 v3, v1
	s_and_saveexec_b32 s20, vcc_lo
	s_cbranch_execz .LBB207_14
; %bb.13:
	v_add_nc_u32_e32 v13, v15, v17
	s_delay_alu instid0(VALU_DEP_1) | instskip(NEXT) | instid1(VALU_DEP_1)
	v_lshlrev_b64 v[1:2], 2, v[13:14]
	v_add_co_u32 v1, vcc_lo, s2, v1
	s_delay_alu instid0(VALU_DEP_2) | instskip(SKIP_2) | instid1(VALU_DEP_1)
	v_add_co_ci_u32_e32 v2, vcc_lo, s3, v2, vcc_lo
	global_load_b32 v3, v[1:2], off
	v_lshlrev_b64 v[1:2], 3, v[13:14]
	v_add_co_u32 v1, vcc_lo, s4, v1
	s_delay_alu instid0(VALU_DEP_2) | instskip(SKIP_3) | instid1(VALU_DEP_1)
	v_add_co_ci_u32_e32 v2, vcc_lo, s5, v2, vcc_lo
	global_load_b64 v[1:2], v[1:2], off
	s_waitcnt vmcnt(1)
	v_subrev_nc_u32_e32 v3, s16, v3
	v_ashrrev_i32_e32 v4, 31, v3
	s_delay_alu instid0(VALU_DEP_1) | instskip(SKIP_3) | instid1(VALU_DEP_3)
	v_lshlrev_b64 v[3:4], 4, v[3:4]
	s_waitcnt vmcnt(0)
	v_cndmask_b32_e64 v2, v2, -v2, s18
	v_cvt_f64_f32_e32 v[19:20], v1
	v_add_co_u32 v3, vcc_lo, s6, v3
	s_delay_alu instid0(VALU_DEP_4) | instskip(SKIP_2) | instid1(VALU_DEP_1)
	v_add_co_ci_u32_e32 v4, vcc_lo, s7, v4, vcc_lo
	global_load_b128 v[13:16], v[3:4], off
	v_cvt_f64_f32_e32 v[2:3], v2
	v_mul_f64 v[21:22], v[9:10], v[2:3]
	v_mul_f64 v[1:2], -v[11:12], v[2:3]
	s_delay_alu instid0(VALU_DEP_2) | instskip(NEXT) | instid1(VALU_DEP_2)
	v_fma_f64 v[3:4], v[11:12], v[19:20], v[21:22]
	v_fma_f64 v[1:2], v[9:10], v[19:20], v[1:2]
	s_waitcnt vmcnt(0)
	s_delay_alu instid0(VALU_DEP_2) | instskip(NEXT) | instid1(VALU_DEP_2)
	v_mul_f64 v[19:20], v[15:16], -v[3:4]
	v_mul_f64 v[15:16], v[15:16], v[1:2]
	s_delay_alu instid0(VALU_DEP_2) | instskip(NEXT) | instid1(VALU_DEP_2)
	v_fma_f64 v[1:2], v[1:2], v[13:14], v[19:20]
	v_fma_f64 v[3:4], v[3:4], v[13:14], v[15:16]
.LBB207_14:
	s_or_b32 exec_lo, exec_lo, s20
	v_lshlrev_b32_e32 v13, 4, v0
	ds_store_b128 v13, v[1:4] offset:4096
.LBB207_15:
	s_or_b32 exec_lo, exec_lo, s19
	v_or_b32_e32 v1, 0x200, v0
	s_mov_b32 s19, exec_lo
	s_delay_alu instid0(VALU_DEP_1) | instskip(NEXT) | instid1(VALU_DEP_1)
	v_lshrrev_b32_e32 v1, s12, v1
	v_add_nc_u32_e32 v1, s15, v1
	s_delay_alu instid0(VALU_DEP_1)
	v_cmpx_gt_u32_e64 s17, v1
	s_cbranch_execz .LBB207_19
; %bb.16:
	v_dual_mov_b32 v14, 0 :: v_dual_add_nc_u32 v13, s14, v1
	s_delay_alu instid0(VALU_DEP_1) | instskip(NEXT) | instid1(VALU_DEP_1)
	v_lshlrev_b64 v[1:2], 2, v[13:14]
	v_add_co_u32 v1, vcc_lo, s8, v1
	s_delay_alu instid0(VALU_DEP_2) | instskip(SKIP_3) | instid1(VALU_DEP_1)
	v_add_co_ci_u32_e32 v2, vcc_lo, s9, v2, vcc_lo
	global_load_b32 v1, v[1:2], off
	s_waitcnt vmcnt(0)
	v_ashrrev_i32_e32 v2, 31, v1
	v_lshlrev_b64 v[1:2], 2, v[1:2]
	s_delay_alu instid0(VALU_DEP_1) | instskip(NEXT) | instid1(VALU_DEP_2)
	v_add_co_u32 v1, vcc_lo, s0, v1
	v_add_co_ci_u32_e32 v2, vcc_lo, s1, v2, vcc_lo
	global_load_b64 v[15:16], v[1:2], off
	v_mov_b32_e32 v1, 0
	v_mov_b32_e32 v2, 0
	s_waitcnt vmcnt(0)
	v_sub_nc_u32_e32 v3, v16, v15
	s_delay_alu instid0(VALU_DEP_1) | instskip(NEXT) | instid1(VALU_DEP_3)
	v_cmp_lt_u32_e32 vcc_lo, v18, v3
	v_dual_mov_b32 v4, v2 :: v_dual_mov_b32 v3, v1
	s_and_saveexec_b32 s20, vcc_lo
	s_cbranch_execz .LBB207_18
; %bb.17:
	v_add_nc_u32_e32 v13, v15, v17
	s_delay_alu instid0(VALU_DEP_1) | instskip(NEXT) | instid1(VALU_DEP_1)
	v_lshlrev_b64 v[1:2], 2, v[13:14]
	v_add_co_u32 v1, vcc_lo, s2, v1
	s_delay_alu instid0(VALU_DEP_2) | instskip(SKIP_2) | instid1(VALU_DEP_1)
	v_add_co_ci_u32_e32 v2, vcc_lo, s3, v2, vcc_lo
	global_load_b32 v3, v[1:2], off
	v_lshlrev_b64 v[1:2], 3, v[13:14]
	v_add_co_u32 v1, vcc_lo, s4, v1
	s_delay_alu instid0(VALU_DEP_2) | instskip(SKIP_3) | instid1(VALU_DEP_1)
	v_add_co_ci_u32_e32 v2, vcc_lo, s5, v2, vcc_lo
	global_load_b64 v[1:2], v[1:2], off
	s_waitcnt vmcnt(1)
	v_subrev_nc_u32_e32 v3, s16, v3
	v_ashrrev_i32_e32 v4, 31, v3
	s_delay_alu instid0(VALU_DEP_1) | instskip(SKIP_3) | instid1(VALU_DEP_3)
	v_lshlrev_b64 v[3:4], 4, v[3:4]
	s_waitcnt vmcnt(0)
	v_cndmask_b32_e64 v2, v2, -v2, s18
	v_cvt_f64_f32_e32 v[19:20], v1
	v_add_co_u32 v3, vcc_lo, s6, v3
	s_delay_alu instid0(VALU_DEP_4) | instskip(SKIP_2) | instid1(VALU_DEP_1)
	v_add_co_ci_u32_e32 v4, vcc_lo, s7, v4, vcc_lo
	global_load_b128 v[13:16], v[3:4], off
	v_cvt_f64_f32_e32 v[2:3], v2
	v_mul_f64 v[21:22], v[9:10], v[2:3]
	v_mul_f64 v[1:2], -v[11:12], v[2:3]
	s_delay_alu instid0(VALU_DEP_2) | instskip(NEXT) | instid1(VALU_DEP_2)
	v_fma_f64 v[3:4], v[11:12], v[19:20], v[21:22]
	v_fma_f64 v[1:2], v[9:10], v[19:20], v[1:2]
	s_waitcnt vmcnt(0)
	s_delay_alu instid0(VALU_DEP_2) | instskip(NEXT) | instid1(VALU_DEP_2)
	v_mul_f64 v[19:20], v[15:16], -v[3:4]
	v_mul_f64 v[15:16], v[15:16], v[1:2]
	s_delay_alu instid0(VALU_DEP_2) | instskip(NEXT) | instid1(VALU_DEP_2)
	v_fma_f64 v[1:2], v[1:2], v[13:14], v[19:20]
	v_fma_f64 v[3:4], v[3:4], v[13:14], v[15:16]
.LBB207_18:
	s_or_b32 exec_lo, exec_lo, s20
	v_lshlrev_b32_e32 v13, 4, v0
	ds_store_b128 v13, v[1:4] offset:8192
.LBB207_19:
	s_or_b32 exec_lo, exec_lo, s19
	v_or_b32_e32 v1, 0x300, v0
	s_mov_b32 s19, exec_lo
	s_delay_alu instid0(VALU_DEP_1) | instskip(NEXT) | instid1(VALU_DEP_1)
	v_lshrrev_b32_e32 v1, s12, v1
	v_add_nc_u32_e32 v1, s15, v1
	s_delay_alu instid0(VALU_DEP_1)
	v_cmpx_gt_u32_e64 s17, v1
	s_cbranch_execz .LBB207_23
; %bb.20:
	v_dual_mov_b32 v14, 0 :: v_dual_add_nc_u32 v13, s14, v1
	s_delay_alu instid0(VALU_DEP_1) | instskip(NEXT) | instid1(VALU_DEP_1)
	v_lshlrev_b64 v[1:2], 2, v[13:14]
	v_add_co_u32 v1, vcc_lo, s8, v1
	s_delay_alu instid0(VALU_DEP_2) | instskip(SKIP_3) | instid1(VALU_DEP_1)
	v_add_co_ci_u32_e32 v2, vcc_lo, s9, v2, vcc_lo
	global_load_b32 v1, v[1:2], off
	s_waitcnt vmcnt(0)
	v_ashrrev_i32_e32 v2, 31, v1
	v_lshlrev_b64 v[1:2], 2, v[1:2]
	s_delay_alu instid0(VALU_DEP_1) | instskip(NEXT) | instid1(VALU_DEP_2)
	v_add_co_u32 v1, vcc_lo, s0, v1
	v_add_co_ci_u32_e32 v2, vcc_lo, s1, v2, vcc_lo
	global_load_b64 v[15:16], v[1:2], off
	v_mov_b32_e32 v1, 0
	v_mov_b32_e32 v2, 0
	s_waitcnt vmcnt(0)
	v_sub_nc_u32_e32 v3, v16, v15
	s_delay_alu instid0(VALU_DEP_1) | instskip(NEXT) | instid1(VALU_DEP_3)
	v_cmp_lt_u32_e32 vcc_lo, v18, v3
	v_dual_mov_b32 v4, v2 :: v_dual_mov_b32 v3, v1
	s_and_saveexec_b32 s0, vcc_lo
	s_cbranch_execz .LBB207_22
; %bb.21:
	v_add_nc_u32_e32 v13, v15, v17
	s_delay_alu instid0(VALU_DEP_1) | instskip(NEXT) | instid1(VALU_DEP_1)
	v_lshlrev_b64 v[1:2], 2, v[13:14]
	v_add_co_u32 v1, vcc_lo, s2, v1
	s_delay_alu instid0(VALU_DEP_2) | instskip(SKIP_2) | instid1(VALU_DEP_1)
	v_add_co_ci_u32_e32 v2, vcc_lo, s3, v2, vcc_lo
	global_load_b32 v3, v[1:2], off
	v_lshlrev_b64 v[1:2], 3, v[13:14]
	v_add_co_u32 v1, vcc_lo, s4, v1
	s_delay_alu instid0(VALU_DEP_2) | instskip(SKIP_3) | instid1(VALU_DEP_1)
	v_add_co_ci_u32_e32 v2, vcc_lo, s5, v2, vcc_lo
	global_load_b64 v[1:2], v[1:2], off
	s_waitcnt vmcnt(1)
	v_subrev_nc_u32_e32 v3, s16, v3
	v_ashrrev_i32_e32 v4, 31, v3
	s_delay_alu instid0(VALU_DEP_1) | instskip(SKIP_3) | instid1(VALU_DEP_3)
	v_lshlrev_b64 v[3:4], 4, v[3:4]
	s_waitcnt vmcnt(0)
	v_cndmask_b32_e64 v2, v2, -v2, s18
	v_cvt_f64_f32_e32 v[17:18], v1
	v_add_co_u32 v3, vcc_lo, s6, v3
	s_delay_alu instid0(VALU_DEP_4) | instskip(SKIP_2) | instid1(VALU_DEP_1)
	v_add_co_ci_u32_e32 v4, vcc_lo, s7, v4, vcc_lo
	global_load_b128 v[13:16], v[3:4], off
	v_cvt_f64_f32_e32 v[2:3], v2
	v_mul_f64 v[19:20], v[9:10], v[2:3]
	v_mul_f64 v[1:2], -v[11:12], v[2:3]
	s_delay_alu instid0(VALU_DEP_2) | instskip(NEXT) | instid1(VALU_DEP_2)
	v_fma_f64 v[3:4], v[11:12], v[17:18], v[19:20]
	v_fma_f64 v[1:2], v[9:10], v[17:18], v[1:2]
	s_waitcnt vmcnt(0)
	s_delay_alu instid0(VALU_DEP_2) | instskip(NEXT) | instid1(VALU_DEP_2)
	v_mul_f64 v[9:10], v[15:16], -v[3:4]
	v_mul_f64 v[11:12], v[15:16], v[1:2]
	s_delay_alu instid0(VALU_DEP_2) | instskip(NEXT) | instid1(VALU_DEP_2)
	v_fma_f64 v[1:2], v[1:2], v[13:14], v[9:10]
	v_fma_f64 v[3:4], v[3:4], v[13:14], v[11:12]
.LBB207_22:
	s_or_b32 exec_lo, exec_lo, s0
	v_lshlrev_b32_e32 v9, 4, v0
	ds_store_b128 v9, v[1:4] offset:12288
.LBB207_23:
	s_or_b32 exec_lo, exec_lo, s19
	s_cmp_lt_u32 s12, 11
	s_waitcnt vmcnt(0) lgkmcnt(0)
	s_waitcnt_vscnt null, 0x0
	s_barrier
	buffer_gl0_inv
	s_cbranch_scc0 .LBB207_32
; %bb.24:
	v_cmp_neq_f64_e32 vcc_lo, 0, v[5:6]
	v_cmp_neq_f64_e64 s0, 0, v[7:8]
	v_mov_b32_e32 v10, 0
	s_sub_i32 s1, s17, s15
	s_add_i32 s14, s14, s15
	s_mov_b32 s2, 0
	s_delay_alu instid0(VALU_DEP_2)
	s_or_b32 s0, vcc_lo, s0
	s_branch .LBB207_27
.LBB207_25:                             ;   in Loop: Header=BB207_27 Depth=1
	s_or_b32 exec_lo, exec_lo, s4
	s_delay_alu instid0(VALU_DEP_1) | instskip(NEXT) | instid1(VALU_DEP_2)
	v_add_co_u32 v11, vcc_lo, s10, v11
	v_add_co_ci_u32_e32 v12, vcc_lo, s11, v12, vcc_lo
	global_store_b128 v[11:12], v[1:4], off
.LBB207_26:                             ;   in Loop: Header=BB207_27 Depth=1
	s_or_b32 exec_lo, exec_lo, s3
	s_addk_i32 s2, 0x100
	s_delay_alu instid0(SALU_CYCLE_1)
	s_cmp_lt_u32 s2, s13
	s_cbranch_scc0 .LBB207_32
.LBB207_27:                             ; =>This Loop Header: Depth=1
                                        ;     Child Loop BB207_29 Depth 2
	v_add_nc_u32_e32 v1, s2, v0
	s_mov_b32 s3, exec_lo
	s_delay_alu instid0(VALU_DEP_1)
	v_cmpx_gt_u32_e64 s1, v1
	s_cbranch_execz .LBB207_26
; %bb.28:                               ;   in Loop: Header=BB207_27 Depth=1
	v_add_nc_u32_e32 v9, s14, v1
	s_mov_b32 s4, 1
	s_delay_alu instid0(VALU_DEP_1) | instskip(NEXT) | instid1(VALU_DEP_1)
	v_lshlrev_b64 v[2:3], 2, v[9:10]
	v_add_co_u32 v2, vcc_lo, s8, v2
	s_delay_alu instid0(VALU_DEP_2) | instskip(SKIP_3) | instid1(VALU_DEP_1)
	v_add_co_ci_u32_e32 v3, vcc_lo, s9, v3, vcc_lo
	global_load_b32 v11, v[2:3], off
	v_mov_b32_e32 v3, 0
	v_dual_mov_b32 v4, 0 :: v_dual_lshlrev_b32 v1, s12, v1
	v_lshlrev_b32_e32 v9, 4, v1
	s_delay_alu instid0(VALU_DEP_2)
	v_dual_mov_b32 v1, v3 :: v_dual_mov_b32 v2, v4
.LBB207_29:                             ;   Parent Loop BB207_27 Depth=1
                                        ; =>  This Inner Loop Header: Depth=2
	ds_load_b128 v[12:15], v9
	v_add_nc_u32_e32 v9, 16, v9
	s_lshr_b32 s5, s4, s12
	s_add_i32 s4, s4, 1
	s_cmp_lg_u32 s5, 0
	s_waitcnt lgkmcnt(0)
	v_add_f64 v[1:2], v[1:2], v[12:13]
	v_add_f64 v[3:4], v[3:4], v[14:15]
	s_cbranch_scc0 .LBB207_29
; %bb.30:                               ;   in Loop: Header=BB207_27 Depth=1
	s_waitcnt vmcnt(0)
	v_ashrrev_i32_e32 v12, 31, v11
	s_delay_alu instid0(VALU_DEP_1)
	v_lshlrev_b64 v[11:12], 4, v[11:12]
	s_and_saveexec_b32 s4, s0
	s_cbranch_execz .LBB207_25
; %bb.31:                               ;   in Loop: Header=BB207_27 Depth=1
	s_delay_alu instid0(VALU_DEP_1) | instskip(NEXT) | instid1(VALU_DEP_2)
	v_add_co_u32 v13, vcc_lo, s10, v11
	v_add_co_ci_u32_e32 v14, vcc_lo, s11, v12, vcc_lo
	global_load_b128 v[13:16], v[13:14], off
	s_waitcnt vmcnt(0)
	v_fma_f64 v[1:2], v[5:6], v[13:14], v[1:2]
	v_fma_f64 v[3:4], v[7:8], v[13:14], v[3:4]
	s_delay_alu instid0(VALU_DEP_2) | instskip(NEXT) | instid1(VALU_DEP_2)
	v_fma_f64 v[1:2], -v[7:8], v[15:16], v[1:2]
	v_fma_f64 v[3:4], v[5:6], v[15:16], v[3:4]
	s_branch .LBB207_25
.LBB207_32:
	s_endpgm
	.section	.rodata,"a",@progbits
	.p2align	6, 0x0
	.amdhsa_kernel _ZN9rocsparseL30csrmvn_lrb_short_rows_2_kernelIii21rocsparse_complex_numIfES1_IdES3_S3_EEvbT_PT0_S6_jNS_24const_host_device_scalarIT4_EEPKS4_PKS5_PKT1_PKT2_S9_PT3_21rocsparse_index_base_b
		.amdhsa_group_segment_fixed_size 16384
		.amdhsa_private_segment_fixed_size 24
		.amdhsa_kernarg_size 112
		.amdhsa_user_sgpr_count 15
		.amdhsa_user_sgpr_dispatch_ptr 0
		.amdhsa_user_sgpr_queue_ptr 0
		.amdhsa_user_sgpr_kernarg_segment_ptr 1
		.amdhsa_user_sgpr_dispatch_id 0
		.amdhsa_user_sgpr_private_segment_size 0
		.amdhsa_wavefront_size32 1
		.amdhsa_uses_dynamic_stack 0
		.amdhsa_enable_private_segment 1
		.amdhsa_system_sgpr_workgroup_id_x 1
		.amdhsa_system_sgpr_workgroup_id_y 0
		.amdhsa_system_sgpr_workgroup_id_z 0
		.amdhsa_system_sgpr_workgroup_info 0
		.amdhsa_system_vgpr_workitem_id 0
		.amdhsa_next_free_vgpr 23
		.amdhsa_next_free_sgpr 21
		.amdhsa_reserve_vcc 1
		.amdhsa_float_round_mode_32 0
		.amdhsa_float_round_mode_16_64 0
		.amdhsa_float_denorm_mode_32 3
		.amdhsa_float_denorm_mode_16_64 3
		.amdhsa_dx10_clamp 1
		.amdhsa_ieee_mode 1
		.amdhsa_fp16_overflow 0
		.amdhsa_workgroup_processor_mode 1
		.amdhsa_memory_ordered 1
		.amdhsa_forward_progress 0
		.amdhsa_shared_vgpr_count 0
		.amdhsa_exception_fp_ieee_invalid_op 0
		.amdhsa_exception_fp_denorm_src 0
		.amdhsa_exception_fp_ieee_div_zero 0
		.amdhsa_exception_fp_ieee_overflow 0
		.amdhsa_exception_fp_ieee_underflow 0
		.amdhsa_exception_fp_ieee_inexact 0
		.amdhsa_exception_int_div_zero 0
	.end_amdhsa_kernel
	.section	.text._ZN9rocsparseL30csrmvn_lrb_short_rows_2_kernelIii21rocsparse_complex_numIfES1_IdES3_S3_EEvbT_PT0_S6_jNS_24const_host_device_scalarIT4_EEPKS4_PKS5_PKT1_PKT2_S9_PT3_21rocsparse_index_base_b,"axG",@progbits,_ZN9rocsparseL30csrmvn_lrb_short_rows_2_kernelIii21rocsparse_complex_numIfES1_IdES3_S3_EEvbT_PT0_S6_jNS_24const_host_device_scalarIT4_EEPKS4_PKS5_PKT1_PKT2_S9_PT3_21rocsparse_index_base_b,comdat
.Lfunc_end207:
	.size	_ZN9rocsparseL30csrmvn_lrb_short_rows_2_kernelIii21rocsparse_complex_numIfES1_IdES3_S3_EEvbT_PT0_S6_jNS_24const_host_device_scalarIT4_EEPKS4_PKS5_PKT1_PKT2_S9_PT3_21rocsparse_index_base_b, .Lfunc_end207-_ZN9rocsparseL30csrmvn_lrb_short_rows_2_kernelIii21rocsparse_complex_numIfES1_IdES3_S3_EEvbT_PT0_S6_jNS_24const_host_device_scalarIT4_EEPKS4_PKS5_PKT1_PKT2_S9_PT3_21rocsparse_index_base_b
                                        ; -- End function
	.section	.AMDGPU.csdata,"",@progbits
; Kernel info:
; codeLenInByte = 2420
; NumSgprs: 23
; NumVgprs: 23
; ScratchSize: 24
; MemoryBound: 0
; FloatMode: 240
; IeeeMode: 1
; LDSByteSize: 16384 bytes/workgroup (compile time only)
; SGPRBlocks: 2
; VGPRBlocks: 2
; NumSGPRsForWavesPerEU: 23
; NumVGPRsForWavesPerEU: 23
; Occupancy: 16
; WaveLimiterHint : 1
; COMPUTE_PGM_RSRC2:SCRATCH_EN: 1
; COMPUTE_PGM_RSRC2:USER_SGPR: 15
; COMPUTE_PGM_RSRC2:TRAP_HANDLER: 0
; COMPUTE_PGM_RSRC2:TGID_X_EN: 1
; COMPUTE_PGM_RSRC2:TGID_Y_EN: 0
; COMPUTE_PGM_RSRC2:TGID_Z_EN: 0
; COMPUTE_PGM_RSRC2:TIDIG_COMP_CNT: 0
	.section	.text._ZN9rocsparseL41csrmvn_lrb_medium_rows_warp_reduce_kernelILj256ELj32Eii21rocsparse_complex_numIfES1_IdES3_S3_EEvbT1_lPT2_S6_jNS_24const_host_device_scalarIT6_EEPKS4_PKS5_PKT3_PKT4_S9_PT5_21rocsparse_index_base_b,"axG",@progbits,_ZN9rocsparseL41csrmvn_lrb_medium_rows_warp_reduce_kernelILj256ELj32Eii21rocsparse_complex_numIfES1_IdES3_S3_EEvbT1_lPT2_S6_jNS_24const_host_device_scalarIT6_EEPKS4_PKS5_PKT3_PKT4_S9_PT5_21rocsparse_index_base_b,comdat
	.globl	_ZN9rocsparseL41csrmvn_lrb_medium_rows_warp_reduce_kernelILj256ELj32Eii21rocsparse_complex_numIfES1_IdES3_S3_EEvbT1_lPT2_S6_jNS_24const_host_device_scalarIT6_EEPKS4_PKS5_PKT3_PKT4_S9_PT5_21rocsparse_index_base_b ; -- Begin function _ZN9rocsparseL41csrmvn_lrb_medium_rows_warp_reduce_kernelILj256ELj32Eii21rocsparse_complex_numIfES1_IdES3_S3_EEvbT1_lPT2_S6_jNS_24const_host_device_scalarIT6_EEPKS4_PKS5_PKT3_PKT4_S9_PT5_21rocsparse_index_base_b
	.p2align	8
	.type	_ZN9rocsparseL41csrmvn_lrb_medium_rows_warp_reduce_kernelILj256ELj32Eii21rocsparse_complex_numIfES1_IdES3_S3_EEvbT1_lPT2_S6_jNS_24const_host_device_scalarIT6_EEPKS4_PKS5_PKT3_PKT4_S9_PT5_21rocsparse_index_base_b,@function
_ZN9rocsparseL41csrmvn_lrb_medium_rows_warp_reduce_kernelILj256ELj32Eii21rocsparse_complex_numIfES1_IdES3_S3_EEvbT1_lPT2_S6_jNS_24const_host_device_scalarIT6_EEPKS4_PKS5_PKT3_PKT4_S9_PT5_21rocsparse_index_base_b: ; @_ZN9rocsparseL41csrmvn_lrb_medium_rows_warp_reduce_kernelILj256ELj32Eii21rocsparse_complex_numIfES1_IdES3_S3_EEvbT1_lPT2_S6_jNS_24const_host_device_scalarIT6_EEPKS4_PKS5_PKT3_PKT4_S9_PT5_21rocsparse_index_base_b
; %bb.0:
	s_clause 0x1
	s_load_b64 s[12:13], s[2:3], 0x70
	s_load_b128 s[4:7], s[2:3], 0x28
	s_load_b64 s[16:17], s[0:1], 0x4
	s_mov_b64 s[0:1], src_shared_base
	v_and_b32_e32 v10, 0x3ff, v0
	s_load_b128 s[8:11], s[2:3], 0x58
	v_bfe_u32 v2, v0, 10, 10
	v_bfe_u32 v0, v0, 20, 10
	s_waitcnt lgkmcnt(0)
	s_bitcmp1_b32 s13, 0
	s_cselect_b32 s0, -1, 0
	s_delay_alu instid0(SALU_CYCLE_1) | instskip(SKIP_4) | instid1(SALU_CYCLE_1)
	s_and_b32 vcc_lo, s0, exec_lo
	s_cselect_b32 s13, s1, s5
	s_lshr_b32 s14, s16, 16
	v_mov_b32_e32 v6, s13
	s_mul_i32 s14, s14, s17
	v_mul_lo_u32 v1, s14, v10
	s_delay_alu instid0(VALU_DEP_1) | instskip(SKIP_1) | instid1(VALU_DEP_2)
	v_mad_u32_u24 v1, v2, s17, v1
	v_dual_mov_b32 v2, s8 :: v_dual_mov_b32 v3, s9
	v_add_lshl_u32 v4, v1, v0, 3
	v_dual_mov_b32 v0, s4 :: v_dual_mov_b32 v1, s5
	s_delay_alu instid0(VALU_DEP_2)
	v_add_nc_u32_e32 v5, 0x800, v4
	ds_store_2addr_stride64_b64 v4, v[2:3], v[0:1] offset1:4
	v_dual_mov_b32 v2, s6 :: v_dual_mov_b32 v3, s7
	v_cndmask_b32_e64 v5, s4, v5, s0
	s_xor_b32 s6, s0, -1
	flat_load_b64 v[0:1], v[5:6]
	s_cbranch_vccnz .LBB208_2
; %bb.1:
	v_dual_mov_b32 v2, s4 :: v_dual_mov_b32 v3, s5
	flat_load_b64 v[2:3], v[2:3] offset:8
.LBB208_2:
	s_and_b32 s4, s0, exec_lo
	s_cselect_b32 s1, s1, s9
	v_cndmask_b32_e64 v4, s8, v4, s0
	v_dual_mov_b32 v5, s1 :: v_dual_mov_b32 v6, s10
	v_mov_b32_e32 v7, s11
	s_and_not1_b32 vcc_lo, exec_lo, s6
	flat_load_b64 v[4:5], v[4:5]
	s_cbranch_vccnz .LBB208_4
; %bb.3:
	v_dual_mov_b32 v6, s8 :: v_dual_mov_b32 v7, s9
	flat_load_b64 v[6:7], v[6:7] offset:8
.LBB208_4:
	s_waitcnt vmcnt(1) lgkmcnt(1)
	v_cmp_eq_f64_e32 vcc_lo, 0, v[0:1]
	v_cmp_eq_f64_e64 s0, 0, v[2:3]
	s_delay_alu instid0(VALU_DEP_1)
	s_and_b32 s4, vcc_lo, s0
	s_mov_b32 s0, -1
	s_and_saveexec_b32 s1, s4
	s_cbranch_execz .LBB208_6
; %bb.5:
	s_waitcnt vmcnt(0) lgkmcnt(0)
	v_cmp_neq_f64_e32 vcc_lo, 1.0, v[4:5]
	v_cmp_neq_f64_e64 s0, 0, v[6:7]
	s_delay_alu instid0(VALU_DEP_1) | instskip(NEXT) | instid1(SALU_CYCLE_1)
	s_or_b32 s0, vcc_lo, s0
	s_or_not1_b32 s0, s0, exec_lo
.LBB208_6:
	s_or_b32 exec_lo, exec_lo, s1
	s_and_saveexec_b32 s1, s0
	s_cbranch_execz .LBB208_16
; %bb.7:
	s_load_b64 s[0:1], s[2:3], 0x8
	v_lshrrev_b32_e32 v8, 5, v10
	s_delay_alu instid0(VALU_DEP_1) | instskip(NEXT) | instid1(VALU_DEP_1)
	v_lshl_or_b32 v8, s15, 3, v8
	v_ashrrev_i32_e32 v9, 31, v8
	s_waitcnt lgkmcnt(0)
	s_delay_alu instid0(VALU_DEP_1)
	v_cmp_gt_i64_e32 vcc_lo, s[0:1], v[8:9]
	s_and_b32 exec_lo, exec_lo, vcc_lo
	s_cbranch_execz .LBB208_16
; %bb.8:
	s_clause 0x1
	s_load_b32 s0, s[2:3], 0x20
	s_load_b128 s[4:7], s[2:3], 0x10
	s_mov_b32 s1, 0
	v_and_b32_e32 v16, 31, v10
	s_delay_alu instid0(VALU_DEP_1) | instskip(SKIP_2) | instid1(SALU_CYCLE_1)
	v_subrev_nc_u32_e32 v14, s12, v16
	s_waitcnt lgkmcnt(0)
	s_lshl_b64 s[8:9], s[0:1], 2
	s_add_u32 s6, s6, s8
	s_addc_u32 s7, s7, s9
	s_load_b64 s[8:9], s[2:3], 0x68
	s_load_b32 s0, s[6:7], 0x0
	s_waitcnt lgkmcnt(0)
	v_add_nc_u32_e32 v8, s0, v8
	s_mov_b32 s0, exec_lo
	s_delay_alu instid0(VALU_DEP_1) | instskip(NEXT) | instid1(VALU_DEP_1)
	v_ashrrev_i32_e32 v9, 31, v8
	v_lshlrev_b64 v[8:9], 2, v[8:9]
	s_delay_alu instid0(VALU_DEP_1) | instskip(NEXT) | instid1(VALU_DEP_2)
	v_add_co_u32 v8, vcc_lo, s4, v8
	v_add_co_ci_u32_e32 v9, vcc_lo, s5, v9, vcc_lo
	s_load_b64 s[4:5], s[2:3], 0x38
	global_load_b32 v8, v[8:9], off
	s_waitcnt vmcnt(0)
	v_ashrrev_i32_e32 v9, 31, v8
	s_delay_alu instid0(VALU_DEP_1) | instskip(SKIP_1) | instid1(VALU_DEP_1)
	v_lshlrev_b64 v[11:12], 2, v[8:9]
	s_waitcnt lgkmcnt(0)
	v_add_co_u32 v11, vcc_lo, s4, v11
	s_delay_alu instid0(VALU_DEP_2)
	v_add_co_ci_u32_e32 v12, vcc_lo, s5, v12, vcc_lo
	global_load_b64 v[12:13], v[11:12], off
	v_mov_b32_e32 v10, 0
	v_mov_b32_e32 v11, 0
	s_waitcnt vmcnt(0)
	v_subrev_nc_u32_e32 v17, s12, v13
	s_delay_alu instid0(VALU_DEP_2) | instskip(SKIP_1) | instid1(VALU_DEP_2)
	v_dual_mov_b32 v13, v11 :: v_dual_add_nc_u32 v14, v12, v14
	v_mov_b32_e32 v12, v10
	v_cmpx_lt_i32_e64 v14, v17
	s_cbranch_execz .LBB208_12
; %bb.9:
	s_clause 0x2
	s_load_b32 s10, s[2:3], 0x0
	s_load_b128 s[4:7], s[2:3], 0x40
	s_load_b64 s[2:3], s[2:3], 0x50
	v_mov_b32_e32 v10, 0
	v_mov_b32_e32 v11, 0
	s_delay_alu instid0(VALU_DEP_1)
	v_dual_mov_b32 v13, v11 :: v_dual_mov_b32 v12, v10
	s_waitcnt lgkmcnt(0)
	s_bitcmp1_b32 s10, 0
	s_cselect_b32 s10, -1, 0
.LBB208_10:                             ; =>This Inner Loop Header: Depth=1
	v_ashrrev_i32_e32 v15, 31, v14
	s_delay_alu instid0(VALU_DEP_1) | instskip(NEXT) | instid1(VALU_DEP_1)
	v_lshlrev_b64 v[18:19], 2, v[14:15]
	v_add_co_u32 v18, vcc_lo, s4, v18
	s_delay_alu instid0(VALU_DEP_2) | instskip(SKIP_3) | instid1(VALU_DEP_2)
	v_add_co_ci_u32_e32 v19, vcc_lo, s5, v19, vcc_lo
	global_load_b32 v20, v[18:19], off
	v_lshlrev_b64 v[18:19], 3, v[14:15]
	v_add_nc_u32_e32 v14, 32, v14
	v_add_co_u32 v18, vcc_lo, s6, v18
	s_delay_alu instid0(VALU_DEP_3) | instskip(SKIP_3) | instid1(VALU_DEP_1)
	v_add_co_ci_u32_e32 v19, vcc_lo, s7, v19, vcc_lo
	global_load_b64 v[22:23], v[18:19], off
	s_waitcnt vmcnt(1)
	v_subrev_nc_u32_e32 v18, s12, v20
	v_ashrrev_i32_e32 v19, 31, v18
	s_delay_alu instid0(VALU_DEP_1) | instskip(SKIP_3) | instid1(VALU_DEP_3)
	v_lshlrev_b64 v[18:19], 4, v[18:19]
	s_waitcnt vmcnt(0)
	v_cndmask_b32_e64 v15, v23, -v23, s10
	v_cvt_f64_f32_e32 v[25:26], v22
	v_add_co_u32 v18, vcc_lo, s2, v18
	s_delay_alu instid0(VALU_DEP_4) | instskip(NEXT) | instid1(VALU_DEP_4)
	v_add_co_ci_u32_e32 v19, vcc_lo, s3, v19, vcc_lo
	v_cvt_f64_f32_e32 v[23:24], v15
	v_cmp_ge_i32_e32 vcc_lo, v14, v17
	global_load_b128 v[18:21], v[18:19], off
	s_or_b32 s1, vcc_lo, s1
	v_mul_f64 v[27:28], -v[2:3], v[23:24]
	v_mul_f64 v[22:23], v[0:1], v[23:24]
	s_delay_alu instid0(VALU_DEP_2) | instskip(NEXT) | instid1(VALU_DEP_2)
	v_fma_f64 v[27:28], v[0:1], v[25:26], v[27:28]
	v_fma_f64 v[22:23], v[2:3], v[25:26], v[22:23]
	s_waitcnt vmcnt(0)
	s_delay_alu instid0(VALU_DEP_2) | instskip(NEXT) | instid1(VALU_DEP_2)
	v_fma_f64 v[12:13], v[27:28], v[18:19], v[12:13]
	v_fma_f64 v[10:11], v[22:23], v[18:19], v[10:11]
	s_delay_alu instid0(VALU_DEP_2) | instskip(NEXT) | instid1(VALU_DEP_2)
	v_fma_f64 v[12:13], -v[22:23], v[20:21], v[12:13]
	v_fma_f64 v[10:11], v[27:28], v[20:21], v[10:11]
	s_and_not1_b32 exec_lo, exec_lo, s1
	s_cbranch_execnz .LBB208_10
; %bb.11:
	s_or_b32 exec_lo, exec_lo, s1
.LBB208_12:
	s_delay_alu instid0(SALU_CYCLE_1) | instskip(SKIP_1) | instid1(VALU_DEP_1)
	s_or_b32 exec_lo, exec_lo, s0
	v_mbcnt_lo_u32_b32 v14, -1, 0
	v_xor_b32_e32 v0, 16, v14
	s_delay_alu instid0(VALU_DEP_1) | instskip(SKIP_1) | instid1(VALU_DEP_1)
	v_cmp_gt_i32_e32 vcc_lo, 32, v0
	v_cndmask_b32_e32 v0, v14, v0, vcc_lo
	v_lshlrev_b32_e32 v3, 2, v0
	ds_bpermute_b32 v0, v3, v12
	ds_bpermute_b32 v1, v3, v13
	;; [unrolled: 1-line block ×4, first 2 shown]
	s_waitcnt lgkmcnt(2)
	v_add_f64 v[0:1], v[12:13], v[0:1]
	s_waitcnt lgkmcnt(0)
	v_add_f64 v[2:3], v[10:11], v[2:3]
	v_xor_b32_e32 v10, 8, v14
	s_delay_alu instid0(VALU_DEP_1) | instskip(SKIP_1) | instid1(VALU_DEP_1)
	v_cmp_gt_i32_e32 vcc_lo, 32, v10
	v_cndmask_b32_e32 v10, v14, v10, vcc_lo
	v_lshlrev_b32_e32 v13, 2, v10
	ds_bpermute_b32 v10, v13, v0
	ds_bpermute_b32 v11, v13, v1
	;; [unrolled: 1-line block ×4, first 2 shown]
	s_waitcnt lgkmcnt(2)
	v_add_f64 v[0:1], v[0:1], v[10:11]
	v_xor_b32_e32 v10, 4, v14
	s_waitcnt lgkmcnt(0)
	v_add_f64 v[2:3], v[2:3], v[12:13]
	s_delay_alu instid0(VALU_DEP_2) | instskip(SKIP_1) | instid1(VALU_DEP_1)
	v_cmp_gt_i32_e32 vcc_lo, 32, v10
	v_cndmask_b32_e32 v10, v14, v10, vcc_lo
	v_lshlrev_b32_e32 v13, 2, v10
	ds_bpermute_b32 v10, v13, v0
	ds_bpermute_b32 v11, v13, v1
	;; [unrolled: 1-line block ×4, first 2 shown]
	s_waitcnt lgkmcnt(2)
	v_add_f64 v[0:1], v[0:1], v[10:11]
	v_xor_b32_e32 v10, 2, v14
	s_waitcnt lgkmcnt(0)
	v_add_f64 v[2:3], v[2:3], v[12:13]
	s_delay_alu instid0(VALU_DEP_2) | instskip(SKIP_1) | instid1(VALU_DEP_1)
	v_cmp_gt_i32_e32 vcc_lo, 32, v10
	v_cndmask_b32_e32 v10, v14, v10, vcc_lo
	v_lshlrev_b32_e32 v13, 2, v10
	ds_bpermute_b32 v10, v13, v0
	ds_bpermute_b32 v11, v13, v1
	;; [unrolled: 1-line block ×4, first 2 shown]
	s_waitcnt lgkmcnt(2)
	v_add_f64 v[0:1], v[0:1], v[10:11]
	v_xor_b32_e32 v10, 1, v14
	s_waitcnt lgkmcnt(0)
	v_add_f64 v[2:3], v[2:3], v[12:13]
	s_delay_alu instid0(VALU_DEP_2) | instskip(SKIP_2) | instid1(VALU_DEP_2)
	v_cmp_gt_i32_e32 vcc_lo, 32, v10
	v_cndmask_b32_e32 v10, v14, v10, vcc_lo
	v_cmp_eq_u32_e32 vcc_lo, 31, v16
	v_lshlrev_b32_e32 v13, 2, v10
	ds_bpermute_b32 v10, v13, v0
	ds_bpermute_b32 v11, v13, v1
	;; [unrolled: 1-line block ×4, first 2 shown]
	s_and_b32 exec_lo, exec_lo, vcc_lo
	s_cbranch_execz .LBB208_16
; %bb.13:
	v_cmp_neq_f64_e32 vcc_lo, 0, v[4:5]
	v_cmp_neq_f64_e64 s0, 0, v[6:7]
	s_waitcnt lgkmcnt(2)
	v_add_f64 v[0:1], v[0:1], v[10:11]
	s_waitcnt lgkmcnt(0)
	v_add_f64 v[2:3], v[2:3], v[12:13]
	v_lshlrev_b64 v[8:9], 4, v[8:9]
	s_delay_alu instid0(VALU_DEP_4) | instskip(NEXT) | instid1(SALU_CYCLE_1)
	s_or_b32 s1, vcc_lo, s0
	s_and_saveexec_b32 s0, s1
	s_cbranch_execz .LBB208_15
; %bb.14:
	s_delay_alu instid0(VALU_DEP_1) | instskip(NEXT) | instid1(VALU_DEP_2)
	v_add_co_u32 v10, vcc_lo, s8, v8
	v_add_co_ci_u32_e32 v11, vcc_lo, s9, v9, vcc_lo
	global_load_b128 v[10:13], v[10:11], off
	s_waitcnt vmcnt(0)
	v_fma_f64 v[0:1], v[4:5], v[10:11], v[0:1]
	v_fma_f64 v[2:3], v[6:7], v[10:11], v[2:3]
	s_delay_alu instid0(VALU_DEP_2) | instskip(NEXT) | instid1(VALU_DEP_2)
	v_fma_f64 v[0:1], -v[6:7], v[12:13], v[0:1]
	v_fma_f64 v[2:3], v[4:5], v[12:13], v[2:3]
.LBB208_15:
	s_or_b32 exec_lo, exec_lo, s0
	s_delay_alu instid0(VALU_DEP_1)
	v_add_co_u32 v4, vcc_lo, s8, v8
	v_add_co_ci_u32_e32 v5, vcc_lo, s9, v9, vcc_lo
	global_store_b128 v[4:5], v[0:3], off
.LBB208_16:
	s_nop 0
	s_sendmsg sendmsg(MSG_DEALLOC_VGPRS)
	s_endpgm
	.section	.rodata,"a",@progbits
	.p2align	6, 0x0
	.amdhsa_kernel _ZN9rocsparseL41csrmvn_lrb_medium_rows_warp_reduce_kernelILj256ELj32Eii21rocsparse_complex_numIfES1_IdES3_S3_EEvbT1_lPT2_S6_jNS_24const_host_device_scalarIT6_EEPKS4_PKS5_PKT3_PKT4_S9_PT5_21rocsparse_index_base_b
		.amdhsa_group_segment_fixed_size 4096
		.amdhsa_private_segment_fixed_size 0
		.amdhsa_kernarg_size 120
		.amdhsa_user_sgpr_count 15
		.amdhsa_user_sgpr_dispatch_ptr 1
		.amdhsa_user_sgpr_queue_ptr 0
		.amdhsa_user_sgpr_kernarg_segment_ptr 1
		.amdhsa_user_sgpr_dispatch_id 0
		.amdhsa_user_sgpr_private_segment_size 0
		.amdhsa_wavefront_size32 1
		.amdhsa_uses_dynamic_stack 0
		.amdhsa_enable_private_segment 0
		.amdhsa_system_sgpr_workgroup_id_x 1
		.amdhsa_system_sgpr_workgroup_id_y 0
		.amdhsa_system_sgpr_workgroup_id_z 0
		.amdhsa_system_sgpr_workgroup_info 0
		.amdhsa_system_vgpr_workitem_id 2
		.amdhsa_next_free_vgpr 29
		.amdhsa_next_free_sgpr 18
		.amdhsa_reserve_vcc 1
		.amdhsa_float_round_mode_32 0
		.amdhsa_float_round_mode_16_64 0
		.amdhsa_float_denorm_mode_32 3
		.amdhsa_float_denorm_mode_16_64 3
		.amdhsa_dx10_clamp 1
		.amdhsa_ieee_mode 1
		.amdhsa_fp16_overflow 0
		.amdhsa_workgroup_processor_mode 1
		.amdhsa_memory_ordered 1
		.amdhsa_forward_progress 0
		.amdhsa_shared_vgpr_count 0
		.amdhsa_exception_fp_ieee_invalid_op 0
		.amdhsa_exception_fp_denorm_src 0
		.amdhsa_exception_fp_ieee_div_zero 0
		.amdhsa_exception_fp_ieee_overflow 0
		.amdhsa_exception_fp_ieee_underflow 0
		.amdhsa_exception_fp_ieee_inexact 0
		.amdhsa_exception_int_div_zero 0
	.end_amdhsa_kernel
	.section	.text._ZN9rocsparseL41csrmvn_lrb_medium_rows_warp_reduce_kernelILj256ELj32Eii21rocsparse_complex_numIfES1_IdES3_S3_EEvbT1_lPT2_S6_jNS_24const_host_device_scalarIT6_EEPKS4_PKS5_PKT3_PKT4_S9_PT5_21rocsparse_index_base_b,"axG",@progbits,_ZN9rocsparseL41csrmvn_lrb_medium_rows_warp_reduce_kernelILj256ELj32Eii21rocsparse_complex_numIfES1_IdES3_S3_EEvbT1_lPT2_S6_jNS_24const_host_device_scalarIT6_EEPKS4_PKS5_PKT3_PKT4_S9_PT5_21rocsparse_index_base_b,comdat
.Lfunc_end208:
	.size	_ZN9rocsparseL41csrmvn_lrb_medium_rows_warp_reduce_kernelILj256ELj32Eii21rocsparse_complex_numIfES1_IdES3_S3_EEvbT1_lPT2_S6_jNS_24const_host_device_scalarIT6_EEPKS4_PKS5_PKT3_PKT4_S9_PT5_21rocsparse_index_base_b, .Lfunc_end208-_ZN9rocsparseL41csrmvn_lrb_medium_rows_warp_reduce_kernelILj256ELj32Eii21rocsparse_complex_numIfES1_IdES3_S3_EEvbT1_lPT2_S6_jNS_24const_host_device_scalarIT6_EEPKS4_PKS5_PKT3_PKT4_S9_PT5_21rocsparse_index_base_b
                                        ; -- End function
	.section	.AMDGPU.csdata,"",@progbits
; Kernel info:
; codeLenInByte = 1468
; NumSgprs: 20
; NumVgprs: 29
; ScratchSize: 0
; MemoryBound: 0
; FloatMode: 240
; IeeeMode: 1
; LDSByteSize: 4096 bytes/workgroup (compile time only)
; SGPRBlocks: 2
; VGPRBlocks: 3
; NumSGPRsForWavesPerEU: 20
; NumVGPRsForWavesPerEU: 29
; Occupancy: 16
; WaveLimiterHint : 1
; COMPUTE_PGM_RSRC2:SCRATCH_EN: 0
; COMPUTE_PGM_RSRC2:USER_SGPR: 15
; COMPUTE_PGM_RSRC2:TRAP_HANDLER: 0
; COMPUTE_PGM_RSRC2:TGID_X_EN: 1
; COMPUTE_PGM_RSRC2:TGID_Y_EN: 0
; COMPUTE_PGM_RSRC2:TGID_Z_EN: 0
; COMPUTE_PGM_RSRC2:TIDIG_COMP_CNT: 2
	.section	.text._ZN9rocsparseL41csrmvn_lrb_medium_rows_warp_reduce_kernelILj256ELj64Eii21rocsparse_complex_numIfES1_IdES3_S3_EEvbT1_lPT2_S6_jNS_24const_host_device_scalarIT6_EEPKS4_PKS5_PKT3_PKT4_S9_PT5_21rocsparse_index_base_b,"axG",@progbits,_ZN9rocsparseL41csrmvn_lrb_medium_rows_warp_reduce_kernelILj256ELj64Eii21rocsparse_complex_numIfES1_IdES3_S3_EEvbT1_lPT2_S6_jNS_24const_host_device_scalarIT6_EEPKS4_PKS5_PKT3_PKT4_S9_PT5_21rocsparse_index_base_b,comdat
	.globl	_ZN9rocsparseL41csrmvn_lrb_medium_rows_warp_reduce_kernelILj256ELj64Eii21rocsparse_complex_numIfES1_IdES3_S3_EEvbT1_lPT2_S6_jNS_24const_host_device_scalarIT6_EEPKS4_PKS5_PKT3_PKT4_S9_PT5_21rocsparse_index_base_b ; -- Begin function _ZN9rocsparseL41csrmvn_lrb_medium_rows_warp_reduce_kernelILj256ELj64Eii21rocsparse_complex_numIfES1_IdES3_S3_EEvbT1_lPT2_S6_jNS_24const_host_device_scalarIT6_EEPKS4_PKS5_PKT3_PKT4_S9_PT5_21rocsparse_index_base_b
	.p2align	8
	.type	_ZN9rocsparseL41csrmvn_lrb_medium_rows_warp_reduce_kernelILj256ELj64Eii21rocsparse_complex_numIfES1_IdES3_S3_EEvbT1_lPT2_S6_jNS_24const_host_device_scalarIT6_EEPKS4_PKS5_PKT3_PKT4_S9_PT5_21rocsparse_index_base_b,@function
_ZN9rocsparseL41csrmvn_lrb_medium_rows_warp_reduce_kernelILj256ELj64Eii21rocsparse_complex_numIfES1_IdES3_S3_EEvbT1_lPT2_S6_jNS_24const_host_device_scalarIT6_EEPKS4_PKS5_PKT3_PKT4_S9_PT5_21rocsparse_index_base_b: ; @_ZN9rocsparseL41csrmvn_lrb_medium_rows_warp_reduce_kernelILj256ELj64Eii21rocsparse_complex_numIfES1_IdES3_S3_EEvbT1_lPT2_S6_jNS_24const_host_device_scalarIT6_EEPKS4_PKS5_PKT3_PKT4_S9_PT5_21rocsparse_index_base_b
; %bb.0:
	s_clause 0x1
	s_load_b64 s[12:13], s[2:3], 0x70
	s_load_b128 s[4:7], s[2:3], 0x28
	s_load_b64 s[16:17], s[0:1], 0x4
	s_mov_b64 s[0:1], src_shared_base
	v_and_b32_e32 v10, 0x3ff, v0
	s_load_b128 s[8:11], s[2:3], 0x58
	v_bfe_u32 v2, v0, 10, 10
	v_bfe_u32 v0, v0, 20, 10
	s_waitcnt lgkmcnt(0)
	s_bitcmp1_b32 s13, 0
	s_cselect_b32 s0, -1, 0
	s_delay_alu instid0(SALU_CYCLE_1) | instskip(SKIP_4) | instid1(SALU_CYCLE_1)
	s_and_b32 vcc_lo, s0, exec_lo
	s_cselect_b32 s13, s1, s5
	s_lshr_b32 s14, s16, 16
	v_mov_b32_e32 v6, s13
	s_mul_i32 s14, s14, s17
	v_mul_lo_u32 v1, s14, v10
	s_delay_alu instid0(VALU_DEP_1) | instskip(SKIP_1) | instid1(VALU_DEP_2)
	v_mad_u32_u24 v1, v2, s17, v1
	v_dual_mov_b32 v2, s8 :: v_dual_mov_b32 v3, s9
	v_add_lshl_u32 v4, v1, v0, 3
	v_dual_mov_b32 v0, s4 :: v_dual_mov_b32 v1, s5
	s_delay_alu instid0(VALU_DEP_2)
	v_add_nc_u32_e32 v5, 0x800, v4
	ds_store_2addr_stride64_b64 v4, v[2:3], v[0:1] offset1:4
	v_dual_mov_b32 v2, s6 :: v_dual_mov_b32 v3, s7
	v_cndmask_b32_e64 v5, s4, v5, s0
	s_xor_b32 s6, s0, -1
	flat_load_b64 v[0:1], v[5:6]
	s_cbranch_vccnz .LBB209_2
; %bb.1:
	v_dual_mov_b32 v2, s4 :: v_dual_mov_b32 v3, s5
	flat_load_b64 v[2:3], v[2:3] offset:8
.LBB209_2:
	s_and_b32 s4, s0, exec_lo
	s_cselect_b32 s1, s1, s9
	v_cndmask_b32_e64 v4, s8, v4, s0
	v_dual_mov_b32 v5, s1 :: v_dual_mov_b32 v6, s10
	v_mov_b32_e32 v7, s11
	s_and_not1_b32 vcc_lo, exec_lo, s6
	flat_load_b64 v[4:5], v[4:5]
	s_cbranch_vccnz .LBB209_4
; %bb.3:
	v_dual_mov_b32 v6, s8 :: v_dual_mov_b32 v7, s9
	flat_load_b64 v[6:7], v[6:7] offset:8
.LBB209_4:
	s_waitcnt vmcnt(1) lgkmcnt(1)
	v_cmp_eq_f64_e32 vcc_lo, 0, v[0:1]
	v_cmp_eq_f64_e64 s0, 0, v[2:3]
	s_delay_alu instid0(VALU_DEP_1)
	s_and_b32 s4, vcc_lo, s0
	s_mov_b32 s0, -1
	s_and_saveexec_b32 s1, s4
	s_cbranch_execz .LBB209_6
; %bb.5:
	s_waitcnt vmcnt(0) lgkmcnt(0)
	v_cmp_neq_f64_e32 vcc_lo, 1.0, v[4:5]
	v_cmp_neq_f64_e64 s0, 0, v[6:7]
	s_delay_alu instid0(VALU_DEP_1) | instskip(NEXT) | instid1(SALU_CYCLE_1)
	s_or_b32 s0, vcc_lo, s0
	s_or_not1_b32 s0, s0, exec_lo
.LBB209_6:
	s_or_b32 exec_lo, exec_lo, s1
	s_and_saveexec_b32 s1, s0
	s_cbranch_execz .LBB209_16
; %bb.7:
	s_load_b64 s[0:1], s[2:3], 0x8
	v_lshrrev_b32_e32 v8, 6, v10
	s_delay_alu instid0(VALU_DEP_1) | instskip(NEXT) | instid1(VALU_DEP_1)
	v_lshl_or_b32 v8, s15, 2, v8
	v_ashrrev_i32_e32 v9, 31, v8
	s_waitcnt lgkmcnt(0)
	s_delay_alu instid0(VALU_DEP_1)
	v_cmp_gt_i64_e32 vcc_lo, s[0:1], v[8:9]
	s_and_b32 exec_lo, exec_lo, vcc_lo
	s_cbranch_execz .LBB209_16
; %bb.8:
	s_clause 0x1
	s_load_b32 s0, s[2:3], 0x20
	s_load_b128 s[4:7], s[2:3], 0x10
	s_mov_b32 s1, 0
	v_and_b32_e32 v16, 63, v10
	s_delay_alu instid0(VALU_DEP_1) | instskip(SKIP_2) | instid1(SALU_CYCLE_1)
	v_subrev_nc_u32_e32 v14, s12, v16
	s_waitcnt lgkmcnt(0)
	s_lshl_b64 s[8:9], s[0:1], 2
	s_add_u32 s6, s6, s8
	s_addc_u32 s7, s7, s9
	s_load_b64 s[8:9], s[2:3], 0x68
	s_load_b32 s0, s[6:7], 0x0
	s_waitcnt lgkmcnt(0)
	v_add_nc_u32_e32 v8, s0, v8
	s_mov_b32 s0, exec_lo
	s_delay_alu instid0(VALU_DEP_1) | instskip(NEXT) | instid1(VALU_DEP_1)
	v_ashrrev_i32_e32 v9, 31, v8
	v_lshlrev_b64 v[8:9], 2, v[8:9]
	s_delay_alu instid0(VALU_DEP_1) | instskip(NEXT) | instid1(VALU_DEP_2)
	v_add_co_u32 v8, vcc_lo, s4, v8
	v_add_co_ci_u32_e32 v9, vcc_lo, s5, v9, vcc_lo
	s_load_b64 s[4:5], s[2:3], 0x38
	global_load_b32 v8, v[8:9], off
	s_waitcnt vmcnt(0)
	v_ashrrev_i32_e32 v9, 31, v8
	s_delay_alu instid0(VALU_DEP_1) | instskip(SKIP_1) | instid1(VALU_DEP_1)
	v_lshlrev_b64 v[11:12], 2, v[8:9]
	s_waitcnt lgkmcnt(0)
	v_add_co_u32 v11, vcc_lo, s4, v11
	s_delay_alu instid0(VALU_DEP_2)
	v_add_co_ci_u32_e32 v12, vcc_lo, s5, v12, vcc_lo
	global_load_b64 v[12:13], v[11:12], off
	v_mov_b32_e32 v10, 0
	v_mov_b32_e32 v11, 0
	s_waitcnt vmcnt(0)
	v_subrev_nc_u32_e32 v17, s12, v13
	s_delay_alu instid0(VALU_DEP_2) | instskip(SKIP_1) | instid1(VALU_DEP_2)
	v_dual_mov_b32 v13, v11 :: v_dual_add_nc_u32 v14, v12, v14
	v_mov_b32_e32 v12, v10
	v_cmpx_lt_i32_e64 v14, v17
	s_cbranch_execz .LBB209_12
; %bb.9:
	s_clause 0x2
	s_load_b32 s10, s[2:3], 0x0
	s_load_b128 s[4:7], s[2:3], 0x40
	s_load_b64 s[2:3], s[2:3], 0x50
	v_mov_b32_e32 v10, 0
	v_mov_b32_e32 v11, 0
	s_delay_alu instid0(VALU_DEP_1)
	v_dual_mov_b32 v13, v11 :: v_dual_mov_b32 v12, v10
	s_waitcnt lgkmcnt(0)
	s_bitcmp1_b32 s10, 0
	s_cselect_b32 s10, -1, 0
.LBB209_10:                             ; =>This Inner Loop Header: Depth=1
	v_ashrrev_i32_e32 v15, 31, v14
	s_delay_alu instid0(VALU_DEP_1) | instskip(NEXT) | instid1(VALU_DEP_1)
	v_lshlrev_b64 v[18:19], 2, v[14:15]
	v_add_co_u32 v18, vcc_lo, s4, v18
	s_delay_alu instid0(VALU_DEP_2) | instskip(SKIP_3) | instid1(VALU_DEP_2)
	v_add_co_ci_u32_e32 v19, vcc_lo, s5, v19, vcc_lo
	global_load_b32 v20, v[18:19], off
	v_lshlrev_b64 v[18:19], 3, v[14:15]
	v_add_nc_u32_e32 v14, 64, v14
	v_add_co_u32 v18, vcc_lo, s6, v18
	s_delay_alu instid0(VALU_DEP_3) | instskip(SKIP_3) | instid1(VALU_DEP_1)
	v_add_co_ci_u32_e32 v19, vcc_lo, s7, v19, vcc_lo
	global_load_b64 v[22:23], v[18:19], off
	s_waitcnt vmcnt(1)
	v_subrev_nc_u32_e32 v18, s12, v20
	v_ashrrev_i32_e32 v19, 31, v18
	s_delay_alu instid0(VALU_DEP_1) | instskip(SKIP_3) | instid1(VALU_DEP_3)
	v_lshlrev_b64 v[18:19], 4, v[18:19]
	s_waitcnt vmcnt(0)
	v_cndmask_b32_e64 v15, v23, -v23, s10
	v_cvt_f64_f32_e32 v[25:26], v22
	v_add_co_u32 v18, vcc_lo, s2, v18
	s_delay_alu instid0(VALU_DEP_4) | instskip(NEXT) | instid1(VALU_DEP_4)
	v_add_co_ci_u32_e32 v19, vcc_lo, s3, v19, vcc_lo
	v_cvt_f64_f32_e32 v[23:24], v15
	v_cmp_ge_i32_e32 vcc_lo, v14, v17
	global_load_b128 v[18:21], v[18:19], off
	s_or_b32 s1, vcc_lo, s1
	v_mul_f64 v[27:28], -v[2:3], v[23:24]
	v_mul_f64 v[22:23], v[0:1], v[23:24]
	s_delay_alu instid0(VALU_DEP_2) | instskip(NEXT) | instid1(VALU_DEP_2)
	v_fma_f64 v[27:28], v[0:1], v[25:26], v[27:28]
	v_fma_f64 v[22:23], v[2:3], v[25:26], v[22:23]
	s_waitcnt vmcnt(0)
	s_delay_alu instid0(VALU_DEP_2) | instskip(NEXT) | instid1(VALU_DEP_2)
	v_fma_f64 v[12:13], v[27:28], v[18:19], v[12:13]
	v_fma_f64 v[10:11], v[22:23], v[18:19], v[10:11]
	s_delay_alu instid0(VALU_DEP_2) | instskip(NEXT) | instid1(VALU_DEP_2)
	v_fma_f64 v[12:13], -v[22:23], v[20:21], v[12:13]
	v_fma_f64 v[10:11], v[27:28], v[20:21], v[10:11]
	s_and_not1_b32 exec_lo, exec_lo, s1
	s_cbranch_execnz .LBB209_10
; %bb.11:
	s_or_b32 exec_lo, exec_lo, s1
.LBB209_12:
	s_delay_alu instid0(SALU_CYCLE_1) | instskip(SKIP_1) | instid1(VALU_DEP_1)
	s_or_b32 exec_lo, exec_lo, s0
	v_mbcnt_lo_u32_b32 v14, -1, 0
	v_or_b32_e32 v0, 32, v14
	s_delay_alu instid0(VALU_DEP_1) | instskip(SKIP_1) | instid1(VALU_DEP_1)
	v_cmp_gt_i32_e32 vcc_lo, 32, v0
	v_cndmask_b32_e32 v0, v14, v0, vcc_lo
	v_lshlrev_b32_e32 v3, 2, v0
	ds_bpermute_b32 v0, v3, v12
	ds_bpermute_b32 v1, v3, v13
	ds_bpermute_b32 v2, v3, v10
	ds_bpermute_b32 v3, v3, v11
	s_waitcnt lgkmcnt(2)
	v_add_f64 v[0:1], v[12:13], v[0:1]
	s_waitcnt lgkmcnt(0)
	v_add_f64 v[2:3], v[10:11], v[2:3]
	v_xor_b32_e32 v10, 16, v14
	s_delay_alu instid0(VALU_DEP_1) | instskip(SKIP_1) | instid1(VALU_DEP_1)
	v_cmp_gt_i32_e32 vcc_lo, 32, v10
	v_cndmask_b32_e32 v10, v14, v10, vcc_lo
	v_lshlrev_b32_e32 v13, 2, v10
	ds_bpermute_b32 v10, v13, v0
	ds_bpermute_b32 v11, v13, v1
	ds_bpermute_b32 v12, v13, v2
	ds_bpermute_b32 v13, v13, v3
	s_waitcnt lgkmcnt(2)
	v_add_f64 v[0:1], v[0:1], v[10:11]
	v_xor_b32_e32 v10, 8, v14
	s_waitcnt lgkmcnt(0)
	v_add_f64 v[2:3], v[2:3], v[12:13]
	s_delay_alu instid0(VALU_DEP_2) | instskip(SKIP_1) | instid1(VALU_DEP_1)
	v_cmp_gt_i32_e32 vcc_lo, 32, v10
	v_cndmask_b32_e32 v10, v14, v10, vcc_lo
	v_lshlrev_b32_e32 v13, 2, v10
	ds_bpermute_b32 v10, v13, v0
	ds_bpermute_b32 v11, v13, v1
	ds_bpermute_b32 v12, v13, v2
	ds_bpermute_b32 v13, v13, v3
	s_waitcnt lgkmcnt(2)
	v_add_f64 v[0:1], v[0:1], v[10:11]
	v_xor_b32_e32 v10, 4, v14
	s_waitcnt lgkmcnt(0)
	v_add_f64 v[2:3], v[2:3], v[12:13]
	s_delay_alu instid0(VALU_DEP_2) | instskip(SKIP_1) | instid1(VALU_DEP_1)
	;; [unrolled: 13-line block ×3, first 2 shown]
	v_cmp_gt_i32_e32 vcc_lo, 32, v10
	v_cndmask_b32_e32 v10, v14, v10, vcc_lo
	v_lshlrev_b32_e32 v13, 2, v10
	ds_bpermute_b32 v10, v13, v0
	ds_bpermute_b32 v11, v13, v1
	;; [unrolled: 1-line block ×4, first 2 shown]
	s_waitcnt lgkmcnt(2)
	v_add_f64 v[0:1], v[0:1], v[10:11]
	v_xor_b32_e32 v10, 1, v14
	s_waitcnt lgkmcnt(0)
	v_add_f64 v[2:3], v[2:3], v[12:13]
	s_delay_alu instid0(VALU_DEP_2) | instskip(SKIP_2) | instid1(VALU_DEP_2)
	v_cmp_gt_i32_e32 vcc_lo, 32, v10
	v_cndmask_b32_e32 v10, v14, v10, vcc_lo
	v_cmp_eq_u32_e32 vcc_lo, 63, v16
	v_lshlrev_b32_e32 v13, 2, v10
	ds_bpermute_b32 v10, v13, v0
	ds_bpermute_b32 v11, v13, v1
	;; [unrolled: 1-line block ×4, first 2 shown]
	s_and_b32 exec_lo, exec_lo, vcc_lo
	s_cbranch_execz .LBB209_16
; %bb.13:
	v_cmp_neq_f64_e32 vcc_lo, 0, v[4:5]
	v_cmp_neq_f64_e64 s0, 0, v[6:7]
	s_waitcnt lgkmcnt(2)
	v_add_f64 v[0:1], v[0:1], v[10:11]
	s_waitcnt lgkmcnt(0)
	v_add_f64 v[2:3], v[2:3], v[12:13]
	v_lshlrev_b64 v[8:9], 4, v[8:9]
	s_delay_alu instid0(VALU_DEP_4) | instskip(NEXT) | instid1(SALU_CYCLE_1)
	s_or_b32 s1, vcc_lo, s0
	s_and_saveexec_b32 s0, s1
	s_cbranch_execz .LBB209_15
; %bb.14:
	s_delay_alu instid0(VALU_DEP_1) | instskip(NEXT) | instid1(VALU_DEP_2)
	v_add_co_u32 v10, vcc_lo, s8, v8
	v_add_co_ci_u32_e32 v11, vcc_lo, s9, v9, vcc_lo
	global_load_b128 v[10:13], v[10:11], off
	s_waitcnt vmcnt(0)
	v_fma_f64 v[0:1], v[4:5], v[10:11], v[0:1]
	v_fma_f64 v[2:3], v[6:7], v[10:11], v[2:3]
	s_delay_alu instid0(VALU_DEP_2) | instskip(NEXT) | instid1(VALU_DEP_2)
	v_fma_f64 v[0:1], -v[6:7], v[12:13], v[0:1]
	v_fma_f64 v[2:3], v[4:5], v[12:13], v[2:3]
.LBB209_15:
	s_or_b32 exec_lo, exec_lo, s0
	s_delay_alu instid0(VALU_DEP_1)
	v_add_co_u32 v4, vcc_lo, s8, v8
	v_add_co_ci_u32_e32 v5, vcc_lo, s9, v9, vcc_lo
	global_store_b128 v[4:5], v[0:3], off
.LBB209_16:
	s_nop 0
	s_sendmsg sendmsg(MSG_DEALLOC_VGPRS)
	s_endpgm
	.section	.rodata,"a",@progbits
	.p2align	6, 0x0
	.amdhsa_kernel _ZN9rocsparseL41csrmvn_lrb_medium_rows_warp_reduce_kernelILj256ELj64Eii21rocsparse_complex_numIfES1_IdES3_S3_EEvbT1_lPT2_S6_jNS_24const_host_device_scalarIT6_EEPKS4_PKS5_PKT3_PKT4_S9_PT5_21rocsparse_index_base_b
		.amdhsa_group_segment_fixed_size 4096
		.amdhsa_private_segment_fixed_size 0
		.amdhsa_kernarg_size 120
		.amdhsa_user_sgpr_count 15
		.amdhsa_user_sgpr_dispatch_ptr 1
		.amdhsa_user_sgpr_queue_ptr 0
		.amdhsa_user_sgpr_kernarg_segment_ptr 1
		.amdhsa_user_sgpr_dispatch_id 0
		.amdhsa_user_sgpr_private_segment_size 0
		.amdhsa_wavefront_size32 1
		.amdhsa_uses_dynamic_stack 0
		.amdhsa_enable_private_segment 0
		.amdhsa_system_sgpr_workgroup_id_x 1
		.amdhsa_system_sgpr_workgroup_id_y 0
		.amdhsa_system_sgpr_workgroup_id_z 0
		.amdhsa_system_sgpr_workgroup_info 0
		.amdhsa_system_vgpr_workitem_id 2
		.amdhsa_next_free_vgpr 29
		.amdhsa_next_free_sgpr 18
		.amdhsa_reserve_vcc 1
		.amdhsa_float_round_mode_32 0
		.amdhsa_float_round_mode_16_64 0
		.amdhsa_float_denorm_mode_32 3
		.amdhsa_float_denorm_mode_16_64 3
		.amdhsa_dx10_clamp 1
		.amdhsa_ieee_mode 1
		.amdhsa_fp16_overflow 0
		.amdhsa_workgroup_processor_mode 1
		.amdhsa_memory_ordered 1
		.amdhsa_forward_progress 0
		.amdhsa_shared_vgpr_count 0
		.amdhsa_exception_fp_ieee_invalid_op 0
		.amdhsa_exception_fp_denorm_src 0
		.amdhsa_exception_fp_ieee_div_zero 0
		.amdhsa_exception_fp_ieee_overflow 0
		.amdhsa_exception_fp_ieee_underflow 0
		.amdhsa_exception_fp_ieee_inexact 0
		.amdhsa_exception_int_div_zero 0
	.end_amdhsa_kernel
	.section	.text._ZN9rocsparseL41csrmvn_lrb_medium_rows_warp_reduce_kernelILj256ELj64Eii21rocsparse_complex_numIfES1_IdES3_S3_EEvbT1_lPT2_S6_jNS_24const_host_device_scalarIT6_EEPKS4_PKS5_PKT3_PKT4_S9_PT5_21rocsparse_index_base_b,"axG",@progbits,_ZN9rocsparseL41csrmvn_lrb_medium_rows_warp_reduce_kernelILj256ELj64Eii21rocsparse_complex_numIfES1_IdES3_S3_EEvbT1_lPT2_S6_jNS_24const_host_device_scalarIT6_EEPKS4_PKS5_PKT3_PKT4_S9_PT5_21rocsparse_index_base_b,comdat
.Lfunc_end209:
	.size	_ZN9rocsparseL41csrmvn_lrb_medium_rows_warp_reduce_kernelILj256ELj64Eii21rocsparse_complex_numIfES1_IdES3_S3_EEvbT1_lPT2_S6_jNS_24const_host_device_scalarIT6_EEPKS4_PKS5_PKT3_PKT4_S9_PT5_21rocsparse_index_base_b, .Lfunc_end209-_ZN9rocsparseL41csrmvn_lrb_medium_rows_warp_reduce_kernelILj256ELj64Eii21rocsparse_complex_numIfES1_IdES3_S3_EEvbT1_lPT2_S6_jNS_24const_host_device_scalarIT6_EEPKS4_PKS5_PKT3_PKT4_S9_PT5_21rocsparse_index_base_b
                                        ; -- End function
	.section	.AMDGPU.csdata,"",@progbits
; Kernel info:
; codeLenInByte = 1544
; NumSgprs: 20
; NumVgprs: 29
; ScratchSize: 0
; MemoryBound: 0
; FloatMode: 240
; IeeeMode: 1
; LDSByteSize: 4096 bytes/workgroup (compile time only)
; SGPRBlocks: 2
; VGPRBlocks: 3
; NumSGPRsForWavesPerEU: 20
; NumVGPRsForWavesPerEU: 29
; Occupancy: 16
; WaveLimiterHint : 1
; COMPUTE_PGM_RSRC2:SCRATCH_EN: 0
; COMPUTE_PGM_RSRC2:USER_SGPR: 15
; COMPUTE_PGM_RSRC2:TRAP_HANDLER: 0
; COMPUTE_PGM_RSRC2:TGID_X_EN: 1
; COMPUTE_PGM_RSRC2:TGID_Y_EN: 0
; COMPUTE_PGM_RSRC2:TGID_Z_EN: 0
; COMPUTE_PGM_RSRC2:TIDIG_COMP_CNT: 2
	.section	.text._ZN9rocsparseL29csrmvn_lrb_medium_rows_kernelILj256Eii21rocsparse_complex_numIfES1_IdES3_S3_EEvbT0_PT1_S6_jNS_24const_host_device_scalarIT5_EEPKS4_PKS5_PKT2_PKT3_S9_PT4_21rocsparse_index_base_b,"axG",@progbits,_ZN9rocsparseL29csrmvn_lrb_medium_rows_kernelILj256Eii21rocsparse_complex_numIfES1_IdES3_S3_EEvbT0_PT1_S6_jNS_24const_host_device_scalarIT5_EEPKS4_PKS5_PKT2_PKT3_S9_PT4_21rocsparse_index_base_b,comdat
	.globl	_ZN9rocsparseL29csrmvn_lrb_medium_rows_kernelILj256Eii21rocsparse_complex_numIfES1_IdES3_S3_EEvbT0_PT1_S6_jNS_24const_host_device_scalarIT5_EEPKS4_PKS5_PKT2_PKT3_S9_PT4_21rocsparse_index_base_b ; -- Begin function _ZN9rocsparseL29csrmvn_lrb_medium_rows_kernelILj256Eii21rocsparse_complex_numIfES1_IdES3_S3_EEvbT0_PT1_S6_jNS_24const_host_device_scalarIT5_EEPKS4_PKS5_PKT2_PKT3_S9_PT4_21rocsparse_index_base_b
	.p2align	8
	.type	_ZN9rocsparseL29csrmvn_lrb_medium_rows_kernelILj256Eii21rocsparse_complex_numIfES1_IdES3_S3_EEvbT0_PT1_S6_jNS_24const_host_device_scalarIT5_EEPKS4_PKS5_PKT2_PKT3_S9_PT4_21rocsparse_index_base_b,@function
_ZN9rocsparseL29csrmvn_lrb_medium_rows_kernelILj256Eii21rocsparse_complex_numIfES1_IdES3_S3_EEvbT0_PT1_S6_jNS_24const_host_device_scalarIT5_EEPKS4_PKS5_PKT2_PKT3_S9_PT4_21rocsparse_index_base_b: ; @_ZN9rocsparseL29csrmvn_lrb_medium_rows_kernelILj256Eii21rocsparse_complex_numIfES1_IdES3_S3_EEvbT0_PT1_S6_jNS_24const_host_device_scalarIT5_EEPKS4_PKS5_PKT2_PKT3_S9_PT4_21rocsparse_index_base_b
; %bb.0:
	s_clause 0x1
	s_load_b64 s[12:13], s[2:3], 0x68
	s_load_b128 s[4:7], s[2:3], 0x20
	s_load_b64 s[16:17], s[0:1], 0x4
	s_mov_b64 s[0:1], src_shared_base
	v_and_b32_e32 v14, 0x3ff, v0
	s_load_b128 s[8:11], s[2:3], 0x50
	v_bfe_u32 v2, v0, 10, 10
	v_bfe_u32 v0, v0, 20, 10
	s_waitcnt lgkmcnt(0)
	s_bitcmp1_b32 s13, 0
	v_mov_b32_e32 v11, s7
	s_cselect_b32 s0, -1, 0
	v_mov_b32_e32 v10, s6
	s_and_b32 vcc_lo, s0, exec_lo
	s_cselect_b32 s13, s1, s5
	s_lshr_b32 s14, s16, 16
	s_xor_b32 s6, s0, -1
	s_mul_i32 s14, s14, s17
	v_mov_b32_e32 v5, s13
	v_mul_lo_u32 v1, s14, v14
	s_delay_alu instid0(VALU_DEP_1) | instskip(SKIP_1) | instid1(VALU_DEP_2)
	v_mad_u32_u24 v1, v2, s17, v1
	v_dual_mov_b32 v2, s8 :: v_dual_mov_b32 v3, s9
	v_add_lshl_u32 v6, v1, v0, 3
	v_dual_mov_b32 v0, s4 :: v_dual_mov_b32 v1, s5
	s_delay_alu instid0(VALU_DEP_2)
	v_add_nc_u32_e32 v4, 0x1800, v6
	ds_store_2addr_stride64_b64 v6, v[2:3], v[0:1] offset0:8 offset1:12
	v_add_nc_u32_e32 v0, 0x1000, v6
	v_cndmask_b32_e64 v4, s4, v4, s0
	flat_load_b64 v[8:9], v[4:5]
	s_cbranch_vccnz .LBB210_2
; %bb.1:
	v_dual_mov_b32 v1, s4 :: v_dual_mov_b32 v2, s5
	flat_load_b64 v[10:11], v[1:2] offset:8
.LBB210_2:
	s_and_b32 s4, s0, exec_lo
	s_cselect_b32 s1, s1, s9
	v_cndmask_b32_e64 v0, s8, v0, s0
	v_dual_mov_b32 v1, s1 :: v_dual_mov_b32 v6, s10
	v_mov_b32_e32 v7, s11
	s_and_not1_b32 vcc_lo, exec_lo, s6
	flat_load_b64 v[4:5], v[0:1]
	s_cbranch_vccnz .LBB210_4
; %bb.3:
	v_dual_mov_b32 v0, s8 :: v_dual_mov_b32 v1, s9
	flat_load_b64 v[6:7], v[0:1] offset:8
.LBB210_4:
	s_waitcnt vmcnt(1) lgkmcnt(1)
	v_cmp_eq_f64_e32 vcc_lo, 0, v[8:9]
	v_cmp_eq_f64_e64 s0, 0, v[10:11]
	s_delay_alu instid0(VALU_DEP_1)
	s_and_b32 s4, vcc_lo, s0
	s_mov_b32 s0, -1
	s_and_saveexec_b32 s1, s4
	s_cbranch_execz .LBB210_6
; %bb.5:
	s_waitcnt vmcnt(0) lgkmcnt(0)
	v_cmp_neq_f64_e32 vcc_lo, 1.0, v[4:5]
	v_cmp_neq_f64_e64 s0, 0, v[6:7]
	s_delay_alu instid0(VALU_DEP_1) | instskip(NEXT) | instid1(SALU_CYCLE_1)
	s_or_b32 s0, vcc_lo, s0
	s_or_not1_b32 s0, s0, exec_lo
.LBB210_6:
	s_or_b32 exec_lo, exec_lo, s1
	s_and_saveexec_b32 s1, s0
	s_cbranch_execz .LBB210_31
; %bb.7:
	s_clause 0x1
	s_load_b32 s0, s[2:3], 0x18
	s_load_b128 s[4:7], s[2:3], 0x8
	s_mov_b32 s1, 0
	v_mov_b32_e32 v2, 0
	v_subrev_nc_u32_e32 v0, s12, v14
	s_waitcnt lgkmcnt(0)
	s_lshl_b64 s[8:9], s[0:1], 2
	s_delay_alu instid0(SALU_CYCLE_1)
	s_add_u32 s6, s6, s8
	s_addc_u32 s7, s7, s9
	s_load_b32 s0, s[6:7], 0x0
	s_waitcnt lgkmcnt(0)
	s_add_i32 s6, s0, s15
	s_mov_b32 s0, exec_lo
	s_ashr_i32 s7, s6, 31
	s_delay_alu instid0(SALU_CYCLE_1) | instskip(NEXT) | instid1(SALU_CYCLE_1)
	s_lshl_b64 s[6:7], s[6:7], 2
	s_add_u32 s4, s4, s6
	s_addc_u32 s5, s5, s7
	s_load_b32 s8, s[4:5], 0x0
	s_load_b64 s[4:5], s[2:3], 0x30
	s_waitcnt lgkmcnt(0)
	s_ashr_i32 s9, s8, 31
	s_delay_alu instid0(SALU_CYCLE_1) | instskip(NEXT) | instid1(SALU_CYCLE_1)
	s_lshl_b64 s[6:7], s[8:9], 2
	s_add_u32 s4, s4, s6
	s_addc_u32 s5, s5, s7
	s_load_b64 s[4:5], s[4:5], 0x0
	s_load_b64 s[10:11], s[2:3], 0x60
	s_waitcnt lgkmcnt(0)
	v_dual_mov_b32 v3, 0 :: v_dual_add_nc_u32 v12, s4, v0
	s_delay_alu instid0(VALU_DEP_1)
	v_dual_mov_b32 v0, v2 :: v_dual_mov_b32 v1, v3
	s_sub_i32 s13, s5, s12
	s_delay_alu instid0(VALU_DEP_2) | instid1(SALU_CYCLE_1)
	v_cmpx_gt_i32_e64 s13, v12
	s_cbranch_execz .LBB210_11
; %bb.8:
	s_clause 0x2
	s_load_b32 s14, s[2:3], 0x0
	s_load_b128 s[4:7], s[2:3], 0x38
	s_load_b64 s[2:3], s[2:3], 0x48
	v_mov_b32_e32 v2, 0
	v_mov_b32_e32 v3, 0
	s_delay_alu instid0(VALU_DEP_1)
	v_dual_mov_b32 v0, v2 :: v_dual_mov_b32 v1, v3
	s_waitcnt lgkmcnt(0)
	s_bitcmp1_b32 s14, 0
	s_cselect_b32 s14, -1, 0
.LBB210_9:                              ; =>This Inner Loop Header: Depth=1
	v_ashrrev_i32_e32 v13, 31, v12
	s_delay_alu instid0(VALU_DEP_1) | instskip(NEXT) | instid1(VALU_DEP_1)
	v_lshlrev_b64 v[15:16], 2, v[12:13]
	v_add_co_u32 v15, vcc_lo, s4, v15
	s_delay_alu instid0(VALU_DEP_2) | instskip(SKIP_3) | instid1(VALU_DEP_2)
	v_add_co_ci_u32_e32 v16, vcc_lo, s5, v16, vcc_lo
	global_load_b32 v17, v[15:16], off
	v_lshlrev_b64 v[15:16], 3, v[12:13]
	v_add_nc_u32_e32 v12, 0x100, v12
	v_add_co_u32 v15, vcc_lo, s6, v15
	s_delay_alu instid0(VALU_DEP_3) | instskip(SKIP_3) | instid1(VALU_DEP_1)
	v_add_co_ci_u32_e32 v16, vcc_lo, s7, v16, vcc_lo
	global_load_b64 v[19:20], v[15:16], off
	s_waitcnt vmcnt(1)
	v_subrev_nc_u32_e32 v15, s12, v17
	v_ashrrev_i32_e32 v16, 31, v15
	s_delay_alu instid0(VALU_DEP_1) | instskip(SKIP_3) | instid1(VALU_DEP_3)
	v_lshlrev_b64 v[15:16], 4, v[15:16]
	s_waitcnt vmcnt(0)
	v_cndmask_b32_e64 v13, v20, -v20, s14
	v_cvt_f64_f32_e32 v[22:23], v19
	v_add_co_u32 v15, vcc_lo, s2, v15
	s_delay_alu instid0(VALU_DEP_4) | instskip(NEXT) | instid1(VALU_DEP_4)
	v_add_co_ci_u32_e32 v16, vcc_lo, s3, v16, vcc_lo
	v_cvt_f64_f32_e32 v[20:21], v13
	v_cmp_le_i32_e32 vcc_lo, s13, v12
	global_load_b128 v[15:18], v[15:16], off
	s_or_b32 s1, vcc_lo, s1
	v_mul_f64 v[24:25], -v[10:11], v[20:21]
	v_mul_f64 v[19:20], v[8:9], v[20:21]
	s_delay_alu instid0(VALU_DEP_2) | instskip(NEXT) | instid1(VALU_DEP_2)
	v_fma_f64 v[24:25], v[8:9], v[22:23], v[24:25]
	v_fma_f64 v[19:20], v[10:11], v[22:23], v[19:20]
	s_waitcnt vmcnt(0)
	s_delay_alu instid0(VALU_DEP_2) | instskip(NEXT) | instid1(VALU_DEP_2)
	v_fma_f64 v[0:1], v[24:25], v[15:16], v[0:1]
	v_fma_f64 v[2:3], v[19:20], v[15:16], v[2:3]
	s_delay_alu instid0(VALU_DEP_2) | instskip(NEXT) | instid1(VALU_DEP_2)
	v_fma_f64 v[0:1], -v[19:20], v[17:18], v[0:1]
	v_fma_f64 v[2:3], v[24:25], v[17:18], v[2:3]
	s_and_not1_b32 exec_lo, exec_lo, s1
	s_cbranch_execnz .LBB210_9
; %bb.10:
	s_or_b32 exec_lo, exec_lo, s1
.LBB210_11:
	s_delay_alu instid0(SALU_CYCLE_1)
	s_or_b32 exec_lo, exec_lo, s0
	v_lshlrev_b32_e32 v8, 4, v14
	s_mov_b32 s0, exec_lo
	ds_store_b128 v8, v[0:3]
	s_waitcnt vmcnt(0) lgkmcnt(0)
	s_barrier
	buffer_gl0_inv
	v_cmpx_gt_u32_e32 0x80, v14
	s_cbranch_execz .LBB210_13
; %bb.12:
	ds_load_b128 v[0:3], v8 offset:2048
	ds_load_b128 v[9:12], v8
	s_waitcnt lgkmcnt(0)
	v_add_f64 v[0:1], v[0:1], v[9:10]
	v_add_f64 v[2:3], v[2:3], v[11:12]
	ds_store_b128 v8, v[0:3]
.LBB210_13:
	s_or_b32 exec_lo, exec_lo, s0
	s_delay_alu instid0(SALU_CYCLE_1)
	s_mov_b32 s0, exec_lo
	s_waitcnt lgkmcnt(0)
	s_barrier
	buffer_gl0_inv
	v_cmpx_gt_u32_e32 64, v14
	s_cbranch_execz .LBB210_15
; %bb.14:
	ds_load_b128 v[0:3], v8 offset:1024
	ds_load_b128 v[9:12], v8
	s_waitcnt lgkmcnt(0)
	v_add_f64 v[0:1], v[0:1], v[9:10]
	v_add_f64 v[2:3], v[2:3], v[11:12]
	ds_store_b128 v8, v[0:3]
.LBB210_15:
	s_or_b32 exec_lo, exec_lo, s0
	s_delay_alu instid0(SALU_CYCLE_1)
	s_mov_b32 s0, exec_lo
	s_waitcnt lgkmcnt(0)
	;; [unrolled: 16-line block ×6, first 2 shown]
	s_barrier
	buffer_gl0_inv
	v_cmpx_gt_u32_e32 2, v14
	s_cbranch_execz .LBB210_25
; %bb.24:
	ds_load_b128 v[0:3], v8
	ds_load_b128 v[9:12], v8 offset:32
	s_waitcnt lgkmcnt(0)
	v_add_f64 v[0:1], v[9:10], v[0:1]
	v_add_f64 v[2:3], v[11:12], v[2:3]
	ds_store_b128 v8, v[0:3]
.LBB210_25:
	s_or_b32 exec_lo, exec_lo, s0
	v_cmp_eq_u32_e32 vcc_lo, 0, v14
	s_waitcnt lgkmcnt(0)
	s_barrier
	buffer_gl0_inv
	s_and_saveexec_b32 s0, vcc_lo
	s_cbranch_execz .LBB210_27
; %bb.26:
	v_mov_b32_e32 v12, 0
	ds_load_b128 v[0:3], v12
	ds_load_b128 v[8:11], v12 offset:16
	s_waitcnt lgkmcnt(0)
	v_add_f64 v[0:1], v[8:9], v[0:1]
	v_add_f64 v[2:3], v[10:11], v[2:3]
	ds_store_b128 v12, v[0:3]
.LBB210_27:
	s_or_b32 exec_lo, exec_lo, s0
	s_waitcnt lgkmcnt(0)
	s_barrier
	buffer_gl0_inv
	s_and_b32 exec_lo, exec_lo, vcc_lo
	s_cbranch_execz .LBB210_31
; %bb.28:
	v_cmp_neq_f64_e32 vcc_lo, 0, v[4:5]
	v_cmp_neq_f64_e64 s0, 0, v[6:7]
	v_mov_b32_e32 v8, 0
	ds_load_b128 v[0:3], v8
	s_or_b32 s1, vcc_lo, s0
	s_delay_alu instid0(SALU_CYCLE_1)
	s_and_saveexec_b32 s0, s1
	s_cbranch_execz .LBB210_30
; %bb.29:
	s_lshl_b64 s[2:3], s[8:9], 4
	s_delay_alu instid0(SALU_CYCLE_1)
	s_add_u32 s2, s10, s2
	s_addc_u32 s3, s11, s3
	s_load_b128 s[4:7], s[2:3], 0x0
	s_waitcnt lgkmcnt(0)
	v_fma_f64 v[0:1], v[4:5], s[4:5], v[0:1]
	v_fma_f64 v[2:3], v[6:7], s[4:5], v[2:3]
	s_delay_alu instid0(VALU_DEP_2) | instskip(NEXT) | instid1(VALU_DEP_2)
	v_fma_f64 v[0:1], -v[6:7], s[6:7], v[0:1]
	v_fma_f64 v[2:3], v[4:5], s[6:7], v[2:3]
.LBB210_30:
	s_or_b32 exec_lo, exec_lo, s0
	s_lshl_b64 s[0:1], s[8:9], 4
	s_delay_alu instid0(SALU_CYCLE_1)
	s_add_u32 s0, s10, s0
	s_addc_u32 s1, s11, s1
	s_waitcnt lgkmcnt(0)
	global_store_b128 v8, v[0:3], s[0:1]
.LBB210_31:
	s_nop 0
	s_sendmsg sendmsg(MSG_DEALLOC_VGPRS)
	s_endpgm
	.section	.rodata,"a",@progbits
	.p2align	6, 0x0
	.amdhsa_kernel _ZN9rocsparseL29csrmvn_lrb_medium_rows_kernelILj256Eii21rocsparse_complex_numIfES1_IdES3_S3_EEvbT0_PT1_S6_jNS_24const_host_device_scalarIT5_EEPKS4_PKS5_PKT2_PKT3_S9_PT4_21rocsparse_index_base_b
		.amdhsa_group_segment_fixed_size 8192
		.amdhsa_private_segment_fixed_size 0
		.amdhsa_kernarg_size 112
		.amdhsa_user_sgpr_count 15
		.amdhsa_user_sgpr_dispatch_ptr 1
		.amdhsa_user_sgpr_queue_ptr 0
		.amdhsa_user_sgpr_kernarg_segment_ptr 1
		.amdhsa_user_sgpr_dispatch_id 0
		.amdhsa_user_sgpr_private_segment_size 0
		.amdhsa_wavefront_size32 1
		.amdhsa_uses_dynamic_stack 0
		.amdhsa_enable_private_segment 0
		.amdhsa_system_sgpr_workgroup_id_x 1
		.amdhsa_system_sgpr_workgroup_id_y 0
		.amdhsa_system_sgpr_workgroup_id_z 0
		.amdhsa_system_sgpr_workgroup_info 0
		.amdhsa_system_vgpr_workitem_id 2
		.amdhsa_next_free_vgpr 26
		.amdhsa_next_free_sgpr 18
		.amdhsa_reserve_vcc 1
		.amdhsa_float_round_mode_32 0
		.amdhsa_float_round_mode_16_64 0
		.amdhsa_float_denorm_mode_32 3
		.amdhsa_float_denorm_mode_16_64 3
		.amdhsa_dx10_clamp 1
		.amdhsa_ieee_mode 1
		.amdhsa_fp16_overflow 0
		.amdhsa_workgroup_processor_mode 1
		.amdhsa_memory_ordered 1
		.amdhsa_forward_progress 0
		.amdhsa_shared_vgpr_count 0
		.amdhsa_exception_fp_ieee_invalid_op 0
		.amdhsa_exception_fp_denorm_src 0
		.amdhsa_exception_fp_ieee_div_zero 0
		.amdhsa_exception_fp_ieee_overflow 0
		.amdhsa_exception_fp_ieee_underflow 0
		.amdhsa_exception_fp_ieee_inexact 0
		.amdhsa_exception_int_div_zero 0
	.end_amdhsa_kernel
	.section	.text._ZN9rocsparseL29csrmvn_lrb_medium_rows_kernelILj256Eii21rocsparse_complex_numIfES1_IdES3_S3_EEvbT0_PT1_S6_jNS_24const_host_device_scalarIT5_EEPKS4_PKS5_PKT2_PKT3_S9_PT4_21rocsparse_index_base_b,"axG",@progbits,_ZN9rocsparseL29csrmvn_lrb_medium_rows_kernelILj256Eii21rocsparse_complex_numIfES1_IdES3_S3_EEvbT0_PT1_S6_jNS_24const_host_device_scalarIT5_EEPKS4_PKS5_PKT2_PKT3_S9_PT4_21rocsparse_index_base_b,comdat
.Lfunc_end210:
	.size	_ZN9rocsparseL29csrmvn_lrb_medium_rows_kernelILj256Eii21rocsparse_complex_numIfES1_IdES3_S3_EEvbT0_PT1_S6_jNS_24const_host_device_scalarIT5_EEPKS4_PKS5_PKT2_PKT3_S9_PT4_21rocsparse_index_base_b, .Lfunc_end210-_ZN9rocsparseL29csrmvn_lrb_medium_rows_kernelILj256Eii21rocsparse_complex_numIfES1_IdES3_S3_EEvbT0_PT1_S6_jNS_24const_host_device_scalarIT5_EEPKS4_PKS5_PKT2_PKT3_S9_PT4_21rocsparse_index_base_b
                                        ; -- End function
	.section	.AMDGPU.csdata,"",@progbits
; Kernel info:
; codeLenInByte = 1684
; NumSgprs: 20
; NumVgprs: 26
; ScratchSize: 0
; MemoryBound: 0
; FloatMode: 240
; IeeeMode: 1
; LDSByteSize: 8192 bytes/workgroup (compile time only)
; SGPRBlocks: 2
; VGPRBlocks: 3
; NumSGPRsForWavesPerEU: 20
; NumVGPRsForWavesPerEU: 26
; Occupancy: 16
; WaveLimiterHint : 1
; COMPUTE_PGM_RSRC2:SCRATCH_EN: 0
; COMPUTE_PGM_RSRC2:USER_SGPR: 15
; COMPUTE_PGM_RSRC2:TRAP_HANDLER: 0
; COMPUTE_PGM_RSRC2:TGID_X_EN: 1
; COMPUTE_PGM_RSRC2:TGID_Y_EN: 0
; COMPUTE_PGM_RSRC2:TGID_Z_EN: 0
; COMPUTE_PGM_RSRC2:TIDIG_COMP_CNT: 2
	.section	.text._ZN9rocsparseL27csrmvn_lrb_long_rows_kernelIii21rocsparse_complex_numIfES1_IdES3_S3_EEvbT_PjPT0_S7_jNS_24const_host_device_scalarIT4_EEPKS4_PKS6_PKT1_PKT2_SA_PT3_21rocsparse_index_base_b,"axG",@progbits,_ZN9rocsparseL27csrmvn_lrb_long_rows_kernelIii21rocsparse_complex_numIfES1_IdES3_S3_EEvbT_PjPT0_S7_jNS_24const_host_device_scalarIT4_EEPKS4_PKS6_PKT1_PKT2_SA_PT3_21rocsparse_index_base_b,comdat
	.globl	_ZN9rocsparseL27csrmvn_lrb_long_rows_kernelIii21rocsparse_complex_numIfES1_IdES3_S3_EEvbT_PjPT0_S7_jNS_24const_host_device_scalarIT4_EEPKS4_PKS6_PKT1_PKT2_SA_PT3_21rocsparse_index_base_b ; -- Begin function _ZN9rocsparseL27csrmvn_lrb_long_rows_kernelIii21rocsparse_complex_numIfES1_IdES3_S3_EEvbT_PjPT0_S7_jNS_24const_host_device_scalarIT4_EEPKS4_PKS6_PKT1_PKT2_SA_PT3_21rocsparse_index_base_b
	.p2align	8
	.type	_ZN9rocsparseL27csrmvn_lrb_long_rows_kernelIii21rocsparse_complex_numIfES1_IdES3_S3_EEvbT_PjPT0_S7_jNS_24const_host_device_scalarIT4_EEPKS4_PKS6_PKT1_PKT2_SA_PT3_21rocsparse_index_base_b,@function
_ZN9rocsparseL27csrmvn_lrb_long_rows_kernelIii21rocsparse_complex_numIfES1_IdES3_S3_EEvbT_PjPT0_S7_jNS_24const_host_device_scalarIT4_EEPKS4_PKS6_PKT1_PKT2_SA_PT3_21rocsparse_index_base_b: ; @_ZN9rocsparseL27csrmvn_lrb_long_rows_kernelIii21rocsparse_complex_numIfES1_IdES3_S3_EEvbT_PjPT0_S7_jNS_24const_host_device_scalarIT4_EEPKS4_PKS6_PKT1_PKT2_SA_PT3_21rocsparse_index_base_b
; %bb.0:
	s_mov_b32 s12, s15
	s_clause 0x1
	s_load_b64 s[16:17], s[2:3], 0x70
	s_load_b128 s[4:7], s[2:3], 0x28
	s_load_b64 s[14:15], s[0:1], 0x4
	s_mov_b64 s[0:1], src_shared_base
	v_and_b32_e32 v12, 0x3ff, v0
	s_load_b128 s[8:11], s[2:3], 0x58
	v_bfe_u32 v2, v0, 10, 10
	v_bfe_u32 v0, v0, 20, 10
	s_waitcnt lgkmcnt(0)
	s_bitcmp1_b32 s17, 0
	s_cselect_b32 s0, -1, 0
	s_delay_alu instid0(SALU_CYCLE_1) | instskip(SKIP_4) | instid1(SALU_CYCLE_1)
	s_and_b32 vcc_lo, s0, exec_lo
	s_cselect_b32 s13, s1, s5
	s_lshr_b32 s14, s14, 16
	v_mov_b32_e32 v5, s13
	s_mul_i32 s14, s14, s15
	v_mul_lo_u32 v1, s14, v12
	s_delay_alu instid0(VALU_DEP_1) | instskip(SKIP_1) | instid1(VALU_DEP_2)
	v_mad_u32_u24 v1, v2, s15, v1
	v_dual_mov_b32 v2, s8 :: v_dual_mov_b32 v3, s9
	v_add_lshl_u32 v6, v1, v0, 3
	v_dual_mov_b32 v0, s4 :: v_dual_mov_b32 v1, s5
	s_delay_alu instid0(VALU_DEP_2)
	v_add_nc_u32_e32 v4, 0x1800, v6
	ds_store_2addr_stride64_b64 v6, v[2:3], v[0:1] offset0:8 offset1:12
	v_add_nc_u32_e32 v0, 0x1000, v6
	v_mov_b32_e32 v6, s6
	v_cndmask_b32_e64 v4, s4, v4, s0
	v_mov_b32_e32 v7, s7
	s_xor_b32 s6, s0, -1
	flat_load_b64 v[4:5], v[4:5]
	s_cbranch_vccnz .LBB211_2
; %bb.1:
	v_dual_mov_b32 v1, s4 :: v_dual_mov_b32 v2, s5
	flat_load_b64 v[6:7], v[1:2] offset:8
.LBB211_2:
	s_and_b32 s4, s0, exec_lo
	s_cselect_b32 s1, s1, s9
	v_cndmask_b32_e64 v0, s8, v0, s0
	v_dual_mov_b32 v1, s1 :: v_dual_mov_b32 v8, s10
	v_mov_b32_e32 v9, s11
	s_and_not1_b32 vcc_lo, exec_lo, s6
	flat_load_b64 v[10:11], v[0:1]
	s_cbranch_vccnz .LBB211_4
; %bb.3:
	v_dual_mov_b32 v0, s8 :: v_dual_mov_b32 v1, s9
	flat_load_b64 v[8:9], v[0:1] offset:8
.LBB211_4:
	s_waitcnt vmcnt(1) lgkmcnt(1)
	v_cmp_eq_f64_e32 vcc_lo, 0, v[4:5]
	v_cmp_eq_f64_e64 s0, 0, v[6:7]
	s_delay_alu instid0(VALU_DEP_1)
	s_and_b32 s4, vcc_lo, s0
	s_mov_b32 s0, -1
	s_and_saveexec_b32 s1, s4
	s_cbranch_execz .LBB211_6
; %bb.5:
	s_waitcnt vmcnt(0) lgkmcnt(0)
	v_cmp_neq_f64_e32 vcc_lo, 1.0, v[10:11]
	v_cmp_neq_f64_e64 s0, 0, v[8:9]
	s_delay_alu instid0(VALU_DEP_1) | instskip(NEXT) | instid1(SALU_CYCLE_1)
	s_or_b32 s0, vcc_lo, s0
	s_or_not1_b32 s0, s0, exec_lo
.LBB211_6:
	s_or_b32 exec_lo, exec_lo, s1
	s_and_saveexec_b32 s1, s0
	s_cbranch_execz .LBB211_44
; %bb.7:
	s_clause 0x1
	s_load_b32 s0, s[2:3], 0x20
	s_load_b64 s[4:5], s[2:3], 0x18
	s_mov_b32 s1, 0
	s_waitcnt lgkmcnt(0)
	s_lshl_b64 s[6:7], s[0:1], 2
	s_delay_alu instid0(SALU_CYCLE_1)
	s_add_u32 s4, s4, s6
	s_addc_u32 s5, s5, s7
	s_lshl_b32 s0, -1, s0
	s_load_b32 s9, s[4:5], 0x0
	s_not_b32 s0, s0
	s_load_b128 s[4:7], s[2:3], 0x8
	s_mul_hi_u32 s0, s0, 0x2aaaaaab
	s_delay_alu instid0(SALU_CYCLE_1) | instskip(NEXT) | instid1(SALU_CYCLE_1)
	s_lshr_b32 s0, s0, 7
	s_add_i32 s8, s0, 1
	s_not_b32 s0, s0
	v_cvt_f32_u32_e32 v0, s8
	s_delay_alu instid0(VALU_DEP_1) | instskip(SKIP_2) | instid1(VALU_DEP_1)
	v_rcp_iflag_f32_e32 v0, v0
	s_waitcnt_depctr 0xfff
	v_mul_f32_e32 v0, 0x4f7ffffe, v0
	v_cvt_u32_f32_e32 v0, v0
	s_delay_alu instid0(VALU_DEP_1) | instskip(SKIP_2) | instid1(VALU_DEP_3)
	v_readfirstlane_b32 s1, v0
	v_mov_b32_e32 v0, 0
	v_mov_b32_e32 v1, 0
	s_mul_i32 s0, s0, s1
	s_delay_alu instid0(SALU_CYCLE_1) | instskip(NEXT) | instid1(SALU_CYCLE_1)
	s_mul_hi_u32 s0, s1, s0
	s_add_i32 s1, s1, s0
	s_delay_alu instid0(SALU_CYCLE_1) | instskip(NEXT) | instid1(SALU_CYCLE_1)
	s_mul_hi_u32 s0, s12, s1
	s_mul_i32 s1, s0, s8
	s_add_i32 s10, s0, 1
	s_sub_i32 s1, s12, s1
	s_delay_alu instid0(SALU_CYCLE_1)
	s_sub_i32 s11, s1, s8
	s_cmp_ge_u32 s1, s8
	s_cselect_b32 s0, s10, s0
	s_cselect_b32 s1, s11, s1
	s_add_i32 s10, s0, 1
	s_cmp_ge_u32 s1, s8
	s_cselect_b32 s10, s10, s0
	s_waitcnt lgkmcnt(0)
	s_add_i32 s0, s10, s9
	s_mul_i32 s14, s10, s8
	s_ashr_i32 s1, s0, 31
	s_sub_i32 s20, s12, s14
	s_lshl_b64 s[0:1], s[0:1], 2
	v_or_b32_e32 v2, s20, v12
	s_add_u32 s0, s6, s0
	s_addc_u32 s1, s7, s1
	s_load_b32 s0, s[0:1], 0x0
	s_load_b64 s[6:7], s[2:3], 0x38
	v_cmp_eq_u32_e32 vcc_lo, 0, v2
	v_dual_mov_b32 v3, v1 :: v_dual_mov_b32 v2, v0
	s_waitcnt lgkmcnt(0)
	s_ashr_i32 s1, s0, 31
	s_delay_alu instid0(SALU_CYCLE_1) | instskip(NEXT) | instid1(SALU_CYCLE_1)
	s_lshl_b64 s[8:9], s[0:1], 2
	s_add_u32 s8, s6, s8
	s_addc_u32 s9, s7, s9
	s_ashr_i32 s13, s12, 31
	s_load_b64 s[6:7], s[2:3], 0x68
	s_lshl_b64 s[10:11], s[12:13], 2
	s_delay_alu instid0(SALU_CYCLE_1)
	s_add_u32 s12, s4, s10
	s_addc_u32 s13, s5, s11
	s_load_b64 s[18:19], s[8:9], 0x0
	s_load_b32 s17, s[12:13], 0x0
	s_and_saveexec_b32 s21, vcc_lo
	s_cbranch_execz .LBB211_11
; %bb.8:
	s_waitcnt vmcnt(0)
	v_add_f64 v[0:1], v[10:11], -1.0
	s_lshl_b64 s[8:9], s[0:1], 4
	s_mov_b32 s22, exec_lo
	s_waitcnt lgkmcnt(0)
	s_add_u32 s8, s6, s8
	s_addc_u32 s9, s7, s9
	v_mbcnt_lo_u32_b32 v13, s22, 0
	s_load_b128 s[8:11], s[8:9], 0x0
	s_waitcnt vmcnt(0) expcnt(0) lgkmcnt(0)
	v_mul_f64 v[2:3], s[10:11], -v[8:9]
	s_delay_alu instid0(VALU_DEP_3)
	v_mul_f64 v[10:11], v[0:1], s[10:11]
	s_mov_b32 s10, exec_lo
	v_cmpx_eq_u32_e32 0, v13
	s_cbranch_execz .LBB211_10
; %bb.9:
	s_ashr_i32 s15, s14, 31
	s_delay_alu instid0(SALU_CYCLE_1) | instskip(NEXT) | instid1(SALU_CYCLE_1)
	s_lshl_b64 s[24:25], s[14:15], 2
	s_add_u32 s24, s4, s24
	s_addc_u32 s25, s5, s25
	s_bcnt1_i32_b32 s11, s22
	s_delay_alu instid0(SALU_CYCLE_1) | instskip(NEXT) | instid1(SALU_CYCLE_1)
	s_and_b32 s11, s11, 1
	v_dual_mov_b32 v13, 0 :: v_dual_mov_b32 v14, s11
	global_atomic_xor_b32 v13, v14, s[24:25]
.LBB211_10:
	s_or_b32 exec_lo, exec_lo, s10
	s_delay_alu instid0(VALU_DEP_3) | instskip(NEXT) | instid1(VALU_DEP_3)
	v_fma_f64 v[0:1], v[0:1], s[8:9], v[2:3]
	v_fma_f64 v[2:3], v[8:9], s[8:9], v[10:11]
.LBB211_11:
	s_or_b32 exec_lo, exec_lo, s21
	s_mul_i32 s8, s20, 0x300
	s_waitcnt lgkmcnt(0)
	s_sub_i32 s9, s19, s16
	s_sub_i32 s8, s8, s16
	s_mov_b32 s15, exec_lo
	s_add_i32 s8, s8, s18
	s_waitcnt vmcnt(0)
	v_add_nc_u32_e32 v8, s8, v12
	s_addk_i32 s8, 0x300
	s_delay_alu instid0(SALU_CYCLE_1)
	s_min_i32 s18, s8, s9
	s_delay_alu instid0(VALU_DEP_1) | instid1(SALU_CYCLE_1)
	v_cmpx_gt_i32_e64 s18, v8
	s_cbranch_execz .LBB211_15
; %bb.12:
	s_clause 0x2
	s_load_b32 s19, s[2:3], 0x0
	s_load_b128 s[8:11], s[2:3], 0x40
	s_load_b64 s[2:3], s[2:3], 0x50
	s_waitcnt lgkmcnt(0)
	s_bitcmp1_b32 s19, 0
	s_mov_b32 s19, 0
	s_cselect_b32 s21, -1, 0
.LBB211_13:                             ; =>This Inner Loop Header: Depth=1
	v_ashrrev_i32_e32 v9, 31, v8
	s_delay_alu instid0(VALU_DEP_1) | instskip(NEXT) | instid1(VALU_DEP_1)
	v_lshlrev_b64 v[10:11], 2, v[8:9]
	v_add_co_u32 v10, vcc_lo, s8, v10
	s_delay_alu instid0(VALU_DEP_2) | instskip(SKIP_3) | instid1(VALU_DEP_2)
	v_add_co_ci_u32_e32 v11, vcc_lo, s9, v11, vcc_lo
	global_load_b32 v11, v[10:11], off
	v_lshlrev_b64 v[9:10], 3, v[8:9]
	v_add_nc_u32_e32 v8, 0x100, v8
	v_add_co_u32 v9, vcc_lo, s10, v9
	s_delay_alu instid0(VALU_DEP_3) | instskip(SKIP_3) | instid1(VALU_DEP_1)
	v_add_co_ci_u32_e32 v10, vcc_lo, s11, v10, vcc_lo
	global_load_b64 v[9:10], v[9:10], off
	s_waitcnt vmcnt(1)
	v_subrev_nc_u32_e32 v13, s16, v11
	v_ashrrev_i32_e32 v14, 31, v13
	s_delay_alu instid0(VALU_DEP_1) | instskip(SKIP_3) | instid1(VALU_DEP_3)
	v_lshlrev_b64 v[13:14], 4, v[13:14]
	s_waitcnt vmcnt(0)
	v_cndmask_b32_e64 v10, v10, -v10, s21
	v_cvt_f64_f32_e32 v[17:18], v9
	v_add_co_u32 v13, vcc_lo, s2, v13
	s_delay_alu instid0(VALU_DEP_4) | instskip(NEXT) | instid1(VALU_DEP_4)
	v_add_co_ci_u32_e32 v14, vcc_lo, s3, v14, vcc_lo
	v_cvt_f64_f32_e32 v[10:11], v10
	v_cmp_le_i32_e32 vcc_lo, s18, v8
	global_load_b128 v[13:16], v[13:14], off
	s_or_b32 s19, vcc_lo, s19
	v_mul_f64 v[19:20], -v[6:7], v[10:11]
	v_mul_f64 v[9:10], v[4:5], v[10:11]
	s_delay_alu instid0(VALU_DEP_2) | instskip(NEXT) | instid1(VALU_DEP_2)
	v_fma_f64 v[19:20], v[4:5], v[17:18], v[19:20]
	v_fma_f64 v[9:10], v[6:7], v[17:18], v[9:10]
	s_waitcnt vmcnt(0)
	s_delay_alu instid0(VALU_DEP_2) | instskip(NEXT) | instid1(VALU_DEP_2)
	v_fma_f64 v[0:1], v[19:20], v[13:14], v[0:1]
	v_fma_f64 v[2:3], v[9:10], v[13:14], v[2:3]
	s_delay_alu instid0(VALU_DEP_2) | instskip(NEXT) | instid1(VALU_DEP_2)
	v_fma_f64 v[0:1], -v[9:10], v[15:16], v[0:1]
	v_fma_f64 v[2:3], v[19:20], v[15:16], v[2:3]
	s_and_not1_b32 exec_lo, exec_lo, s19
	s_cbranch_execnz .LBB211_13
; %bb.14:
	s_or_b32 exec_lo, exec_lo, s19
.LBB211_15:
	s_delay_alu instid0(SALU_CYCLE_1)
	s_or_b32 exec_lo, exec_lo, s15
	v_lshlrev_b32_e32 v4, 4, v12
	s_mov_b32 s2, exec_lo
	ds_store_b128 v4, v[0:3]
	s_waitcnt lgkmcnt(0)
	s_waitcnt_vscnt null, 0x0
	s_barrier
	buffer_gl0_inv
	v_cmpx_gt_u32_e32 0x80, v12
	s_cbranch_execz .LBB211_17
; %bb.16:
	ds_load_b128 v[0:3], v4 offset:2048
	ds_load_b128 v[5:8], v4
	s_waitcnt lgkmcnt(0)
	v_add_f64 v[0:1], v[0:1], v[5:6]
	v_add_f64 v[2:3], v[2:3], v[7:8]
	ds_store_b128 v4, v[0:3]
.LBB211_17:
	s_or_b32 exec_lo, exec_lo, s2
	s_delay_alu instid0(SALU_CYCLE_1)
	s_mov_b32 s2, exec_lo
	s_waitcnt lgkmcnt(0)
	s_barrier
	buffer_gl0_inv
	v_cmpx_gt_u32_e32 64, v12
	s_cbranch_execz .LBB211_19
; %bb.18:
	ds_load_b128 v[0:3], v4 offset:1024
	ds_load_b128 v[5:8], v4
	s_waitcnt lgkmcnt(0)
	v_add_f64 v[0:1], v[0:1], v[5:6]
	v_add_f64 v[2:3], v[2:3], v[7:8]
	ds_store_b128 v4, v[0:3]
.LBB211_19:
	s_or_b32 exec_lo, exec_lo, s2
	s_delay_alu instid0(SALU_CYCLE_1)
	s_mov_b32 s2, exec_lo
	s_waitcnt lgkmcnt(0)
	;; [unrolled: 16-line block ×6, first 2 shown]
	s_barrier
	buffer_gl0_inv
	v_cmpx_gt_u32_e32 2, v12
	s_cbranch_execz .LBB211_29
; %bb.28:
	ds_load_b128 v[0:3], v4
	ds_load_b128 v[5:8], v4 offset:32
	s_waitcnt lgkmcnt(0)
	v_add_f64 v[0:1], v[5:6], v[0:1]
	v_add_f64 v[2:3], v[7:8], v[2:3]
	ds_store_b128 v4, v[0:3]
.LBB211_29:
	s_or_b32 exec_lo, exec_lo, s2
	v_cmp_eq_u32_e32 vcc_lo, 0, v12
	s_waitcnt lgkmcnt(0)
	s_barrier
	buffer_gl0_inv
	s_and_saveexec_b32 s2, vcc_lo
	s_cbranch_execz .LBB211_31
; %bb.30:
	v_mov_b32_e32 v8, 0
	ds_load_b128 v[0:3], v8
	ds_load_b128 v[4:7], v8 offset:16
	s_waitcnt lgkmcnt(0)
	v_add_f64 v[0:1], v[4:5], v[0:1]
	v_add_f64 v[2:3], v[6:7], v[2:3]
	ds_store_b128 v8, v[0:3]
.LBB211_31:
	s_or_b32 exec_lo, exec_lo, s2
	s_waitcnt lgkmcnt(0)
	s_barrier
	buffer_gl0_inv
	s_and_b32 exec_lo, exec_lo, vcc_lo
	s_cbranch_execz .LBB211_44
; %bb.32:
	s_cmp_eq_u32 s20, 0
	s_cbranch_scc1 .LBB211_38
; %bb.33:
	s_ashr_i32 s15, s14, 31
	v_mov_b32_e32 v0, 0
	s_lshl_b64 s[2:3], s[14:15], 2
	s_delay_alu instid0(SALU_CYCLE_1)
	s_add_u32 s2, s4, s2
	s_addc_u32 s3, s5, s3
	s_branch .LBB211_35
.LBB211_34:                             ;   in Loop: Header=BB211_35 Depth=1
	s_or_b32 exec_lo, exec_lo, s4
	s_waitcnt vmcnt(0)
	v_readfirstlane_b32 s4, v1
	s_delay_alu instid0(VALU_DEP_1)
	s_cmp_eq_u32 s4, s17
	s_cbranch_scc0 .LBB211_37
.LBB211_35:                             ; =>This Inner Loop Header: Depth=1
	v_mbcnt_lo_u32_b32 v1, exec_lo, 0
	s_delay_alu instid0(VALU_DEP_1)
	v_cmp_eq_u32_e32 vcc_lo, 0, v1
                                        ; implicit-def: $vgpr1
	s_and_saveexec_b32 s4, vcc_lo
	s_cbranch_execz .LBB211_34
; %bb.36:                               ;   in Loop: Header=BB211_35 Depth=1
	global_load_b32 v1, v0, s[2:3] glc
	s_branch .LBB211_34
.LBB211_37:
	v_mov_b32_e32 v0, 0
	global_load_b32 v1, v0, s[12:13]
	s_waitcnt vmcnt(0)
	v_xor_b32_e32 v1, 1, v1
	global_store_b32 v0, v1, s[12:13]
.LBB211_38:
	v_mov_b32_e32 v8, 0
	s_mov_b32 s3, exec_lo
	s_lshl_b64 s[0:1], s[0:1], 4
	v_mbcnt_lo_u32_b32 v4, s3, 0
	s_add_u32 s0, s6, s0
	ds_load_b128 v[0:3], v8
	s_addc_u32 s1, s7, s1
	s_mov_b32 s2, exec_lo
	v_cmpx_eq_u32_e32 0, v4
	s_cbranch_execz .LBB211_41
; %bb.39:
	global_load_b64 v[6:7], v8, s[0:1]
	s_bcnt1_i32_b32 s3, s3
	s_delay_alu instid0(SALU_CYCLE_1) | instskip(SKIP_2) | instid1(VALU_DEP_1)
	v_cvt_f64_u32_e32 v[4:5], s3
	s_mov_b32 s3, 0
	s_waitcnt lgkmcnt(0)
	v_mul_f64 v[0:1], v[0:1], v[4:5]
.LBB211_40:                             ; =>This Inner Loop Header: Depth=1
	s_waitcnt vmcnt(0)
	s_delay_alu instid0(VALU_DEP_1)
	v_add_f64 v[4:5], v[6:7], v[0:1]
	global_atomic_cmpswap_b64 v[4:5], v8, v[4:7], s[0:1] glc
	s_waitcnt vmcnt(0)
	v_cmp_eq_u64_e32 vcc_lo, v[4:5], v[6:7]
	v_dual_mov_b32 v7, v5 :: v_dual_mov_b32 v6, v4
	s_or_b32 s3, vcc_lo, s3
	s_delay_alu instid0(SALU_CYCLE_1)
	s_and_not1_b32 exec_lo, exec_lo, s3
	s_cbranch_execnz .LBB211_40
.LBB211_41:
	s_or_b32 exec_lo, exec_lo, s2
	s_delay_alu instid0(SALU_CYCLE_1) | instskip(SKIP_3) | instid1(VALU_DEP_1)
	s_mov_b32 s3, exec_lo
	s_mov_b32 s2, 0
	s_waitcnt lgkmcnt(0)
	v_mbcnt_lo_u32_b32 v0, s3, 0
	v_cmp_eq_u32_e32 vcc_lo, 0, v0
	s_and_b32 s4, exec_lo, vcc_lo
	s_delay_alu instid0(SALU_CYCLE_1)
	s_mov_b32 exec_lo, s4
	s_cbranch_execz .LBB211_44
; %bb.42:
	v_mov_b32_e32 v6, 0
	s_bcnt1_i32_b32 s3, s3
	s_delay_alu instid0(SALU_CYCLE_1)
	v_cvt_f64_u32_e32 v[0:1], s3
	global_load_b64 v[4:5], v6, s[0:1] offset:8
	v_mul_f64 v[0:1], v[2:3], v[0:1]
.LBB211_43:                             ; =>This Inner Loop Header: Depth=1
	s_waitcnt vmcnt(0)
	s_delay_alu instid0(VALU_DEP_1)
	v_add_f64 v[2:3], v[4:5], v[0:1]
	global_atomic_cmpswap_b64 v[2:3], v6, v[2:5], s[0:1] offset:8 glc
	s_waitcnt vmcnt(0)
	v_cmp_eq_u64_e32 vcc_lo, v[2:3], v[4:5]
	v_dual_mov_b32 v5, v3 :: v_dual_mov_b32 v4, v2
	s_or_b32 s2, vcc_lo, s2
	s_delay_alu instid0(SALU_CYCLE_1)
	s_and_not1_b32 exec_lo, exec_lo, s2
	s_cbranch_execnz .LBB211_43
.LBB211_44:
	s_nop 0
	s_sendmsg sendmsg(MSG_DEALLOC_VGPRS)
	s_endpgm
	.section	.rodata,"a",@progbits
	.p2align	6, 0x0
	.amdhsa_kernel _ZN9rocsparseL27csrmvn_lrb_long_rows_kernelIii21rocsparse_complex_numIfES1_IdES3_S3_EEvbT_PjPT0_S7_jNS_24const_host_device_scalarIT4_EEPKS4_PKS6_PKT1_PKT2_SA_PT3_21rocsparse_index_base_b
		.amdhsa_group_segment_fixed_size 8192
		.amdhsa_private_segment_fixed_size 0
		.amdhsa_kernarg_size 120
		.amdhsa_user_sgpr_count 15
		.amdhsa_user_sgpr_dispatch_ptr 1
		.amdhsa_user_sgpr_queue_ptr 0
		.amdhsa_user_sgpr_kernarg_segment_ptr 1
		.amdhsa_user_sgpr_dispatch_id 0
		.amdhsa_user_sgpr_private_segment_size 0
		.amdhsa_wavefront_size32 1
		.amdhsa_uses_dynamic_stack 0
		.amdhsa_enable_private_segment 0
		.amdhsa_system_sgpr_workgroup_id_x 1
		.amdhsa_system_sgpr_workgroup_id_y 0
		.amdhsa_system_sgpr_workgroup_id_z 0
		.amdhsa_system_sgpr_workgroup_info 0
		.amdhsa_system_vgpr_workitem_id 2
		.amdhsa_next_free_vgpr 21
		.amdhsa_next_free_sgpr 26
		.amdhsa_reserve_vcc 1
		.amdhsa_float_round_mode_32 0
		.amdhsa_float_round_mode_16_64 0
		.amdhsa_float_denorm_mode_32 3
		.amdhsa_float_denorm_mode_16_64 3
		.amdhsa_dx10_clamp 1
		.amdhsa_ieee_mode 1
		.amdhsa_fp16_overflow 0
		.amdhsa_workgroup_processor_mode 1
		.amdhsa_memory_ordered 1
		.amdhsa_forward_progress 0
		.amdhsa_shared_vgpr_count 0
		.amdhsa_exception_fp_ieee_invalid_op 0
		.amdhsa_exception_fp_denorm_src 0
		.amdhsa_exception_fp_ieee_div_zero 0
		.amdhsa_exception_fp_ieee_overflow 0
		.amdhsa_exception_fp_ieee_underflow 0
		.amdhsa_exception_fp_ieee_inexact 0
		.amdhsa_exception_int_div_zero 0
	.end_amdhsa_kernel
	.section	.text._ZN9rocsparseL27csrmvn_lrb_long_rows_kernelIii21rocsparse_complex_numIfES1_IdES3_S3_EEvbT_PjPT0_S7_jNS_24const_host_device_scalarIT4_EEPKS4_PKS6_PKT1_PKT2_SA_PT3_21rocsparse_index_base_b,"axG",@progbits,_ZN9rocsparseL27csrmvn_lrb_long_rows_kernelIii21rocsparse_complex_numIfES1_IdES3_S3_EEvbT_PjPT0_S7_jNS_24const_host_device_scalarIT4_EEPKS4_PKS6_PKT1_PKT2_SA_PT3_21rocsparse_index_base_b,comdat
.Lfunc_end211:
	.size	_ZN9rocsparseL27csrmvn_lrb_long_rows_kernelIii21rocsparse_complex_numIfES1_IdES3_S3_EEvbT_PjPT0_S7_jNS_24const_host_device_scalarIT4_EEPKS4_PKS6_PKT1_PKT2_SA_PT3_21rocsparse_index_base_b, .Lfunc_end211-_ZN9rocsparseL27csrmvn_lrb_long_rows_kernelIii21rocsparse_complex_numIfES1_IdES3_S3_EEvbT_PjPT0_S7_jNS_24const_host_device_scalarIT4_EEPKS4_PKS6_PKT1_PKT2_SA_PT3_21rocsparse_index_base_b
                                        ; -- End function
	.section	.AMDGPU.csdata,"",@progbits
; Kernel info:
; codeLenInByte = 2320
; NumSgprs: 28
; NumVgprs: 21
; ScratchSize: 0
; MemoryBound: 0
; FloatMode: 240
; IeeeMode: 1
; LDSByteSize: 8192 bytes/workgroup (compile time only)
; SGPRBlocks: 3
; VGPRBlocks: 2
; NumSGPRsForWavesPerEU: 28
; NumVGPRsForWavesPerEU: 21
; Occupancy: 16
; WaveLimiterHint : 1
; COMPUTE_PGM_RSRC2:SCRATCH_EN: 0
; COMPUTE_PGM_RSRC2:USER_SGPR: 15
; COMPUTE_PGM_RSRC2:TRAP_HANDLER: 0
; COMPUTE_PGM_RSRC2:TGID_X_EN: 1
; COMPUTE_PGM_RSRC2:TGID_Y_EN: 0
; COMPUTE_PGM_RSRC2:TGID_Z_EN: 0
; COMPUTE_PGM_RSRC2:TIDIG_COMP_CNT: 2
	.section	.text._ZN9rocsparseL28csrmvn_lrb_short_rows_kernelIli21rocsparse_complex_numIfES1_IdES3_S3_EEvbT_PT0_S6_jNS_24const_host_device_scalarIT4_EEPKS4_PKS5_PKT1_PKT2_S9_PT3_21rocsparse_index_base_b,"axG",@progbits,_ZN9rocsparseL28csrmvn_lrb_short_rows_kernelIli21rocsparse_complex_numIfES1_IdES3_S3_EEvbT_PT0_S6_jNS_24const_host_device_scalarIT4_EEPKS4_PKS5_PKT1_PKT2_S9_PT3_21rocsparse_index_base_b,comdat
	.globl	_ZN9rocsparseL28csrmvn_lrb_short_rows_kernelIli21rocsparse_complex_numIfES1_IdES3_S3_EEvbT_PT0_S6_jNS_24const_host_device_scalarIT4_EEPKS4_PKS5_PKT1_PKT2_S9_PT3_21rocsparse_index_base_b ; -- Begin function _ZN9rocsparseL28csrmvn_lrb_short_rows_kernelIli21rocsparse_complex_numIfES1_IdES3_S3_EEvbT_PT0_S6_jNS_24const_host_device_scalarIT4_EEPKS4_PKS5_PKT1_PKT2_S9_PT3_21rocsparse_index_base_b
	.p2align	8
	.type	_ZN9rocsparseL28csrmvn_lrb_short_rows_kernelIli21rocsparse_complex_numIfES1_IdES3_S3_EEvbT_PT0_S6_jNS_24const_host_device_scalarIT4_EEPKS4_PKS5_PKT1_PKT2_S9_PT3_21rocsparse_index_base_b,@function
_ZN9rocsparseL28csrmvn_lrb_short_rows_kernelIli21rocsparse_complex_numIfES1_IdES3_S3_EEvbT_PT0_S6_jNS_24const_host_device_scalarIT4_EEPKS4_PKS5_PKT1_PKT2_S9_PT3_21rocsparse_index_base_b: ; @_ZN9rocsparseL28csrmvn_lrb_short_rows_kernelIli21rocsparse_complex_numIfES1_IdES3_S3_EEvbT_PT0_S6_jNS_24const_host_device_scalarIT4_EEPKS4_PKS5_PKT1_PKT2_S9_PT3_21rocsparse_index_base_b
; %bb.0:
	s_clause 0x2
	s_load_b64 s[12:13], s[0:1], 0x70
	s_load_b128 s[8:11], s[0:1], 0x28
	s_load_b128 s[4:7], s[0:1], 0x58
	s_mov_b64 s[2:3], src_private_base
	v_mov_b32_e32 v1, 0
	s_waitcnt lgkmcnt(0)
	s_bitcmp1_b32 s13, 0
	v_dual_mov_b32 v3, s8 :: v_dual_mov_b32 v6, s5
	s_cselect_b32 s2, -1, 0
	v_mov_b32_e32 v4, s9
	s_and_b32 vcc_lo, s2, exec_lo
	s_cselect_b32 s13, s3, s9
	v_cndmask_b32_e64 v1, s8, v1, s2
	v_dual_mov_b32 v5, s4 :: v_dual_mov_b32 v2, s13
	s_clause 0x1
	scratch_store_b64 off, v[3:4], off
	scratch_store_b64 off, v[5:6], off offset:8
	v_dual_mov_b32 v12, s11 :: v_dual_mov_b32 v11, s10
	flat_load_b64 v[9:10], v[1:2]
	s_xor_b32 s10, s2, -1
	s_cbranch_vccnz .LBB212_2
; %bb.1:
	v_dual_mov_b32 v1, s8 :: v_dual_mov_b32 v2, s9
	flat_load_b64 v[11:12], v[1:2] offset:8
.LBB212_2:
	s_and_b32 s8, s2, exec_lo
	s_cselect_b32 s3, s3, s5
	s_delay_alu instid0(SALU_CYCLE_1) | instskip(SKIP_2) | instid1(VALU_DEP_2)
	v_dual_mov_b32 v1, 8 :: v_dual_mov_b32 v2, s3
	v_dual_mov_b32 v8, s7 :: v_dual_mov_b32 v7, s6
	s_and_not1_b32 vcc_lo, exec_lo, s10
	v_cndmask_b32_e64 v1, s4, v1, s2
	flat_load_b64 v[5:6], v[1:2]
	s_cbranch_vccnz .LBB212_4
; %bb.3:
	v_dual_mov_b32 v1, s4 :: v_dual_mov_b32 v2, s5
	flat_load_b64 v[7:8], v[1:2] offset:8
.LBB212_4:
	s_waitcnt vmcnt(1) lgkmcnt(1)
	v_cmp_eq_f64_e32 vcc_lo, 0, v[9:10]
	v_cmp_eq_f64_e64 s2, 0, v[11:12]
	s_delay_alu instid0(VALU_DEP_1)
	s_and_b32 s4, vcc_lo, s2
	s_mov_b32 s2, -1
	s_and_saveexec_b32 s3, s4
	s_cbranch_execz .LBB212_6
; %bb.5:
	s_waitcnt vmcnt(0) lgkmcnt(0)
	v_cmp_neq_f64_e32 vcc_lo, 1.0, v[5:6]
	v_cmp_neq_f64_e64 s2, 0, v[7:8]
	s_delay_alu instid0(VALU_DEP_1) | instskip(NEXT) | instid1(SALU_CYCLE_1)
	s_or_b32 s2, vcc_lo, s2
	s_or_not1_b32 s2, s2, exec_lo
.LBB212_6:
	s_or_b32 exec_lo, exec_lo, s3
	s_and_saveexec_b32 s3, s2
	s_cbranch_execz .LBB212_20
; %bb.7:
	s_clause 0x1
	s_load_b32 s2, s[0:1], 0x20
	s_load_b128 s[16:19], s[0:1], 0x10
	s_mov_b32 s3, 0
	s_delay_alu instid0(SALU_CYCLE_1) | instskip(SKIP_2) | instid1(SALU_CYCLE_1)
	s_mov_b32 s7, s3
	s_waitcnt lgkmcnt(0)
	s_lshl_b64 s[4:5], s[2:3], 2
	s_add_u32 s4, s18, s4
	s_addc_u32 s5, s19, s5
	s_add_i32 s6, s2, 1
	s_delay_alu instid0(SALU_CYCLE_1) | instskip(NEXT) | instid1(SALU_CYCLE_1)
	s_lshl_b64 s[6:7], s[6:7], 2
	s_add_u32 s6, s18, s6
	s_addc_u32 s7, s19, s7
	s_clause 0x1
	s_load_b32 s13, s[4:5], 0x0
	s_load_b32 s4, s[6:7], 0x0
	s_lshl_b32 s14, s15, 8
	s_delay_alu instid0(SALU_CYCLE_1) | instskip(SKIP_2) | instid1(SALU_CYCLE_1)
	s_add_i32 s5, s14, 0x100
	s_waitcnt lgkmcnt(0)
	s_sub_i32 s4, s4, s13
	s_min_u32 s15, s4, s5
	s_cmp_gt_u32 s2, 23
	s_cbranch_scc1 .LBB212_14
; %bb.8:
	s_clause 0x1
	s_load_b32 s19, s[0:1], 0x0
	s_load_b256 s[4:11], s[0:1], 0x38
	v_mov_b32_e32 v14, 0
	s_lshl_b32 s18, 0x100, s2
	v_bfe_u32 v15, v0, 0, s2
	v_lshl_add_u32 v19, v0, 4, 0
	s_delay_alu instid0(VALU_DEP_3)
	v_mov_b32_e32 v16, v14
	s_waitcnt lgkmcnt(0)
	s_bitcmp1_b32 s19, 0
	s_cselect_b32 s19, -1, 0
	s_branch .LBB212_11
.LBB212_9:                              ;   in Loop: Header=BB212_11 Depth=1
	s_or_b32 exec_lo, exec_lo, s21
	ds_store_2addr_b64 v19, v[3:4], v[17:18] offset1:1
.LBB212_10:                             ;   in Loop: Header=BB212_11 Depth=1
	s_or_b32 exec_lo, exec_lo, s20
	v_add_nc_u32_e32 v19, 0x1000, v19
	s_addk_i32 s3, 0x100
	s_delay_alu instid0(SALU_CYCLE_1)
	s_cmp_ge_u32 s3, s18
	s_cbranch_scc1 .LBB212_14
.LBB212_11:                             ; =>This Inner Loop Header: Depth=1
	v_add_nc_u32_e32 v1, s3, v0
	s_mov_b32 s20, exec_lo
	s_delay_alu instid0(VALU_DEP_1) | instskip(NEXT) | instid1(VALU_DEP_1)
	v_lshrrev_b32_e32 v1, s2, v1
	v_add_nc_u32_e32 v1, s14, v1
	s_delay_alu instid0(VALU_DEP_1)
	v_cmpx_gt_u32_e64 s15, v1
	s_cbranch_execz .LBB212_10
; %bb.12:                               ;   in Loop: Header=BB212_11 Depth=1
	v_add_nc_u32_e32 v13, s13, v1
	s_delay_alu instid0(VALU_DEP_1) | instskip(NEXT) | instid1(VALU_DEP_1)
	v_lshlrev_b64 v[1:2], 2, v[13:14]
	v_add_co_u32 v1, vcc_lo, s16, v1
	s_delay_alu instid0(VALU_DEP_2) | instskip(SKIP_3) | instid1(VALU_DEP_1)
	v_add_co_ci_u32_e32 v2, vcc_lo, s17, v2, vcc_lo
	global_load_b32 v1, v[1:2], off
	s_waitcnt vmcnt(0)
	v_ashrrev_i32_e32 v2, 31, v1
	v_lshlrev_b64 v[1:2], 3, v[1:2]
	s_delay_alu instid0(VALU_DEP_1) | instskip(NEXT) | instid1(VALU_DEP_2)
	v_add_co_u32 v1, vcc_lo, s4, v1
	v_add_co_ci_u32_e32 v2, vcc_lo, s5, v2, vcc_lo
	global_load_b128 v[1:4], v[1:2], off
	s_waitcnt vmcnt(0)
	v_sub_co_u32 v17, vcc_lo, v3, v1
	v_sub_co_ci_u32_e32 v18, vcc_lo, v4, v2, vcc_lo
	v_mov_b32_e32 v3, 0
	v_mov_b32_e32 v4, 0
	s_delay_alu instid0(VALU_DEP_3) | instskip(NEXT) | instid1(VALU_DEP_2)
	v_cmp_gt_i64_e32 vcc_lo, v[17:18], v[15:16]
	v_dual_mov_b32 v18, v4 :: v_dual_mov_b32 v17, v3
	s_and_saveexec_b32 s21, vcc_lo
	s_cbranch_execz .LBB212_9
; %bb.13:                               ;   in Loop: Header=BB212_11 Depth=1
	v_sub_co_u32 v1, vcc_lo, v1, s12
	v_subrev_co_ci_u32_e32 v2, vcc_lo, 0, v2, vcc_lo
	s_delay_alu instid0(VALU_DEP_2) | instskip(NEXT) | instid1(VALU_DEP_2)
	v_add_co_u32 v1, vcc_lo, v1, v15
	v_add_co_ci_u32_e32 v2, vcc_lo, 0, v2, vcc_lo
	s_delay_alu instid0(VALU_DEP_1) | instskip(SKIP_1) | instid1(VALU_DEP_2)
	v_lshlrev_b64 v[3:4], 2, v[1:2]
	v_lshlrev_b64 v[1:2], 3, v[1:2]
	v_add_co_u32 v3, vcc_lo, s6, v3
	s_delay_alu instid0(VALU_DEP_3) | instskip(NEXT) | instid1(VALU_DEP_3)
	v_add_co_ci_u32_e32 v4, vcc_lo, s7, v4, vcc_lo
	v_add_co_u32 v1, vcc_lo, s8, v1
	s_delay_alu instid0(VALU_DEP_4)
	v_add_co_ci_u32_e32 v2, vcc_lo, s9, v2, vcc_lo
	global_load_b32 v3, v[3:4], off
	global_load_b64 v[17:18], v[1:2], off
	s_waitcnt vmcnt(1)
	v_subrev_nc_u32_e32 v1, s12, v3
	s_waitcnt vmcnt(0)
	v_cndmask_b32_e64 v13, v18, -v18, s19
	v_cvt_f64_f32_e32 v[17:18], v17
	s_delay_alu instid0(VALU_DEP_3) | instskip(NEXT) | instid1(VALU_DEP_3)
	v_ashrrev_i32_e32 v2, 31, v1
	v_cvt_f64_f32_e32 v[20:21], v13
	s_delay_alu instid0(VALU_DEP_2) | instskip(NEXT) | instid1(VALU_DEP_1)
	v_lshlrev_b64 v[1:2], 4, v[1:2]
	v_add_co_u32 v1, vcc_lo, s10, v1
	s_delay_alu instid0(VALU_DEP_2) | instskip(SKIP_3) | instid1(VALU_DEP_2)
	v_add_co_ci_u32_e32 v2, vcc_lo, s11, v2, vcc_lo
	global_load_b128 v[1:4], v[1:2], off
	v_mul_f64 v[22:23], v[9:10], v[20:21]
	v_mul_f64 v[20:21], -v[11:12], v[20:21]
	v_fma_f64 v[22:23], v[11:12], v[17:18], v[22:23]
	s_delay_alu instid0(VALU_DEP_2) | instskip(SKIP_1) | instid1(VALU_DEP_2)
	v_fma_f64 v[17:18], v[9:10], v[17:18], v[20:21]
	s_waitcnt vmcnt(0)
	v_mul_f64 v[20:21], v[3:4], -v[22:23]
	s_delay_alu instid0(VALU_DEP_2) | instskip(NEXT) | instid1(VALU_DEP_2)
	v_mul_f64 v[24:25], v[3:4], v[17:18]
	v_fma_f64 v[3:4], v[17:18], v[1:2], v[20:21]
	s_delay_alu instid0(VALU_DEP_2)
	v_fma_f64 v[17:18], v[22:23], v[1:2], v[24:25]
	s_branch .LBB212_9
.LBB212_14:
	s_sub_i32 s3, s15, s14
	s_waitcnt vmcnt(0) lgkmcnt(0)
	s_waitcnt_vscnt null, 0x0
	v_cmp_gt_u32_e32 vcc_lo, s3, v0
	s_barrier
	buffer_gl0_inv
	s_and_b32 exec_lo, exec_lo, vcc_lo
	s_cbranch_execz .LBB212_20
; %bb.15:
	v_add3_u32 v1, s13, s14, v0
	v_mov_b32_e32 v2, 0
	s_load_b64 s[4:5], s[0:1], 0x68
	v_lshlrev_b32_e32 v0, s2, v0
	s_mov_b32 s0, 1
	s_delay_alu instid0(VALU_DEP_2) | instskip(NEXT) | instid1(VALU_DEP_1)
	v_lshlrev_b64 v[1:2], 2, v[1:2]
	v_add_co_u32 v1, vcc_lo, s16, v1
	s_delay_alu instid0(VALU_DEP_2) | instskip(SKIP_4) | instid1(VALU_DEP_2)
	v_add_co_ci_u32_e32 v2, vcc_lo, s17, v2, vcc_lo
	global_load_b32 v9, v[1:2], off
	v_mov_b32_e32 v2, 0
	v_mov_b32_e32 v3, 0
	v_lshl_add_u32 v4, v0, 4, 0
	v_dual_mov_b32 v0, v2 :: v_dual_mov_b32 v1, v3
.LBB212_16:                             ; =>This Inner Loop Header: Depth=1
	ds_load_2addr_b64 v[10:13], v4 offset1:1
	v_add_nc_u32_e32 v4, 16, v4
	s_lshr_b32 s1, s0, s2
	s_add_i32 s0, s0, 1
	s_cmp_lg_u32 s1, 0
	s_waitcnt lgkmcnt(0)
	v_add_f64 v[0:1], v[0:1], v[10:11]
	v_add_f64 v[2:3], v[2:3], v[12:13]
	s_cbranch_scc0 .LBB212_16
; %bb.17:
	v_cmp_neq_f64_e32 vcc_lo, 0, v[5:6]
	v_cmp_neq_f64_e64 s0, 0, v[7:8]
	s_waitcnt vmcnt(0)
	v_ashrrev_i32_e32 v10, 31, v9
	s_delay_alu instid0(VALU_DEP_1) | instskip(NEXT) | instid1(VALU_DEP_3)
	v_lshlrev_b64 v[9:10], 4, v[9:10]
	s_or_b32 s1, vcc_lo, s0
	s_delay_alu instid0(SALU_CYCLE_1)
	s_and_saveexec_b32 s0, s1
	s_cbranch_execz .LBB212_19
; %bb.18:
	s_delay_alu instid0(VALU_DEP_1) | instskip(NEXT) | instid1(VALU_DEP_2)
	v_add_co_u32 v11, vcc_lo, s4, v9
	v_add_co_ci_u32_e32 v12, vcc_lo, s5, v10, vcc_lo
	global_load_b128 v[11:14], v[11:12], off
	s_waitcnt vmcnt(0)
	v_fma_f64 v[0:1], v[5:6], v[11:12], v[0:1]
	v_fma_f64 v[2:3], v[7:8], v[11:12], v[2:3]
	s_delay_alu instid0(VALU_DEP_2) | instskip(NEXT) | instid1(VALU_DEP_2)
	v_fma_f64 v[0:1], -v[7:8], v[13:14], v[0:1]
	v_fma_f64 v[2:3], v[5:6], v[13:14], v[2:3]
.LBB212_19:
	s_or_b32 exec_lo, exec_lo, s0
	s_delay_alu instid0(VALU_DEP_1)
	v_add_co_u32 v4, vcc_lo, s4, v9
	v_add_co_ci_u32_e32 v5, vcc_lo, s5, v10, vcc_lo
	global_store_b128 v[4:5], v[0:3], off
.LBB212_20:
	s_endpgm
	.section	.rodata,"a",@progbits
	.p2align	6, 0x0
	.amdhsa_kernel _ZN9rocsparseL28csrmvn_lrb_short_rows_kernelIli21rocsparse_complex_numIfES1_IdES3_S3_EEvbT_PT0_S6_jNS_24const_host_device_scalarIT4_EEPKS4_PKS5_PKT1_PKT2_S9_PT3_21rocsparse_index_base_b
		.amdhsa_group_segment_fixed_size 0
		.amdhsa_private_segment_fixed_size 24
		.amdhsa_kernarg_size 120
		.amdhsa_user_sgpr_count 15
		.amdhsa_user_sgpr_dispatch_ptr 0
		.amdhsa_user_sgpr_queue_ptr 0
		.amdhsa_user_sgpr_kernarg_segment_ptr 1
		.amdhsa_user_sgpr_dispatch_id 0
		.amdhsa_user_sgpr_private_segment_size 0
		.amdhsa_wavefront_size32 1
		.amdhsa_uses_dynamic_stack 0
		.amdhsa_enable_private_segment 1
		.amdhsa_system_sgpr_workgroup_id_x 1
		.amdhsa_system_sgpr_workgroup_id_y 0
		.amdhsa_system_sgpr_workgroup_id_z 0
		.amdhsa_system_sgpr_workgroup_info 0
		.amdhsa_system_vgpr_workitem_id 0
		.amdhsa_next_free_vgpr 26
		.amdhsa_next_free_sgpr 22
		.amdhsa_reserve_vcc 1
		.amdhsa_float_round_mode_32 0
		.amdhsa_float_round_mode_16_64 0
		.amdhsa_float_denorm_mode_32 3
		.amdhsa_float_denorm_mode_16_64 3
		.amdhsa_dx10_clamp 1
		.amdhsa_ieee_mode 1
		.amdhsa_fp16_overflow 0
		.amdhsa_workgroup_processor_mode 1
		.amdhsa_memory_ordered 1
		.amdhsa_forward_progress 0
		.amdhsa_shared_vgpr_count 0
		.amdhsa_exception_fp_ieee_invalid_op 0
		.amdhsa_exception_fp_denorm_src 0
		.amdhsa_exception_fp_ieee_div_zero 0
		.amdhsa_exception_fp_ieee_overflow 0
		.amdhsa_exception_fp_ieee_underflow 0
		.amdhsa_exception_fp_ieee_inexact 0
		.amdhsa_exception_int_div_zero 0
	.end_amdhsa_kernel
	.section	.text._ZN9rocsparseL28csrmvn_lrb_short_rows_kernelIli21rocsparse_complex_numIfES1_IdES3_S3_EEvbT_PT0_S6_jNS_24const_host_device_scalarIT4_EEPKS4_PKS5_PKT1_PKT2_S9_PT3_21rocsparse_index_base_b,"axG",@progbits,_ZN9rocsparseL28csrmvn_lrb_short_rows_kernelIli21rocsparse_complex_numIfES1_IdES3_S3_EEvbT_PT0_S6_jNS_24const_host_device_scalarIT4_EEPKS4_PKS5_PKT1_PKT2_S9_PT3_21rocsparse_index_base_b,comdat
.Lfunc_end212:
	.size	_ZN9rocsparseL28csrmvn_lrb_short_rows_kernelIli21rocsparse_complex_numIfES1_IdES3_S3_EEvbT_PT0_S6_jNS_24const_host_device_scalarIT4_EEPKS4_PKS5_PKT1_PKT2_S9_PT3_21rocsparse_index_base_b, .Lfunc_end212-_ZN9rocsparseL28csrmvn_lrb_short_rows_kernelIli21rocsparse_complex_numIfES1_IdES3_S3_EEvbT_PT0_S6_jNS_24const_host_device_scalarIT4_EEPKS4_PKS5_PKT1_PKT2_S9_PT3_21rocsparse_index_base_b
                                        ; -- End function
	.section	.AMDGPU.csdata,"",@progbits
; Kernel info:
; codeLenInByte = 1256
; NumSgprs: 24
; NumVgprs: 26
; ScratchSize: 24
; MemoryBound: 0
; FloatMode: 240
; IeeeMode: 1
; LDSByteSize: 0 bytes/workgroup (compile time only)
; SGPRBlocks: 2
; VGPRBlocks: 3
; NumSGPRsForWavesPerEU: 24
; NumVGPRsForWavesPerEU: 26
; Occupancy: 16
; WaveLimiterHint : 1
; COMPUTE_PGM_RSRC2:SCRATCH_EN: 1
; COMPUTE_PGM_RSRC2:USER_SGPR: 15
; COMPUTE_PGM_RSRC2:TRAP_HANDLER: 0
; COMPUTE_PGM_RSRC2:TGID_X_EN: 1
; COMPUTE_PGM_RSRC2:TGID_Y_EN: 0
; COMPUTE_PGM_RSRC2:TGID_Z_EN: 0
; COMPUTE_PGM_RSRC2:TIDIG_COMP_CNT: 0
	.section	.text._ZN9rocsparseL30csrmvn_lrb_short_rows_2_kernelIli21rocsparse_complex_numIfES1_IdES3_S3_EEvbT_PT0_S6_jNS_24const_host_device_scalarIT4_EEPKS4_PKS5_PKT1_PKT2_S9_PT3_21rocsparse_index_base_b,"axG",@progbits,_ZN9rocsparseL30csrmvn_lrb_short_rows_2_kernelIli21rocsparse_complex_numIfES1_IdES3_S3_EEvbT_PT0_S6_jNS_24const_host_device_scalarIT4_EEPKS4_PKS5_PKT1_PKT2_S9_PT3_21rocsparse_index_base_b,comdat
	.globl	_ZN9rocsparseL30csrmvn_lrb_short_rows_2_kernelIli21rocsparse_complex_numIfES1_IdES3_S3_EEvbT_PT0_S6_jNS_24const_host_device_scalarIT4_EEPKS4_PKS5_PKT1_PKT2_S9_PT3_21rocsparse_index_base_b ; -- Begin function _ZN9rocsparseL30csrmvn_lrb_short_rows_2_kernelIli21rocsparse_complex_numIfES1_IdES3_S3_EEvbT_PT0_S6_jNS_24const_host_device_scalarIT4_EEPKS4_PKS5_PKT1_PKT2_S9_PT3_21rocsparse_index_base_b
	.p2align	8
	.type	_ZN9rocsparseL30csrmvn_lrb_short_rows_2_kernelIli21rocsparse_complex_numIfES1_IdES3_S3_EEvbT_PT0_S6_jNS_24const_host_device_scalarIT4_EEPKS4_PKS5_PKT1_PKT2_S9_PT3_21rocsparse_index_base_b,@function
_ZN9rocsparseL30csrmvn_lrb_short_rows_2_kernelIli21rocsparse_complex_numIfES1_IdES3_S3_EEvbT_PT0_S6_jNS_24const_host_device_scalarIT4_EEPKS4_PKS5_PKT1_PKT2_S9_PT3_21rocsparse_index_base_b: ; @_ZN9rocsparseL30csrmvn_lrb_short_rows_2_kernelIli21rocsparse_complex_numIfES1_IdES3_S3_EEvbT_PT0_S6_jNS_24const_host_device_scalarIT4_EEPKS4_PKS5_PKT1_PKT2_S9_PT3_21rocsparse_index_base_b
; %bb.0:
	s_clause 0x2
	s_load_b64 s[16:17], s[0:1], 0x70
	s_load_b128 s[8:11], s[0:1], 0x28
	s_load_b128 s[4:7], s[0:1], 0x58
	s_mov_b64 s[2:3], src_private_base
	v_mov_b32_e32 v1, 0
	s_waitcnt lgkmcnt(0)
	s_bitcmp1_b32 s17, 0
	v_dual_mov_b32 v3, s8 :: v_dual_mov_b32 v6, s5
	s_cselect_b32 s2, -1, 0
	v_mov_b32_e32 v4, s9
	s_and_b32 vcc_lo, s2, exec_lo
	s_cselect_b32 s12, s3, s9
	v_cndmask_b32_e64 v1, s8, v1, s2
	v_dual_mov_b32 v5, s4 :: v_dual_mov_b32 v2, s12
	s_clause 0x1
	scratch_store_b64 off, v[3:4], off
	scratch_store_b64 off, v[5:6], off offset:8
	v_dual_mov_b32 v16, s11 :: v_dual_mov_b32 v15, s10
	flat_load_b64 v[13:14], v[1:2]
	s_xor_b32 s10, s2, -1
	s_cbranch_vccnz .LBB213_2
; %bb.1:
	v_dual_mov_b32 v1, s8 :: v_dual_mov_b32 v2, s9
	flat_load_b64 v[15:16], v[1:2] offset:8
.LBB213_2:
	s_and_b32 s8, s2, exec_lo
	s_cselect_b32 s3, s3, s5
	s_delay_alu instid0(SALU_CYCLE_1) | instskip(SKIP_2) | instid1(VALU_DEP_2)
	v_dual_mov_b32 v1, 8 :: v_dual_mov_b32 v2, s3
	v_dual_mov_b32 v12, s7 :: v_dual_mov_b32 v11, s6
	s_and_not1_b32 vcc_lo, exec_lo, s10
	v_cndmask_b32_e64 v1, s4, v1, s2
	flat_load_b64 v[9:10], v[1:2]
	s_cbranch_vccnz .LBB213_4
; %bb.3:
	v_dual_mov_b32 v1, s4 :: v_dual_mov_b32 v2, s5
	flat_load_b64 v[11:12], v[1:2] offset:8
.LBB213_4:
	s_waitcnt vmcnt(1) lgkmcnt(1)
	v_cmp_eq_f64_e32 vcc_lo, 0, v[13:14]
	v_cmp_eq_f64_e64 s2, 0, v[15:16]
	s_delay_alu instid0(VALU_DEP_1)
	s_and_b32 s4, vcc_lo, s2
	s_mov_b32 s2, -1
	s_and_saveexec_b32 s3, s4
	s_cbranch_execz .LBB213_6
; %bb.5:
	s_waitcnt vmcnt(0) lgkmcnt(0)
	v_cmp_neq_f64_e32 vcc_lo, 1.0, v[9:10]
	v_cmp_neq_f64_e64 s2, 0, v[11:12]
	s_delay_alu instid0(VALU_DEP_1) | instskip(NEXT) | instid1(SALU_CYCLE_1)
	s_or_b32 s2, vcc_lo, s2
	s_or_not1_b32 s2, s2, exec_lo
.LBB213_6:
	s_or_b32 exec_lo, exec_lo, s3
	s_and_saveexec_b32 s3, s2
	s_cbranch_execz .LBB213_32
; %bb.7:
	s_clause 0x2
	s_load_b32 s12, s[0:1], 0x20
	s_load_b32 s2, s[0:1], 0x0
	s_load_b128 s[8:11], s[0:1], 0x10
	s_mov_b32 s13, 0
	v_mov_b32_e32 v18, 0
	s_mov_b32 s5, s13
	s_waitcnt lgkmcnt(0)
	v_lshrrev_b32_e32 v1, s12, v0
	s_bitcmp1_b32 s2, 0
	v_bfe_u32 v17, v0, 0, s12
	s_cselect_b32 s18, -1, 0
	s_lshl_b64 s[2:3], s[12:13], 2
	s_delay_alu instid0(SALU_CYCLE_1) | instskip(SKIP_2) | instid1(SALU_CYCLE_1)
	s_add_u32 s2, s10, s2
	s_addc_u32 s3, s11, s3
	s_add_i32 s4, s12, 1
	s_lshl_b64 s[4:5], s[4:5], 2
	s_delay_alu instid0(SALU_CYCLE_1)
	s_add_u32 s4, s10, s4
	s_addc_u32 s5, s11, s5
	s_clause 0x1
	s_load_b32 s14, s[2:3], 0x0
	s_load_b32 s17, s[4:5], 0x0
	s_clause 0x1
	s_load_b64 s[10:11], s[0:1], 0x68
	s_load_b256 s[0:7], s[0:1], 0x38
	s_lshr_b32 s13, 0x400, s12
	s_delay_alu instid0(SALU_CYCLE_1) | instskip(NEXT) | instid1(SALU_CYCLE_1)
	s_mul_i32 s15, s13, s15
	v_add_nc_u32_e32 v1, s15, v1
	s_add_i32 s19, s15, s13
	s_waitcnt lgkmcnt(0)
	s_sub_i32 s17, s17, s14
	s_delay_alu instid0(SALU_CYCLE_1)
	s_min_u32 s17, s17, s19
	s_mov_b32 s19, exec_lo
	v_cmpx_gt_u32_e64 s17, v1
	s_cbranch_execz .LBB213_11
; %bb.8:
	v_dual_mov_b32 v2, v18 :: v_dual_add_nc_u32 v1, s14, v1
	s_delay_alu instid0(VALU_DEP_1) | instskip(NEXT) | instid1(VALU_DEP_1)
	v_lshlrev_b64 v[1:2], 2, v[1:2]
	v_add_co_u32 v1, vcc_lo, s8, v1
	s_delay_alu instid0(VALU_DEP_2) | instskip(SKIP_3) | instid1(VALU_DEP_1)
	v_add_co_ci_u32_e32 v2, vcc_lo, s9, v2, vcc_lo
	global_load_b32 v1, v[1:2], off
	s_waitcnt vmcnt(0)
	v_ashrrev_i32_e32 v2, 31, v1
	v_lshlrev_b64 v[1:2], 3, v[1:2]
	s_delay_alu instid0(VALU_DEP_1) | instskip(NEXT) | instid1(VALU_DEP_2)
	v_add_co_u32 v1, vcc_lo, s0, v1
	v_add_co_ci_u32_e32 v2, vcc_lo, s1, v2, vcc_lo
	global_load_b128 v[5:8], v[1:2], off
	v_mov_b32_e32 v1, 0
	v_mov_b32_e32 v2, 0
	s_waitcnt vmcnt(0)
	v_sub_co_u32 v3, vcc_lo, v7, v5
	v_sub_co_ci_u32_e32 v4, vcc_lo, v8, v6, vcc_lo
	s_delay_alu instid0(VALU_DEP_1)
	v_cmp_gt_i64_e32 vcc_lo, v[3:4], v[17:18]
	v_dual_mov_b32 v4, v2 :: v_dual_mov_b32 v3, v1
	s_and_saveexec_b32 s20, vcc_lo
	s_cbranch_execz .LBB213_10
; %bb.9:
	v_sub_co_u32 v1, vcc_lo, v5, s16
	v_subrev_co_ci_u32_e32 v2, vcc_lo, 0, v6, vcc_lo
	s_delay_alu instid0(VALU_DEP_2) | instskip(NEXT) | instid1(VALU_DEP_2)
	v_add_co_u32 v1, vcc_lo, v1, v17
	v_add_co_ci_u32_e32 v2, vcc_lo, 0, v2, vcc_lo
	s_delay_alu instid0(VALU_DEP_1) | instskip(SKIP_1) | instid1(VALU_DEP_2)
	v_lshlrev_b64 v[3:4], 2, v[1:2]
	v_lshlrev_b64 v[1:2], 3, v[1:2]
	v_add_co_u32 v3, vcc_lo, s2, v3
	s_delay_alu instid0(VALU_DEP_3) | instskip(NEXT) | instid1(VALU_DEP_3)
	v_add_co_ci_u32_e32 v4, vcc_lo, s3, v4, vcc_lo
	v_add_co_u32 v1, vcc_lo, s4, v1
	s_delay_alu instid0(VALU_DEP_4)
	v_add_co_ci_u32_e32 v2, vcc_lo, s5, v2, vcc_lo
	global_load_b32 v3, v[3:4], off
	global_load_b64 v[1:2], v[1:2], off
	s_waitcnt vmcnt(1)
	v_subrev_nc_u32_e32 v3, s16, v3
	s_waitcnt vmcnt(0)
	v_cndmask_b32_e64 v2, v2, -v2, s18
	s_delay_alu instid0(VALU_DEP_2) | instskip(NEXT) | instid1(VALU_DEP_2)
	v_ashrrev_i32_e32 v4, 31, v3
	v_cvt_f64_f32_e32 v[7:8], v2
	v_cvt_f64_f32_e32 v[1:2], v1
	s_delay_alu instid0(VALU_DEP_3) | instskip(NEXT) | instid1(VALU_DEP_1)
	v_lshlrev_b64 v[3:4], 4, v[3:4]
	v_add_co_u32 v3, vcc_lo, s6, v3
	s_delay_alu instid0(VALU_DEP_2) | instskip(SKIP_3) | instid1(VALU_DEP_2)
	v_add_co_ci_u32_e32 v4, vcc_lo, s7, v4, vcc_lo
	global_load_b128 v[3:6], v[3:4], off
	v_mul_f64 v[19:20], v[13:14], v[7:8]
	v_mul_f64 v[7:8], -v[15:16], v[7:8]
	v_fma_f64 v[19:20], v[15:16], v[1:2], v[19:20]
	s_delay_alu instid0(VALU_DEP_2) | instskip(SKIP_1) | instid1(VALU_DEP_2)
	v_fma_f64 v[1:2], v[13:14], v[1:2], v[7:8]
	s_waitcnt vmcnt(0)
	v_mul_f64 v[7:8], v[5:6], -v[19:20]
	s_delay_alu instid0(VALU_DEP_2) | instskip(NEXT) | instid1(VALU_DEP_2)
	v_mul_f64 v[5:6], v[5:6], v[1:2]
	v_fma_f64 v[1:2], v[1:2], v[3:4], v[7:8]
	s_delay_alu instid0(VALU_DEP_2)
	v_fma_f64 v[3:4], v[19:20], v[3:4], v[5:6]
.LBB213_10:
	s_or_b32 exec_lo, exec_lo, s20
	v_lshlrev_b32_e32 v5, 4, v0
	ds_store_b128 v5, v[1:4]
.LBB213_11:
	s_or_b32 exec_lo, exec_lo, s19
	v_or_b32_e32 v1, 0x100, v0
	s_mov_b32 s19, exec_lo
	s_delay_alu instid0(VALU_DEP_1) | instskip(NEXT) | instid1(VALU_DEP_1)
	v_lshrrev_b32_e32 v1, s12, v1
	v_add_nc_u32_e32 v1, s15, v1
	s_delay_alu instid0(VALU_DEP_1)
	v_cmpx_gt_u32_e64 s17, v1
	s_cbranch_execz .LBB213_15
; %bb.12:
	v_dual_mov_b32 v2, 0 :: v_dual_add_nc_u32 v1, s14, v1
	s_delay_alu instid0(VALU_DEP_1) | instskip(NEXT) | instid1(VALU_DEP_1)
	v_lshlrev_b64 v[1:2], 2, v[1:2]
	v_add_co_u32 v1, vcc_lo, s8, v1
	s_delay_alu instid0(VALU_DEP_2) | instskip(SKIP_3) | instid1(VALU_DEP_1)
	v_add_co_ci_u32_e32 v2, vcc_lo, s9, v2, vcc_lo
	global_load_b32 v1, v[1:2], off
	s_waitcnt vmcnt(0)
	v_ashrrev_i32_e32 v2, 31, v1
	v_lshlrev_b64 v[1:2], 3, v[1:2]
	s_delay_alu instid0(VALU_DEP_1) | instskip(NEXT) | instid1(VALU_DEP_2)
	v_add_co_u32 v1, vcc_lo, s0, v1
	v_add_co_ci_u32_e32 v2, vcc_lo, s1, v2, vcc_lo
	global_load_b128 v[5:8], v[1:2], off
	v_mov_b32_e32 v1, 0
	v_mov_b32_e32 v2, 0
	s_waitcnt vmcnt(0)
	v_sub_co_u32 v3, vcc_lo, v7, v5
	v_sub_co_ci_u32_e32 v4, vcc_lo, v8, v6, vcc_lo
	s_delay_alu instid0(VALU_DEP_1)
	v_cmp_gt_i64_e32 vcc_lo, v[3:4], v[17:18]
	v_dual_mov_b32 v4, v2 :: v_dual_mov_b32 v3, v1
	s_and_saveexec_b32 s20, vcc_lo
	s_cbranch_execz .LBB213_14
; %bb.13:
	v_sub_co_u32 v1, vcc_lo, v5, s16
	v_subrev_co_ci_u32_e32 v2, vcc_lo, 0, v6, vcc_lo
	s_delay_alu instid0(VALU_DEP_2) | instskip(NEXT) | instid1(VALU_DEP_2)
	v_add_co_u32 v1, vcc_lo, v1, v17
	v_add_co_ci_u32_e32 v2, vcc_lo, 0, v2, vcc_lo
	s_delay_alu instid0(VALU_DEP_1) | instskip(SKIP_1) | instid1(VALU_DEP_2)
	v_lshlrev_b64 v[3:4], 2, v[1:2]
	v_lshlrev_b64 v[1:2], 3, v[1:2]
	v_add_co_u32 v3, vcc_lo, s2, v3
	s_delay_alu instid0(VALU_DEP_3) | instskip(NEXT) | instid1(VALU_DEP_3)
	v_add_co_ci_u32_e32 v4, vcc_lo, s3, v4, vcc_lo
	v_add_co_u32 v1, vcc_lo, s4, v1
	s_delay_alu instid0(VALU_DEP_4)
	v_add_co_ci_u32_e32 v2, vcc_lo, s5, v2, vcc_lo
	global_load_b32 v3, v[3:4], off
	global_load_b64 v[1:2], v[1:2], off
	s_waitcnt vmcnt(1)
	v_subrev_nc_u32_e32 v3, s16, v3
	s_waitcnt vmcnt(0)
	v_cndmask_b32_e64 v2, v2, -v2, s18
	s_delay_alu instid0(VALU_DEP_2) | instskip(NEXT) | instid1(VALU_DEP_2)
	v_ashrrev_i32_e32 v4, 31, v3
	v_cvt_f64_f32_e32 v[7:8], v2
	v_cvt_f64_f32_e32 v[1:2], v1
	s_delay_alu instid0(VALU_DEP_3) | instskip(NEXT) | instid1(VALU_DEP_1)
	v_lshlrev_b64 v[3:4], 4, v[3:4]
	v_add_co_u32 v3, vcc_lo, s6, v3
	s_delay_alu instid0(VALU_DEP_2) | instskip(SKIP_3) | instid1(VALU_DEP_2)
	v_add_co_ci_u32_e32 v4, vcc_lo, s7, v4, vcc_lo
	global_load_b128 v[3:6], v[3:4], off
	v_mul_f64 v[19:20], v[13:14], v[7:8]
	v_mul_f64 v[7:8], -v[15:16], v[7:8]
	v_fma_f64 v[19:20], v[15:16], v[1:2], v[19:20]
	s_delay_alu instid0(VALU_DEP_2) | instskip(SKIP_1) | instid1(VALU_DEP_2)
	v_fma_f64 v[1:2], v[13:14], v[1:2], v[7:8]
	s_waitcnt vmcnt(0)
	v_mul_f64 v[7:8], v[5:6], -v[19:20]
	s_delay_alu instid0(VALU_DEP_2) | instskip(NEXT) | instid1(VALU_DEP_2)
	v_mul_f64 v[5:6], v[5:6], v[1:2]
	v_fma_f64 v[1:2], v[1:2], v[3:4], v[7:8]
	s_delay_alu instid0(VALU_DEP_2)
	v_fma_f64 v[3:4], v[19:20], v[3:4], v[5:6]
.LBB213_14:
	s_or_b32 exec_lo, exec_lo, s20
	v_lshlrev_b32_e32 v5, 4, v0
	ds_store_b128 v5, v[1:4] offset:4096
.LBB213_15:
	s_or_b32 exec_lo, exec_lo, s19
	v_or_b32_e32 v1, 0x200, v0
	s_mov_b32 s19, exec_lo
	s_delay_alu instid0(VALU_DEP_1) | instskip(NEXT) | instid1(VALU_DEP_1)
	v_lshrrev_b32_e32 v1, s12, v1
	v_add_nc_u32_e32 v1, s15, v1
	s_delay_alu instid0(VALU_DEP_1)
	v_cmpx_gt_u32_e64 s17, v1
	s_cbranch_execz .LBB213_19
; %bb.16:
	v_dual_mov_b32 v2, 0 :: v_dual_add_nc_u32 v1, s14, v1
	s_delay_alu instid0(VALU_DEP_1) | instskip(NEXT) | instid1(VALU_DEP_1)
	v_lshlrev_b64 v[1:2], 2, v[1:2]
	v_add_co_u32 v1, vcc_lo, s8, v1
	s_delay_alu instid0(VALU_DEP_2) | instskip(SKIP_3) | instid1(VALU_DEP_1)
	v_add_co_ci_u32_e32 v2, vcc_lo, s9, v2, vcc_lo
	global_load_b32 v1, v[1:2], off
	s_waitcnt vmcnt(0)
	v_ashrrev_i32_e32 v2, 31, v1
	v_lshlrev_b64 v[1:2], 3, v[1:2]
	s_delay_alu instid0(VALU_DEP_1) | instskip(NEXT) | instid1(VALU_DEP_2)
	v_add_co_u32 v1, vcc_lo, s0, v1
	v_add_co_ci_u32_e32 v2, vcc_lo, s1, v2, vcc_lo
	global_load_b128 v[5:8], v[1:2], off
	v_mov_b32_e32 v1, 0
	v_mov_b32_e32 v2, 0
	s_waitcnt vmcnt(0)
	v_sub_co_u32 v3, vcc_lo, v7, v5
	v_sub_co_ci_u32_e32 v4, vcc_lo, v8, v6, vcc_lo
	s_delay_alu instid0(VALU_DEP_1)
	v_cmp_gt_i64_e32 vcc_lo, v[3:4], v[17:18]
	v_dual_mov_b32 v4, v2 :: v_dual_mov_b32 v3, v1
	s_and_saveexec_b32 s20, vcc_lo
	s_cbranch_execz .LBB213_18
; %bb.17:
	v_sub_co_u32 v1, vcc_lo, v5, s16
	v_subrev_co_ci_u32_e32 v2, vcc_lo, 0, v6, vcc_lo
	s_delay_alu instid0(VALU_DEP_2) | instskip(NEXT) | instid1(VALU_DEP_2)
	v_add_co_u32 v1, vcc_lo, v1, v17
	v_add_co_ci_u32_e32 v2, vcc_lo, 0, v2, vcc_lo
	s_delay_alu instid0(VALU_DEP_1) | instskip(SKIP_1) | instid1(VALU_DEP_2)
	v_lshlrev_b64 v[3:4], 2, v[1:2]
	v_lshlrev_b64 v[1:2], 3, v[1:2]
	v_add_co_u32 v3, vcc_lo, s2, v3
	s_delay_alu instid0(VALU_DEP_3) | instskip(NEXT) | instid1(VALU_DEP_3)
	v_add_co_ci_u32_e32 v4, vcc_lo, s3, v4, vcc_lo
	v_add_co_u32 v1, vcc_lo, s4, v1
	s_delay_alu instid0(VALU_DEP_4)
	v_add_co_ci_u32_e32 v2, vcc_lo, s5, v2, vcc_lo
	global_load_b32 v3, v[3:4], off
	global_load_b64 v[1:2], v[1:2], off
	s_waitcnt vmcnt(1)
	v_subrev_nc_u32_e32 v3, s16, v3
	s_waitcnt vmcnt(0)
	v_cndmask_b32_e64 v2, v2, -v2, s18
	s_delay_alu instid0(VALU_DEP_2) | instskip(NEXT) | instid1(VALU_DEP_2)
	v_ashrrev_i32_e32 v4, 31, v3
	v_cvt_f64_f32_e32 v[7:8], v2
	v_cvt_f64_f32_e32 v[1:2], v1
	s_delay_alu instid0(VALU_DEP_3) | instskip(NEXT) | instid1(VALU_DEP_1)
	v_lshlrev_b64 v[3:4], 4, v[3:4]
	v_add_co_u32 v3, vcc_lo, s6, v3
	s_delay_alu instid0(VALU_DEP_2) | instskip(SKIP_3) | instid1(VALU_DEP_2)
	v_add_co_ci_u32_e32 v4, vcc_lo, s7, v4, vcc_lo
	global_load_b128 v[3:6], v[3:4], off
	v_mul_f64 v[19:20], v[13:14], v[7:8]
	v_mul_f64 v[7:8], -v[15:16], v[7:8]
	v_fma_f64 v[19:20], v[15:16], v[1:2], v[19:20]
	s_delay_alu instid0(VALU_DEP_2) | instskip(SKIP_1) | instid1(VALU_DEP_2)
	v_fma_f64 v[1:2], v[13:14], v[1:2], v[7:8]
	s_waitcnt vmcnt(0)
	v_mul_f64 v[7:8], v[5:6], -v[19:20]
	s_delay_alu instid0(VALU_DEP_2) | instskip(NEXT) | instid1(VALU_DEP_2)
	v_mul_f64 v[5:6], v[5:6], v[1:2]
	v_fma_f64 v[1:2], v[1:2], v[3:4], v[7:8]
	s_delay_alu instid0(VALU_DEP_2)
	v_fma_f64 v[3:4], v[19:20], v[3:4], v[5:6]
.LBB213_18:
	s_or_b32 exec_lo, exec_lo, s20
	v_lshlrev_b32_e32 v5, 4, v0
	ds_store_b128 v5, v[1:4] offset:8192
.LBB213_19:
	s_or_b32 exec_lo, exec_lo, s19
	v_or_b32_e32 v1, 0x300, v0
	s_mov_b32 s19, exec_lo
	s_delay_alu instid0(VALU_DEP_1) | instskip(NEXT) | instid1(VALU_DEP_1)
	v_lshrrev_b32_e32 v1, s12, v1
	v_add_nc_u32_e32 v1, s15, v1
	s_delay_alu instid0(VALU_DEP_1)
	v_cmpx_gt_u32_e64 s17, v1
	s_cbranch_execz .LBB213_23
; %bb.20:
	v_dual_mov_b32 v2, 0 :: v_dual_add_nc_u32 v1, s14, v1
	s_delay_alu instid0(VALU_DEP_1) | instskip(NEXT) | instid1(VALU_DEP_1)
	v_lshlrev_b64 v[1:2], 2, v[1:2]
	v_add_co_u32 v1, vcc_lo, s8, v1
	s_delay_alu instid0(VALU_DEP_2) | instskip(SKIP_3) | instid1(VALU_DEP_1)
	v_add_co_ci_u32_e32 v2, vcc_lo, s9, v2, vcc_lo
	global_load_b32 v1, v[1:2], off
	s_waitcnt vmcnt(0)
	v_ashrrev_i32_e32 v2, 31, v1
	v_lshlrev_b64 v[1:2], 3, v[1:2]
	s_delay_alu instid0(VALU_DEP_1) | instskip(NEXT) | instid1(VALU_DEP_2)
	v_add_co_u32 v1, vcc_lo, s0, v1
	v_add_co_ci_u32_e32 v2, vcc_lo, s1, v2, vcc_lo
	global_load_b128 v[5:8], v[1:2], off
	v_mov_b32_e32 v1, 0
	v_mov_b32_e32 v2, 0
	s_waitcnt vmcnt(0)
	v_sub_co_u32 v3, vcc_lo, v7, v5
	v_sub_co_ci_u32_e32 v4, vcc_lo, v8, v6, vcc_lo
	s_delay_alu instid0(VALU_DEP_1)
	v_cmp_gt_i64_e32 vcc_lo, v[3:4], v[17:18]
	v_dual_mov_b32 v4, v2 :: v_dual_mov_b32 v3, v1
	s_and_saveexec_b32 s0, vcc_lo
	s_cbranch_execz .LBB213_22
; %bb.21:
	v_sub_co_u32 v1, vcc_lo, v5, s16
	v_subrev_co_ci_u32_e32 v2, vcc_lo, 0, v6, vcc_lo
	s_delay_alu instid0(VALU_DEP_2) | instskip(NEXT) | instid1(VALU_DEP_2)
	v_add_co_u32 v1, vcc_lo, v1, v17
	v_add_co_ci_u32_e32 v2, vcc_lo, 0, v2, vcc_lo
	s_delay_alu instid0(VALU_DEP_1) | instskip(SKIP_1) | instid1(VALU_DEP_2)
	v_lshlrev_b64 v[3:4], 2, v[1:2]
	v_lshlrev_b64 v[1:2], 3, v[1:2]
	v_add_co_u32 v3, vcc_lo, s2, v3
	s_delay_alu instid0(VALU_DEP_3) | instskip(NEXT) | instid1(VALU_DEP_3)
	v_add_co_ci_u32_e32 v4, vcc_lo, s3, v4, vcc_lo
	v_add_co_u32 v1, vcc_lo, s4, v1
	s_delay_alu instid0(VALU_DEP_4)
	v_add_co_ci_u32_e32 v2, vcc_lo, s5, v2, vcc_lo
	global_load_b32 v3, v[3:4], off
	global_load_b64 v[1:2], v[1:2], off
	s_waitcnt vmcnt(1)
	v_subrev_nc_u32_e32 v3, s16, v3
	s_waitcnt vmcnt(0)
	v_cndmask_b32_e64 v2, v2, -v2, s18
	s_delay_alu instid0(VALU_DEP_2) | instskip(NEXT) | instid1(VALU_DEP_2)
	v_ashrrev_i32_e32 v4, 31, v3
	v_cvt_f64_f32_e32 v[7:8], v2
	v_cvt_f64_f32_e32 v[1:2], v1
	s_delay_alu instid0(VALU_DEP_3) | instskip(NEXT) | instid1(VALU_DEP_1)
	v_lshlrev_b64 v[3:4], 4, v[3:4]
	v_add_co_u32 v3, vcc_lo, s6, v3
	s_delay_alu instid0(VALU_DEP_2) | instskip(SKIP_3) | instid1(VALU_DEP_2)
	v_add_co_ci_u32_e32 v4, vcc_lo, s7, v4, vcc_lo
	global_load_b128 v[3:6], v[3:4], off
	v_mul_f64 v[17:18], v[13:14], v[7:8]
	v_mul_f64 v[7:8], -v[15:16], v[7:8]
	v_fma_f64 v[15:16], v[15:16], v[1:2], v[17:18]
	s_delay_alu instid0(VALU_DEP_2) | instskip(SKIP_1) | instid1(VALU_DEP_2)
	v_fma_f64 v[1:2], v[13:14], v[1:2], v[7:8]
	s_waitcnt vmcnt(0)
	v_mul_f64 v[7:8], v[5:6], -v[15:16]
	s_delay_alu instid0(VALU_DEP_2) | instskip(NEXT) | instid1(VALU_DEP_2)
	v_mul_f64 v[5:6], v[5:6], v[1:2]
	v_fma_f64 v[1:2], v[1:2], v[3:4], v[7:8]
	s_delay_alu instid0(VALU_DEP_2)
	v_fma_f64 v[3:4], v[15:16], v[3:4], v[5:6]
.LBB213_22:
	s_or_b32 exec_lo, exec_lo, s0
	v_lshlrev_b32_e32 v5, 4, v0
	ds_store_b128 v5, v[1:4] offset:12288
.LBB213_23:
	s_or_b32 exec_lo, exec_lo, s19
	s_cmp_lt_u32 s12, 11
	s_waitcnt vmcnt(0) lgkmcnt(0)
	s_waitcnt_vscnt null, 0x0
	s_barrier
	buffer_gl0_inv
	s_cbranch_scc0 .LBB213_32
; %bb.24:
	v_cmp_neq_f64_e32 vcc_lo, 0, v[9:10]
	v_cmp_neq_f64_e64 s0, 0, v[11:12]
	v_mov_b32_e32 v5, 0
	s_sub_i32 s1, s17, s15
	s_add_i32 s14, s14, s15
	s_mov_b32 s2, 0
	s_delay_alu instid0(VALU_DEP_2)
	s_or_b32 s0, vcc_lo, s0
	s_branch .LBB213_27
.LBB213_25:                             ;   in Loop: Header=BB213_27 Depth=1
	s_or_b32 exec_lo, exec_lo, s4
	s_delay_alu instid0(VALU_DEP_1) | instskip(NEXT) | instid1(VALU_DEP_2)
	v_add_co_u32 v6, vcc_lo, s10, v6
	v_add_co_ci_u32_e32 v7, vcc_lo, s11, v7, vcc_lo
	global_store_b128 v[6:7], v[1:4], off
.LBB213_26:                             ;   in Loop: Header=BB213_27 Depth=1
	s_or_b32 exec_lo, exec_lo, s3
	s_addk_i32 s2, 0x100
	s_delay_alu instid0(SALU_CYCLE_1)
	s_cmp_lt_u32 s2, s13
	s_cbranch_scc0 .LBB213_32
.LBB213_27:                             ; =>This Loop Header: Depth=1
                                        ;     Child Loop BB213_29 Depth 2
	v_add_nc_u32_e32 v1, s2, v0
	s_mov_b32 s3, exec_lo
	s_delay_alu instid0(VALU_DEP_1)
	v_cmpx_gt_u32_e64 s1, v1
	s_cbranch_execz .LBB213_26
; %bb.28:                               ;   in Loop: Header=BB213_27 Depth=1
	v_add_nc_u32_e32 v4, s14, v1
	v_lshlrev_b32_e32 v1, s12, v1
	s_mov_b32 s4, 1
	s_delay_alu instid0(VALU_DEP_2) | instskip(NEXT) | instid1(VALU_DEP_1)
	v_lshlrev_b64 v[2:3], 2, v[4:5]
	v_add_co_u32 v2, vcc_lo, s8, v2
	s_delay_alu instid0(VALU_DEP_2) | instskip(SKIP_3) | instid1(VALU_DEP_1)
	v_add_co_ci_u32_e32 v3, vcc_lo, s9, v3, vcc_lo
	global_load_b32 v6, v[2:3], off
	v_mov_b32_e32 v3, 0
	v_dual_mov_b32 v4, 0 :: v_dual_lshlrev_b32 v7, 4, v1
	v_dual_mov_b32 v1, v3 :: v_dual_mov_b32 v2, v4
.LBB213_29:                             ;   Parent Loop BB213_27 Depth=1
                                        ; =>  This Inner Loop Header: Depth=2
	ds_load_b128 v[13:16], v7
	v_add_nc_u32_e32 v7, 16, v7
	s_lshr_b32 s5, s4, s12
	s_add_i32 s4, s4, 1
	s_cmp_lg_u32 s5, 0
	s_waitcnt lgkmcnt(0)
	v_add_f64 v[1:2], v[1:2], v[13:14]
	v_add_f64 v[3:4], v[3:4], v[15:16]
	s_cbranch_scc0 .LBB213_29
; %bb.30:                               ;   in Loop: Header=BB213_27 Depth=1
	s_waitcnt vmcnt(0)
	v_ashrrev_i32_e32 v7, 31, v6
	s_delay_alu instid0(VALU_DEP_1)
	v_lshlrev_b64 v[6:7], 4, v[6:7]
	s_and_saveexec_b32 s4, s0
	s_cbranch_execz .LBB213_25
; %bb.31:                               ;   in Loop: Header=BB213_27 Depth=1
	s_delay_alu instid0(VALU_DEP_1) | instskip(NEXT) | instid1(VALU_DEP_2)
	v_add_co_u32 v13, vcc_lo, s10, v6
	v_add_co_ci_u32_e32 v14, vcc_lo, s11, v7, vcc_lo
	global_load_b128 v[13:16], v[13:14], off
	s_waitcnt vmcnt(0)
	v_fma_f64 v[1:2], v[9:10], v[13:14], v[1:2]
	v_fma_f64 v[3:4], v[11:12], v[13:14], v[3:4]
	s_delay_alu instid0(VALU_DEP_2) | instskip(NEXT) | instid1(VALU_DEP_2)
	v_fma_f64 v[1:2], -v[11:12], v[15:16], v[1:2]
	v_fma_f64 v[3:4], v[9:10], v[15:16], v[3:4]
	s_branch .LBB213_25
.LBB213_32:
	s_endpgm
	.section	.rodata,"a",@progbits
	.p2align	6, 0x0
	.amdhsa_kernel _ZN9rocsparseL30csrmvn_lrb_short_rows_2_kernelIli21rocsparse_complex_numIfES1_IdES3_S3_EEvbT_PT0_S6_jNS_24const_host_device_scalarIT4_EEPKS4_PKS5_PKT1_PKT2_S9_PT3_21rocsparse_index_base_b
		.amdhsa_group_segment_fixed_size 16384
		.amdhsa_private_segment_fixed_size 24
		.amdhsa_kernarg_size 120
		.amdhsa_user_sgpr_count 15
		.amdhsa_user_sgpr_dispatch_ptr 0
		.amdhsa_user_sgpr_queue_ptr 0
		.amdhsa_user_sgpr_kernarg_segment_ptr 1
		.amdhsa_user_sgpr_dispatch_id 0
		.amdhsa_user_sgpr_private_segment_size 0
		.amdhsa_wavefront_size32 1
		.amdhsa_uses_dynamic_stack 0
		.amdhsa_enable_private_segment 1
		.amdhsa_system_sgpr_workgroup_id_x 1
		.amdhsa_system_sgpr_workgroup_id_y 0
		.amdhsa_system_sgpr_workgroup_id_z 0
		.amdhsa_system_sgpr_workgroup_info 0
		.amdhsa_system_vgpr_workitem_id 0
		.amdhsa_next_free_vgpr 21
		.amdhsa_next_free_sgpr 21
		.amdhsa_reserve_vcc 1
		.amdhsa_float_round_mode_32 0
		.amdhsa_float_round_mode_16_64 0
		.amdhsa_float_denorm_mode_32 3
		.amdhsa_float_denorm_mode_16_64 3
		.amdhsa_dx10_clamp 1
		.amdhsa_ieee_mode 1
		.amdhsa_fp16_overflow 0
		.amdhsa_workgroup_processor_mode 1
		.amdhsa_memory_ordered 1
		.amdhsa_forward_progress 0
		.amdhsa_shared_vgpr_count 0
		.amdhsa_exception_fp_ieee_invalid_op 0
		.amdhsa_exception_fp_denorm_src 0
		.amdhsa_exception_fp_ieee_div_zero 0
		.amdhsa_exception_fp_ieee_overflow 0
		.amdhsa_exception_fp_ieee_underflow 0
		.amdhsa_exception_fp_ieee_inexact 0
		.amdhsa_exception_int_div_zero 0
	.end_amdhsa_kernel
	.section	.text._ZN9rocsparseL30csrmvn_lrb_short_rows_2_kernelIli21rocsparse_complex_numIfES1_IdES3_S3_EEvbT_PT0_S6_jNS_24const_host_device_scalarIT4_EEPKS4_PKS5_PKT1_PKT2_S9_PT3_21rocsparse_index_base_b,"axG",@progbits,_ZN9rocsparseL30csrmvn_lrb_short_rows_2_kernelIli21rocsparse_complex_numIfES1_IdES3_S3_EEvbT_PT0_S6_jNS_24const_host_device_scalarIT4_EEPKS4_PKS5_PKT1_PKT2_S9_PT3_21rocsparse_index_base_b,comdat
.Lfunc_end213:
	.size	_ZN9rocsparseL30csrmvn_lrb_short_rows_2_kernelIli21rocsparse_complex_numIfES1_IdES3_S3_EEvbT_PT0_S6_jNS_24const_host_device_scalarIT4_EEPKS4_PKS5_PKT1_PKT2_S9_PT3_21rocsparse_index_base_b, .Lfunc_end213-_ZN9rocsparseL30csrmvn_lrb_short_rows_2_kernelIli21rocsparse_complex_numIfES1_IdES3_S3_EEvbT_PT0_S6_jNS_24const_host_device_scalarIT4_EEPKS4_PKS5_PKT1_PKT2_S9_PT3_21rocsparse_index_base_b
                                        ; -- End function
	.section	.AMDGPU.csdata,"",@progbits
; Kernel info:
; codeLenInByte = 2560
; NumSgprs: 23
; NumVgprs: 21
; ScratchSize: 24
; MemoryBound: 0
; FloatMode: 240
; IeeeMode: 1
; LDSByteSize: 16384 bytes/workgroup (compile time only)
; SGPRBlocks: 2
; VGPRBlocks: 2
; NumSGPRsForWavesPerEU: 23
; NumVGPRsForWavesPerEU: 21
; Occupancy: 16
; WaveLimiterHint : 1
; COMPUTE_PGM_RSRC2:SCRATCH_EN: 1
; COMPUTE_PGM_RSRC2:USER_SGPR: 15
; COMPUTE_PGM_RSRC2:TRAP_HANDLER: 0
; COMPUTE_PGM_RSRC2:TGID_X_EN: 1
; COMPUTE_PGM_RSRC2:TGID_Y_EN: 0
; COMPUTE_PGM_RSRC2:TGID_Z_EN: 0
; COMPUTE_PGM_RSRC2:TIDIG_COMP_CNT: 0
	.section	.text._ZN9rocsparseL41csrmvn_lrb_medium_rows_warp_reduce_kernelILj256ELj32Eli21rocsparse_complex_numIfES1_IdES3_S3_EEvbT1_lPT2_S6_jNS_24const_host_device_scalarIT6_EEPKS4_PKS5_PKT3_PKT4_S9_PT5_21rocsparse_index_base_b,"axG",@progbits,_ZN9rocsparseL41csrmvn_lrb_medium_rows_warp_reduce_kernelILj256ELj32Eli21rocsparse_complex_numIfES1_IdES3_S3_EEvbT1_lPT2_S6_jNS_24const_host_device_scalarIT6_EEPKS4_PKS5_PKT3_PKT4_S9_PT5_21rocsparse_index_base_b,comdat
	.globl	_ZN9rocsparseL41csrmvn_lrb_medium_rows_warp_reduce_kernelILj256ELj32Eli21rocsparse_complex_numIfES1_IdES3_S3_EEvbT1_lPT2_S6_jNS_24const_host_device_scalarIT6_EEPKS4_PKS5_PKT3_PKT4_S9_PT5_21rocsparse_index_base_b ; -- Begin function _ZN9rocsparseL41csrmvn_lrb_medium_rows_warp_reduce_kernelILj256ELj32Eli21rocsparse_complex_numIfES1_IdES3_S3_EEvbT1_lPT2_S6_jNS_24const_host_device_scalarIT6_EEPKS4_PKS5_PKT3_PKT4_S9_PT5_21rocsparse_index_base_b
	.p2align	8
	.type	_ZN9rocsparseL41csrmvn_lrb_medium_rows_warp_reduce_kernelILj256ELj32Eli21rocsparse_complex_numIfES1_IdES3_S3_EEvbT1_lPT2_S6_jNS_24const_host_device_scalarIT6_EEPKS4_PKS5_PKT3_PKT4_S9_PT5_21rocsparse_index_base_b,@function
_ZN9rocsparseL41csrmvn_lrb_medium_rows_warp_reduce_kernelILj256ELj32Eli21rocsparse_complex_numIfES1_IdES3_S3_EEvbT1_lPT2_S6_jNS_24const_host_device_scalarIT6_EEPKS4_PKS5_PKT3_PKT4_S9_PT5_21rocsparse_index_base_b: ; @_ZN9rocsparseL41csrmvn_lrb_medium_rows_warp_reduce_kernelILj256ELj32Eli21rocsparse_complex_numIfES1_IdES3_S3_EEvbT1_lPT2_S6_jNS_24const_host_device_scalarIT6_EEPKS4_PKS5_PKT3_PKT4_S9_PT5_21rocsparse_index_base_b
; %bb.0:
	s_clause 0x1
	s_load_b64 s[12:13], s[2:3], 0x78
	s_load_b128 s[4:7], s[2:3], 0x30
	s_load_b64 s[16:17], s[0:1], 0x4
	s_mov_b64 s[0:1], src_shared_base
	v_and_b32_e32 v10, 0x3ff, v0
	s_load_b128 s[8:11], s[2:3], 0x60
	v_bfe_u32 v2, v0, 10, 10
	v_bfe_u32 v0, v0, 20, 10
	s_waitcnt lgkmcnt(0)
	s_bitcmp1_b32 s13, 0
	s_cselect_b32 s0, -1, 0
	s_delay_alu instid0(SALU_CYCLE_1) | instskip(SKIP_4) | instid1(SALU_CYCLE_1)
	s_and_b32 vcc_lo, s0, exec_lo
	s_cselect_b32 s13, s1, s5
	s_lshr_b32 s14, s16, 16
	v_mov_b32_e32 v6, s13
	s_mul_i32 s14, s14, s17
	v_mul_lo_u32 v1, s14, v10
	s_delay_alu instid0(VALU_DEP_1) | instskip(SKIP_1) | instid1(VALU_DEP_2)
	v_mad_u32_u24 v1, v2, s17, v1
	v_dual_mov_b32 v2, s8 :: v_dual_mov_b32 v3, s9
	v_add_lshl_u32 v4, v1, v0, 3
	v_dual_mov_b32 v0, s4 :: v_dual_mov_b32 v1, s5
	s_delay_alu instid0(VALU_DEP_2)
	v_add_nc_u32_e32 v5, 0x800, v4
	ds_store_2addr_stride64_b64 v4, v[2:3], v[0:1] offset1:4
	v_dual_mov_b32 v2, s6 :: v_dual_mov_b32 v3, s7
	v_cndmask_b32_e64 v5, s4, v5, s0
	s_xor_b32 s6, s0, -1
	flat_load_b64 v[0:1], v[5:6]
	s_cbranch_vccnz .LBB214_2
; %bb.1:
	v_dual_mov_b32 v2, s4 :: v_dual_mov_b32 v3, s5
	flat_load_b64 v[2:3], v[2:3] offset:8
.LBB214_2:
	s_and_b32 s4, s0, exec_lo
	s_cselect_b32 s1, s1, s9
	v_cndmask_b32_e64 v4, s8, v4, s0
	v_dual_mov_b32 v5, s1 :: v_dual_mov_b32 v6, s10
	v_mov_b32_e32 v7, s11
	s_and_not1_b32 vcc_lo, exec_lo, s6
	flat_load_b64 v[4:5], v[4:5]
	s_cbranch_vccnz .LBB214_4
; %bb.3:
	v_dual_mov_b32 v6, s8 :: v_dual_mov_b32 v7, s9
	flat_load_b64 v[6:7], v[6:7] offset:8
.LBB214_4:
	s_waitcnt vmcnt(1) lgkmcnt(1)
	v_cmp_eq_f64_e32 vcc_lo, 0, v[0:1]
	v_cmp_eq_f64_e64 s0, 0, v[2:3]
	s_delay_alu instid0(VALU_DEP_1)
	s_and_b32 s4, vcc_lo, s0
	s_mov_b32 s0, -1
	s_and_saveexec_b32 s1, s4
	s_cbranch_execz .LBB214_6
; %bb.5:
	s_waitcnt vmcnt(0) lgkmcnt(0)
	v_cmp_neq_f64_e32 vcc_lo, 1.0, v[4:5]
	v_cmp_neq_f64_e64 s0, 0, v[6:7]
	s_delay_alu instid0(VALU_DEP_1) | instskip(NEXT) | instid1(SALU_CYCLE_1)
	s_or_b32 s0, vcc_lo, s0
	s_or_not1_b32 s0, s0, exec_lo
.LBB214_6:
	s_or_b32 exec_lo, exec_lo, s1
	s_and_saveexec_b32 s1, s0
	s_cbranch_execz .LBB214_16
; %bb.7:
	s_load_b64 s[0:1], s[2:3], 0x10
	v_lshrrev_b32_e32 v8, 5, v10
	s_delay_alu instid0(VALU_DEP_1) | instskip(NEXT) | instid1(VALU_DEP_1)
	v_lshl_or_b32 v8, s15, 3, v8
	v_ashrrev_i32_e32 v9, 31, v8
	s_waitcnt lgkmcnt(0)
	s_delay_alu instid0(VALU_DEP_1)
	v_cmp_gt_i64_e32 vcc_lo, s[0:1], v[8:9]
	s_and_b32 exec_lo, exec_lo, vcc_lo
	s_cbranch_execz .LBB214_16
; %bb.8:
	s_clause 0x1
	s_load_b32 s0, s[2:3], 0x28
	s_load_b128 s[4:7], s[2:3], 0x18
	s_mov_b32 s1, 0
	v_and_b32_e32 v22, 31, v10
	s_waitcnt lgkmcnt(0)
	s_lshl_b64 s[8:9], s[0:1], 2
	s_delay_alu instid0(SALU_CYCLE_1)
	s_add_u32 s6, s6, s8
	s_addc_u32 s7, s7, s9
	s_load_b32 s0, s[6:7], 0x0
	s_mov_b32 s6, exec_lo
	s_waitcnt lgkmcnt(0)
	v_add_nc_u32_e32 v8, s0, v8
	v_sub_co_u32 v10, s0, v22, s12
	s_delay_alu instid0(VALU_DEP_2) | instskip(NEXT) | instid1(VALU_DEP_1)
	v_ashrrev_i32_e32 v9, 31, v8
	v_lshlrev_b64 v[8:9], 2, v[8:9]
	s_delay_alu instid0(VALU_DEP_1) | instskip(NEXT) | instid1(VALU_DEP_2)
	v_add_co_u32 v8, vcc_lo, s4, v8
	v_add_co_ci_u32_e32 v9, vcc_lo, s5, v9, vcc_lo
	s_load_b64 s[4:5], s[2:3], 0x40
	global_load_b32 v8, v[8:9], off
	s_waitcnt vmcnt(0)
	v_ashrrev_i32_e32 v9, 31, v8
	s_delay_alu instid0(VALU_DEP_1) | instskip(SKIP_1) | instid1(VALU_DEP_1)
	v_lshlrev_b64 v[11:12], 3, v[8:9]
	s_waitcnt lgkmcnt(0)
	v_add_co_u32 v11, vcc_lo, s4, v11
	s_delay_alu instid0(VALU_DEP_2)
	v_add_co_ci_u32_e32 v12, vcc_lo, s5, v12, vcc_lo
	s_load_b64 s[4:5], s[2:3], 0x70
	global_load_b128 v[12:15], v[11:12], off
	v_sub_co_ci_u32_e64 v11, null, 0, 0, s0
	s_waitcnt vmcnt(0)
	v_sub_co_u32 v14, vcc_lo, v14, s12
	v_subrev_co_ci_u32_e32 v15, vcc_lo, 0, v15, vcc_lo
	v_add_co_u32 v16, vcc_lo, v12, v10
	v_add_co_ci_u32_e32 v17, vcc_lo, v13, v11, vcc_lo
	v_mov_b32_e32 v10, 0
	v_mov_b32_e32 v11, 0
	s_delay_alu instid0(VALU_DEP_1) | instskip(NEXT) | instid1(VALU_DEP_4)
	v_dual_mov_b32 v13, v11 :: v_dual_mov_b32 v12, v10
	v_cmpx_lt_i64_e64 v[16:17], v[14:15]
	s_cbranch_execz .LBB214_12
; %bb.9:
	s_clause 0x2
	s_load_b128 s[8:11], s[2:3], 0x48
	s_load_b32 s0, s[2:3], 0x0
	s_load_b64 s[2:3], s[2:3], 0x58
	v_lshlrev_b64 v[12:13], 3, v[16:17]
	v_lshlrev_b64 v[18:19], 2, v[16:17]
	v_mov_b32_e32 v10, 0
	v_mov_b32_e32 v11, 0
	s_waitcnt lgkmcnt(0)
	s_delay_alu instid0(VALU_DEP_4) | instskip(SKIP_3) | instid1(VALU_DEP_4)
	v_add_co_u32 v12, vcc_lo, v12, s10
	v_add_co_ci_u32_e32 v13, vcc_lo, s11, v13, vcc_lo
	v_add_co_u32 v18, vcc_lo, s8, v18
	v_add_co_ci_u32_e32 v19, vcc_lo, s9, v19, vcc_lo
	v_add_co_u32 v20, vcc_lo, v12, 4
	s_delay_alu instid0(VALU_DEP_4)
	v_add_co_ci_u32_e32 v21, vcc_lo, 0, v13, vcc_lo
	v_dual_mov_b32 v13, v11 :: v_dual_mov_b32 v12, v10
	s_bitcmp1_b32 s0, 0
	s_cselect_b32 s7, -1, 0
.LBB214_10:                             ; =>This Inner Loop Header: Depth=1
	global_load_b32 v23, v[18:19], off
	global_load_b64 v[27:28], v[20:21], off offset:-4
	v_add_co_u32 v18, s0, 0x80, v18
	s_delay_alu instid0(VALU_DEP_1)
	v_add_co_ci_u32_e64 v19, s0, 0, v19, s0
	s_waitcnt vmcnt(1)
	v_subrev_nc_u32_e32 v23, s12, v23
	s_waitcnt vmcnt(0)
	v_cndmask_b32_e64 v28, v28, -v28, s7
	v_cvt_f64_f32_e32 v[30:31], v27
	s_delay_alu instid0(VALU_DEP_3) | instskip(NEXT) | instid1(VALU_DEP_3)
	v_ashrrev_i32_e32 v24, 31, v23
	v_cvt_f64_f32_e32 v[28:29], v28
	s_delay_alu instid0(VALU_DEP_2) | instskip(NEXT) | instid1(VALU_DEP_1)
	v_lshlrev_b64 v[23:24], 4, v[23:24]
	v_add_co_u32 v23, vcc_lo, s2, v23
	s_delay_alu instid0(VALU_DEP_2)
	v_add_co_ci_u32_e32 v24, vcc_lo, s3, v24, vcc_lo
	v_add_co_u32 v16, vcc_lo, v16, 32
	v_add_co_ci_u32_e32 v17, vcc_lo, 0, v17, vcc_lo
	global_load_b128 v[23:26], v[23:24], off
	v_add_co_u32 v20, vcc_lo, 0x100, v20
	v_add_co_ci_u32_e32 v21, vcc_lo, 0, v21, vcc_lo
	v_cmp_ge_i64_e32 vcc_lo, v[16:17], v[14:15]
	s_or_b32 s1, vcc_lo, s1
	v_mul_f64 v[32:33], -v[2:3], v[28:29]
	v_mul_f64 v[27:28], v[0:1], v[28:29]
	s_delay_alu instid0(VALU_DEP_2) | instskip(NEXT) | instid1(VALU_DEP_2)
	v_fma_f64 v[32:33], v[0:1], v[30:31], v[32:33]
	v_fma_f64 v[27:28], v[2:3], v[30:31], v[27:28]
	s_waitcnt vmcnt(0)
	s_delay_alu instid0(VALU_DEP_2) | instskip(NEXT) | instid1(VALU_DEP_2)
	v_fma_f64 v[12:13], v[32:33], v[23:24], v[12:13]
	v_fma_f64 v[10:11], v[27:28], v[23:24], v[10:11]
	s_delay_alu instid0(VALU_DEP_2) | instskip(NEXT) | instid1(VALU_DEP_2)
	v_fma_f64 v[12:13], -v[27:28], v[25:26], v[12:13]
	v_fma_f64 v[10:11], v[32:33], v[25:26], v[10:11]
	s_and_not1_b32 exec_lo, exec_lo, s1
	s_cbranch_execnz .LBB214_10
; %bb.11:
	s_or_b32 exec_lo, exec_lo, s1
.LBB214_12:
	s_delay_alu instid0(SALU_CYCLE_1) | instskip(SKIP_1) | instid1(VALU_DEP_1)
	s_or_b32 exec_lo, exec_lo, s6
	v_mbcnt_lo_u32_b32 v14, -1, 0
	v_xor_b32_e32 v0, 16, v14
	s_delay_alu instid0(VALU_DEP_1) | instskip(SKIP_1) | instid1(VALU_DEP_1)
	v_cmp_gt_i32_e32 vcc_lo, 32, v0
	v_cndmask_b32_e32 v0, v14, v0, vcc_lo
	v_lshlrev_b32_e32 v3, 2, v0
	ds_bpermute_b32 v0, v3, v12
	ds_bpermute_b32 v1, v3, v13
	;; [unrolled: 1-line block ×4, first 2 shown]
	s_waitcnt lgkmcnt(0)
	v_add_f64 v[0:1], v[12:13], v[0:1]
	v_add_f64 v[2:3], v[10:11], v[2:3]
	v_xor_b32_e32 v10, 8, v14
	s_delay_alu instid0(VALU_DEP_1) | instskip(SKIP_1) | instid1(VALU_DEP_1)
	v_cmp_gt_i32_e32 vcc_lo, 32, v10
	v_cndmask_b32_e32 v10, v14, v10, vcc_lo
	v_lshlrev_b32_e32 v13, 2, v10
	ds_bpermute_b32 v10, v13, v0
	ds_bpermute_b32 v11, v13, v1
	ds_bpermute_b32 v12, v13, v2
	ds_bpermute_b32 v13, v13, v3
	s_waitcnt lgkmcnt(2)
	v_add_f64 v[0:1], v[0:1], v[10:11]
	v_xor_b32_e32 v10, 4, v14
	s_waitcnt lgkmcnt(0)
	v_add_f64 v[2:3], v[2:3], v[12:13]
	s_delay_alu instid0(VALU_DEP_2) | instskip(SKIP_1) | instid1(VALU_DEP_1)
	v_cmp_gt_i32_e32 vcc_lo, 32, v10
	v_cndmask_b32_e32 v10, v14, v10, vcc_lo
	v_lshlrev_b32_e32 v13, 2, v10
	ds_bpermute_b32 v10, v13, v0
	ds_bpermute_b32 v11, v13, v1
	;; [unrolled: 1-line block ×4, first 2 shown]
	s_waitcnt lgkmcnt(2)
	v_add_f64 v[0:1], v[0:1], v[10:11]
	v_xor_b32_e32 v10, 2, v14
	s_waitcnt lgkmcnt(0)
	v_add_f64 v[2:3], v[2:3], v[12:13]
	s_delay_alu instid0(VALU_DEP_2) | instskip(SKIP_1) | instid1(VALU_DEP_1)
	v_cmp_gt_i32_e32 vcc_lo, 32, v10
	v_cndmask_b32_e32 v10, v14, v10, vcc_lo
	v_lshlrev_b32_e32 v13, 2, v10
	ds_bpermute_b32 v10, v13, v0
	ds_bpermute_b32 v11, v13, v1
	;; [unrolled: 1-line block ×4, first 2 shown]
	s_waitcnt lgkmcnt(2)
	v_add_f64 v[0:1], v[0:1], v[10:11]
	v_xor_b32_e32 v10, 1, v14
	s_waitcnt lgkmcnt(0)
	v_add_f64 v[2:3], v[2:3], v[12:13]
	s_delay_alu instid0(VALU_DEP_2) | instskip(SKIP_2) | instid1(VALU_DEP_2)
	v_cmp_gt_i32_e32 vcc_lo, 32, v10
	v_cndmask_b32_e32 v10, v14, v10, vcc_lo
	v_cmp_eq_u32_e32 vcc_lo, 31, v22
	v_lshlrev_b32_e32 v13, 2, v10
	ds_bpermute_b32 v10, v13, v0
	ds_bpermute_b32 v11, v13, v1
	;; [unrolled: 1-line block ×4, first 2 shown]
	s_and_b32 exec_lo, exec_lo, vcc_lo
	s_cbranch_execz .LBB214_16
; %bb.13:
	v_cmp_neq_f64_e32 vcc_lo, 0, v[4:5]
	v_cmp_neq_f64_e64 s0, 0, v[6:7]
	s_waitcnt lgkmcnt(2)
	v_add_f64 v[0:1], v[0:1], v[10:11]
	s_waitcnt lgkmcnt(0)
	v_add_f64 v[2:3], v[2:3], v[12:13]
	v_lshlrev_b64 v[8:9], 4, v[8:9]
	s_delay_alu instid0(VALU_DEP_4) | instskip(NEXT) | instid1(SALU_CYCLE_1)
	s_or_b32 s1, vcc_lo, s0
	s_and_saveexec_b32 s0, s1
	s_cbranch_execz .LBB214_15
; %bb.14:
	s_delay_alu instid0(VALU_DEP_1) | instskip(NEXT) | instid1(VALU_DEP_2)
	v_add_co_u32 v10, vcc_lo, s4, v8
	v_add_co_ci_u32_e32 v11, vcc_lo, s5, v9, vcc_lo
	global_load_b128 v[10:13], v[10:11], off
	s_waitcnt vmcnt(0)
	v_fma_f64 v[0:1], v[4:5], v[10:11], v[0:1]
	v_fma_f64 v[2:3], v[6:7], v[10:11], v[2:3]
	s_delay_alu instid0(VALU_DEP_2) | instskip(NEXT) | instid1(VALU_DEP_2)
	v_fma_f64 v[0:1], -v[6:7], v[12:13], v[0:1]
	v_fma_f64 v[2:3], v[4:5], v[12:13], v[2:3]
.LBB214_15:
	s_or_b32 exec_lo, exec_lo, s0
	s_delay_alu instid0(VALU_DEP_1)
	v_add_co_u32 v4, vcc_lo, s4, v8
	v_add_co_ci_u32_e32 v5, vcc_lo, s5, v9, vcc_lo
	global_store_b128 v[4:5], v[0:3], off
.LBB214_16:
	s_nop 0
	s_sendmsg sendmsg(MSG_DEALLOC_VGPRS)
	s_endpgm
	.section	.rodata,"a",@progbits
	.p2align	6, 0x0
	.amdhsa_kernel _ZN9rocsparseL41csrmvn_lrb_medium_rows_warp_reduce_kernelILj256ELj32Eli21rocsparse_complex_numIfES1_IdES3_S3_EEvbT1_lPT2_S6_jNS_24const_host_device_scalarIT6_EEPKS4_PKS5_PKT3_PKT4_S9_PT5_21rocsparse_index_base_b
		.amdhsa_group_segment_fixed_size 4096
		.amdhsa_private_segment_fixed_size 0
		.amdhsa_kernarg_size 128
		.amdhsa_user_sgpr_count 15
		.amdhsa_user_sgpr_dispatch_ptr 1
		.amdhsa_user_sgpr_queue_ptr 0
		.amdhsa_user_sgpr_kernarg_segment_ptr 1
		.amdhsa_user_sgpr_dispatch_id 0
		.amdhsa_user_sgpr_private_segment_size 0
		.amdhsa_wavefront_size32 1
		.amdhsa_uses_dynamic_stack 0
		.amdhsa_enable_private_segment 0
		.amdhsa_system_sgpr_workgroup_id_x 1
		.amdhsa_system_sgpr_workgroup_id_y 0
		.amdhsa_system_sgpr_workgroup_id_z 0
		.amdhsa_system_sgpr_workgroup_info 0
		.amdhsa_system_vgpr_workitem_id 2
		.amdhsa_next_free_vgpr 34
		.amdhsa_next_free_sgpr 18
		.amdhsa_reserve_vcc 1
		.amdhsa_float_round_mode_32 0
		.amdhsa_float_round_mode_16_64 0
		.amdhsa_float_denorm_mode_32 3
		.amdhsa_float_denorm_mode_16_64 3
		.amdhsa_dx10_clamp 1
		.amdhsa_ieee_mode 1
		.amdhsa_fp16_overflow 0
		.amdhsa_workgroup_processor_mode 1
		.amdhsa_memory_ordered 1
		.amdhsa_forward_progress 0
		.amdhsa_shared_vgpr_count 0
		.amdhsa_exception_fp_ieee_invalid_op 0
		.amdhsa_exception_fp_denorm_src 0
		.amdhsa_exception_fp_ieee_div_zero 0
		.amdhsa_exception_fp_ieee_overflow 0
		.amdhsa_exception_fp_ieee_underflow 0
		.amdhsa_exception_fp_ieee_inexact 0
		.amdhsa_exception_int_div_zero 0
	.end_amdhsa_kernel
	.section	.text._ZN9rocsparseL41csrmvn_lrb_medium_rows_warp_reduce_kernelILj256ELj32Eli21rocsparse_complex_numIfES1_IdES3_S3_EEvbT1_lPT2_S6_jNS_24const_host_device_scalarIT6_EEPKS4_PKS5_PKT3_PKT4_S9_PT5_21rocsparse_index_base_b,"axG",@progbits,_ZN9rocsparseL41csrmvn_lrb_medium_rows_warp_reduce_kernelILj256ELj32Eli21rocsparse_complex_numIfES1_IdES3_S3_EEvbT1_lPT2_S6_jNS_24const_host_device_scalarIT6_EEPKS4_PKS5_PKT3_PKT4_S9_PT5_21rocsparse_index_base_b,comdat
.Lfunc_end214:
	.size	_ZN9rocsparseL41csrmvn_lrb_medium_rows_warp_reduce_kernelILj256ELj32Eli21rocsparse_complex_numIfES1_IdES3_S3_EEvbT1_lPT2_S6_jNS_24const_host_device_scalarIT6_EEPKS4_PKS5_PKT3_PKT4_S9_PT5_21rocsparse_index_base_b, .Lfunc_end214-_ZN9rocsparseL41csrmvn_lrb_medium_rows_warp_reduce_kernelILj256ELj32Eli21rocsparse_complex_numIfES1_IdES3_S3_EEvbT1_lPT2_S6_jNS_24const_host_device_scalarIT6_EEPKS4_PKS5_PKT3_PKT4_S9_PT5_21rocsparse_index_base_b
                                        ; -- End function
	.section	.AMDGPU.csdata,"",@progbits
; Kernel info:
; codeLenInByte = 1544
; NumSgprs: 20
; NumVgprs: 34
; ScratchSize: 0
; MemoryBound: 0
; FloatMode: 240
; IeeeMode: 1
; LDSByteSize: 4096 bytes/workgroup (compile time only)
; SGPRBlocks: 2
; VGPRBlocks: 4
; NumSGPRsForWavesPerEU: 20
; NumVGPRsForWavesPerEU: 34
; Occupancy: 16
; WaveLimiterHint : 1
; COMPUTE_PGM_RSRC2:SCRATCH_EN: 0
; COMPUTE_PGM_RSRC2:USER_SGPR: 15
; COMPUTE_PGM_RSRC2:TRAP_HANDLER: 0
; COMPUTE_PGM_RSRC2:TGID_X_EN: 1
; COMPUTE_PGM_RSRC2:TGID_Y_EN: 0
; COMPUTE_PGM_RSRC2:TGID_Z_EN: 0
; COMPUTE_PGM_RSRC2:TIDIG_COMP_CNT: 2
	.section	.text._ZN9rocsparseL41csrmvn_lrb_medium_rows_warp_reduce_kernelILj256ELj64Eli21rocsparse_complex_numIfES1_IdES3_S3_EEvbT1_lPT2_S6_jNS_24const_host_device_scalarIT6_EEPKS4_PKS5_PKT3_PKT4_S9_PT5_21rocsparse_index_base_b,"axG",@progbits,_ZN9rocsparseL41csrmvn_lrb_medium_rows_warp_reduce_kernelILj256ELj64Eli21rocsparse_complex_numIfES1_IdES3_S3_EEvbT1_lPT2_S6_jNS_24const_host_device_scalarIT6_EEPKS4_PKS5_PKT3_PKT4_S9_PT5_21rocsparse_index_base_b,comdat
	.globl	_ZN9rocsparseL41csrmvn_lrb_medium_rows_warp_reduce_kernelILj256ELj64Eli21rocsparse_complex_numIfES1_IdES3_S3_EEvbT1_lPT2_S6_jNS_24const_host_device_scalarIT6_EEPKS4_PKS5_PKT3_PKT4_S9_PT5_21rocsparse_index_base_b ; -- Begin function _ZN9rocsparseL41csrmvn_lrb_medium_rows_warp_reduce_kernelILj256ELj64Eli21rocsparse_complex_numIfES1_IdES3_S3_EEvbT1_lPT2_S6_jNS_24const_host_device_scalarIT6_EEPKS4_PKS5_PKT3_PKT4_S9_PT5_21rocsparse_index_base_b
	.p2align	8
	.type	_ZN9rocsparseL41csrmvn_lrb_medium_rows_warp_reduce_kernelILj256ELj64Eli21rocsparse_complex_numIfES1_IdES3_S3_EEvbT1_lPT2_S6_jNS_24const_host_device_scalarIT6_EEPKS4_PKS5_PKT3_PKT4_S9_PT5_21rocsparse_index_base_b,@function
_ZN9rocsparseL41csrmvn_lrb_medium_rows_warp_reduce_kernelILj256ELj64Eli21rocsparse_complex_numIfES1_IdES3_S3_EEvbT1_lPT2_S6_jNS_24const_host_device_scalarIT6_EEPKS4_PKS5_PKT3_PKT4_S9_PT5_21rocsparse_index_base_b: ; @_ZN9rocsparseL41csrmvn_lrb_medium_rows_warp_reduce_kernelILj256ELj64Eli21rocsparse_complex_numIfES1_IdES3_S3_EEvbT1_lPT2_S6_jNS_24const_host_device_scalarIT6_EEPKS4_PKS5_PKT3_PKT4_S9_PT5_21rocsparse_index_base_b
; %bb.0:
	s_clause 0x1
	s_load_b64 s[12:13], s[2:3], 0x78
	s_load_b128 s[4:7], s[2:3], 0x30
	s_load_b64 s[16:17], s[0:1], 0x4
	s_mov_b64 s[0:1], src_shared_base
	v_and_b32_e32 v10, 0x3ff, v0
	s_load_b128 s[8:11], s[2:3], 0x60
	v_bfe_u32 v2, v0, 10, 10
	v_bfe_u32 v0, v0, 20, 10
	s_waitcnt lgkmcnt(0)
	s_bitcmp1_b32 s13, 0
	s_cselect_b32 s0, -1, 0
	s_delay_alu instid0(SALU_CYCLE_1) | instskip(SKIP_4) | instid1(SALU_CYCLE_1)
	s_and_b32 vcc_lo, s0, exec_lo
	s_cselect_b32 s13, s1, s5
	s_lshr_b32 s14, s16, 16
	v_mov_b32_e32 v6, s13
	s_mul_i32 s14, s14, s17
	v_mul_lo_u32 v1, s14, v10
	s_delay_alu instid0(VALU_DEP_1) | instskip(SKIP_1) | instid1(VALU_DEP_2)
	v_mad_u32_u24 v1, v2, s17, v1
	v_dual_mov_b32 v2, s8 :: v_dual_mov_b32 v3, s9
	v_add_lshl_u32 v4, v1, v0, 3
	v_dual_mov_b32 v0, s4 :: v_dual_mov_b32 v1, s5
	s_delay_alu instid0(VALU_DEP_2)
	v_add_nc_u32_e32 v5, 0x800, v4
	ds_store_2addr_stride64_b64 v4, v[2:3], v[0:1] offset1:4
	v_dual_mov_b32 v2, s6 :: v_dual_mov_b32 v3, s7
	v_cndmask_b32_e64 v5, s4, v5, s0
	s_xor_b32 s6, s0, -1
	flat_load_b64 v[0:1], v[5:6]
	s_cbranch_vccnz .LBB215_2
; %bb.1:
	v_dual_mov_b32 v2, s4 :: v_dual_mov_b32 v3, s5
	flat_load_b64 v[2:3], v[2:3] offset:8
.LBB215_2:
	s_and_b32 s4, s0, exec_lo
	s_cselect_b32 s1, s1, s9
	v_cndmask_b32_e64 v4, s8, v4, s0
	v_dual_mov_b32 v5, s1 :: v_dual_mov_b32 v6, s10
	v_mov_b32_e32 v7, s11
	s_and_not1_b32 vcc_lo, exec_lo, s6
	flat_load_b64 v[4:5], v[4:5]
	s_cbranch_vccnz .LBB215_4
; %bb.3:
	v_dual_mov_b32 v6, s8 :: v_dual_mov_b32 v7, s9
	flat_load_b64 v[6:7], v[6:7] offset:8
.LBB215_4:
	s_waitcnt vmcnt(1) lgkmcnt(1)
	v_cmp_eq_f64_e32 vcc_lo, 0, v[0:1]
	v_cmp_eq_f64_e64 s0, 0, v[2:3]
	s_delay_alu instid0(VALU_DEP_1)
	s_and_b32 s4, vcc_lo, s0
	s_mov_b32 s0, -1
	s_and_saveexec_b32 s1, s4
	s_cbranch_execz .LBB215_6
; %bb.5:
	s_waitcnt vmcnt(0) lgkmcnt(0)
	v_cmp_neq_f64_e32 vcc_lo, 1.0, v[4:5]
	v_cmp_neq_f64_e64 s0, 0, v[6:7]
	s_delay_alu instid0(VALU_DEP_1) | instskip(NEXT) | instid1(SALU_CYCLE_1)
	s_or_b32 s0, vcc_lo, s0
	s_or_not1_b32 s0, s0, exec_lo
.LBB215_6:
	s_or_b32 exec_lo, exec_lo, s1
	s_and_saveexec_b32 s1, s0
	s_cbranch_execz .LBB215_16
; %bb.7:
	s_load_b64 s[0:1], s[2:3], 0x10
	v_lshrrev_b32_e32 v8, 6, v10
	s_delay_alu instid0(VALU_DEP_1) | instskip(NEXT) | instid1(VALU_DEP_1)
	v_lshl_or_b32 v8, s15, 2, v8
	v_ashrrev_i32_e32 v9, 31, v8
	s_waitcnt lgkmcnt(0)
	s_delay_alu instid0(VALU_DEP_1)
	v_cmp_gt_i64_e32 vcc_lo, s[0:1], v[8:9]
	s_and_b32 exec_lo, exec_lo, vcc_lo
	s_cbranch_execz .LBB215_16
; %bb.8:
	s_clause 0x1
	s_load_b32 s0, s[2:3], 0x28
	s_load_b128 s[4:7], s[2:3], 0x18
	s_mov_b32 s1, 0
	v_and_b32_e32 v22, 63, v10
	s_waitcnt lgkmcnt(0)
	s_lshl_b64 s[8:9], s[0:1], 2
	s_delay_alu instid0(SALU_CYCLE_1)
	s_add_u32 s6, s6, s8
	s_addc_u32 s7, s7, s9
	s_load_b32 s0, s[6:7], 0x0
	s_mov_b32 s6, exec_lo
	s_waitcnt lgkmcnt(0)
	v_add_nc_u32_e32 v8, s0, v8
	v_sub_co_u32 v10, s0, v22, s12
	s_delay_alu instid0(VALU_DEP_2) | instskip(NEXT) | instid1(VALU_DEP_1)
	v_ashrrev_i32_e32 v9, 31, v8
	v_lshlrev_b64 v[8:9], 2, v[8:9]
	s_delay_alu instid0(VALU_DEP_1) | instskip(NEXT) | instid1(VALU_DEP_2)
	v_add_co_u32 v8, vcc_lo, s4, v8
	v_add_co_ci_u32_e32 v9, vcc_lo, s5, v9, vcc_lo
	s_load_b64 s[4:5], s[2:3], 0x40
	global_load_b32 v8, v[8:9], off
	s_waitcnt vmcnt(0)
	v_ashrrev_i32_e32 v9, 31, v8
	s_delay_alu instid0(VALU_DEP_1) | instskip(SKIP_1) | instid1(VALU_DEP_1)
	v_lshlrev_b64 v[11:12], 3, v[8:9]
	s_waitcnt lgkmcnt(0)
	v_add_co_u32 v11, vcc_lo, s4, v11
	s_delay_alu instid0(VALU_DEP_2)
	v_add_co_ci_u32_e32 v12, vcc_lo, s5, v12, vcc_lo
	s_load_b64 s[4:5], s[2:3], 0x70
	global_load_b128 v[12:15], v[11:12], off
	v_sub_co_ci_u32_e64 v11, null, 0, 0, s0
	s_waitcnt vmcnt(0)
	v_sub_co_u32 v14, vcc_lo, v14, s12
	v_subrev_co_ci_u32_e32 v15, vcc_lo, 0, v15, vcc_lo
	v_add_co_u32 v16, vcc_lo, v12, v10
	v_add_co_ci_u32_e32 v17, vcc_lo, v13, v11, vcc_lo
	v_mov_b32_e32 v10, 0
	v_mov_b32_e32 v11, 0
	s_delay_alu instid0(VALU_DEP_1) | instskip(NEXT) | instid1(VALU_DEP_4)
	v_dual_mov_b32 v13, v11 :: v_dual_mov_b32 v12, v10
	v_cmpx_lt_i64_e64 v[16:17], v[14:15]
	s_cbranch_execz .LBB215_12
; %bb.9:
	s_clause 0x2
	s_load_b128 s[8:11], s[2:3], 0x48
	s_load_b32 s0, s[2:3], 0x0
	s_load_b64 s[2:3], s[2:3], 0x58
	v_lshlrev_b64 v[12:13], 3, v[16:17]
	v_lshlrev_b64 v[18:19], 2, v[16:17]
	v_mov_b32_e32 v10, 0
	v_mov_b32_e32 v11, 0
	s_waitcnt lgkmcnt(0)
	s_delay_alu instid0(VALU_DEP_4) | instskip(SKIP_3) | instid1(VALU_DEP_4)
	v_add_co_u32 v12, vcc_lo, v12, s10
	v_add_co_ci_u32_e32 v13, vcc_lo, s11, v13, vcc_lo
	v_add_co_u32 v18, vcc_lo, s8, v18
	v_add_co_ci_u32_e32 v19, vcc_lo, s9, v19, vcc_lo
	v_add_co_u32 v20, vcc_lo, v12, 4
	s_delay_alu instid0(VALU_DEP_4)
	v_add_co_ci_u32_e32 v21, vcc_lo, 0, v13, vcc_lo
	v_dual_mov_b32 v13, v11 :: v_dual_mov_b32 v12, v10
	s_bitcmp1_b32 s0, 0
	s_cselect_b32 s7, -1, 0
.LBB215_10:                             ; =>This Inner Loop Header: Depth=1
	global_load_b32 v23, v[18:19], off
	global_load_b64 v[27:28], v[20:21], off offset:-4
	v_add_co_u32 v18, s0, 0x100, v18
	s_delay_alu instid0(VALU_DEP_1)
	v_add_co_ci_u32_e64 v19, s0, 0, v19, s0
	s_waitcnt vmcnt(1)
	v_subrev_nc_u32_e32 v23, s12, v23
	s_waitcnt vmcnt(0)
	v_cndmask_b32_e64 v28, v28, -v28, s7
	v_cvt_f64_f32_e32 v[30:31], v27
	s_delay_alu instid0(VALU_DEP_3) | instskip(NEXT) | instid1(VALU_DEP_3)
	v_ashrrev_i32_e32 v24, 31, v23
	v_cvt_f64_f32_e32 v[28:29], v28
	s_delay_alu instid0(VALU_DEP_2) | instskip(NEXT) | instid1(VALU_DEP_1)
	v_lshlrev_b64 v[23:24], 4, v[23:24]
	v_add_co_u32 v23, vcc_lo, s2, v23
	s_delay_alu instid0(VALU_DEP_2)
	v_add_co_ci_u32_e32 v24, vcc_lo, s3, v24, vcc_lo
	v_add_co_u32 v16, vcc_lo, v16, 64
	v_add_co_ci_u32_e32 v17, vcc_lo, 0, v17, vcc_lo
	global_load_b128 v[23:26], v[23:24], off
	v_add_co_u32 v20, vcc_lo, 0x200, v20
	v_add_co_ci_u32_e32 v21, vcc_lo, 0, v21, vcc_lo
	v_cmp_ge_i64_e32 vcc_lo, v[16:17], v[14:15]
	s_or_b32 s1, vcc_lo, s1
	v_mul_f64 v[32:33], -v[2:3], v[28:29]
	v_mul_f64 v[27:28], v[0:1], v[28:29]
	s_delay_alu instid0(VALU_DEP_2) | instskip(NEXT) | instid1(VALU_DEP_2)
	v_fma_f64 v[32:33], v[0:1], v[30:31], v[32:33]
	v_fma_f64 v[27:28], v[2:3], v[30:31], v[27:28]
	s_waitcnt vmcnt(0)
	s_delay_alu instid0(VALU_DEP_2) | instskip(NEXT) | instid1(VALU_DEP_2)
	v_fma_f64 v[12:13], v[32:33], v[23:24], v[12:13]
	v_fma_f64 v[10:11], v[27:28], v[23:24], v[10:11]
	s_delay_alu instid0(VALU_DEP_2) | instskip(NEXT) | instid1(VALU_DEP_2)
	v_fma_f64 v[12:13], -v[27:28], v[25:26], v[12:13]
	v_fma_f64 v[10:11], v[32:33], v[25:26], v[10:11]
	s_and_not1_b32 exec_lo, exec_lo, s1
	s_cbranch_execnz .LBB215_10
; %bb.11:
	s_or_b32 exec_lo, exec_lo, s1
.LBB215_12:
	s_delay_alu instid0(SALU_CYCLE_1) | instskip(SKIP_1) | instid1(VALU_DEP_1)
	s_or_b32 exec_lo, exec_lo, s6
	v_mbcnt_lo_u32_b32 v14, -1, 0
	v_or_b32_e32 v0, 32, v14
	s_delay_alu instid0(VALU_DEP_1) | instskip(SKIP_1) | instid1(VALU_DEP_1)
	v_cmp_gt_i32_e32 vcc_lo, 32, v0
	v_cndmask_b32_e32 v0, v14, v0, vcc_lo
	v_lshlrev_b32_e32 v3, 2, v0
	ds_bpermute_b32 v0, v3, v12
	ds_bpermute_b32 v1, v3, v13
	;; [unrolled: 1-line block ×4, first 2 shown]
	s_waitcnt lgkmcnt(0)
	v_add_f64 v[0:1], v[12:13], v[0:1]
	v_add_f64 v[2:3], v[10:11], v[2:3]
	v_xor_b32_e32 v10, 16, v14
	s_delay_alu instid0(VALU_DEP_1) | instskip(SKIP_1) | instid1(VALU_DEP_1)
	v_cmp_gt_i32_e32 vcc_lo, 32, v10
	v_cndmask_b32_e32 v10, v14, v10, vcc_lo
	v_lshlrev_b32_e32 v13, 2, v10
	ds_bpermute_b32 v10, v13, v0
	ds_bpermute_b32 v11, v13, v1
	ds_bpermute_b32 v12, v13, v2
	ds_bpermute_b32 v13, v13, v3
	s_waitcnt lgkmcnt(2)
	v_add_f64 v[0:1], v[0:1], v[10:11]
	v_xor_b32_e32 v10, 8, v14
	s_waitcnt lgkmcnt(0)
	v_add_f64 v[2:3], v[2:3], v[12:13]
	s_delay_alu instid0(VALU_DEP_2) | instskip(SKIP_1) | instid1(VALU_DEP_1)
	v_cmp_gt_i32_e32 vcc_lo, 32, v10
	v_cndmask_b32_e32 v10, v14, v10, vcc_lo
	v_lshlrev_b32_e32 v13, 2, v10
	ds_bpermute_b32 v10, v13, v0
	ds_bpermute_b32 v11, v13, v1
	ds_bpermute_b32 v12, v13, v2
	ds_bpermute_b32 v13, v13, v3
	s_waitcnt lgkmcnt(2)
	v_add_f64 v[0:1], v[0:1], v[10:11]
	v_xor_b32_e32 v10, 4, v14
	s_waitcnt lgkmcnt(0)
	v_add_f64 v[2:3], v[2:3], v[12:13]
	s_delay_alu instid0(VALU_DEP_2) | instskip(SKIP_1) | instid1(VALU_DEP_1)
	;; [unrolled: 13-line block ×3, first 2 shown]
	v_cmp_gt_i32_e32 vcc_lo, 32, v10
	v_cndmask_b32_e32 v10, v14, v10, vcc_lo
	v_lshlrev_b32_e32 v13, 2, v10
	ds_bpermute_b32 v10, v13, v0
	ds_bpermute_b32 v11, v13, v1
	;; [unrolled: 1-line block ×4, first 2 shown]
	s_waitcnt lgkmcnt(2)
	v_add_f64 v[0:1], v[0:1], v[10:11]
	v_xor_b32_e32 v10, 1, v14
	s_waitcnt lgkmcnt(0)
	v_add_f64 v[2:3], v[2:3], v[12:13]
	s_delay_alu instid0(VALU_DEP_2) | instskip(SKIP_2) | instid1(VALU_DEP_2)
	v_cmp_gt_i32_e32 vcc_lo, 32, v10
	v_cndmask_b32_e32 v10, v14, v10, vcc_lo
	v_cmp_eq_u32_e32 vcc_lo, 63, v22
	v_lshlrev_b32_e32 v13, 2, v10
	ds_bpermute_b32 v10, v13, v0
	ds_bpermute_b32 v11, v13, v1
	;; [unrolled: 1-line block ×4, first 2 shown]
	s_and_b32 exec_lo, exec_lo, vcc_lo
	s_cbranch_execz .LBB215_16
; %bb.13:
	v_cmp_neq_f64_e32 vcc_lo, 0, v[4:5]
	v_cmp_neq_f64_e64 s0, 0, v[6:7]
	s_waitcnt lgkmcnt(2)
	v_add_f64 v[0:1], v[0:1], v[10:11]
	s_waitcnt lgkmcnt(0)
	v_add_f64 v[2:3], v[2:3], v[12:13]
	v_lshlrev_b64 v[8:9], 4, v[8:9]
	s_delay_alu instid0(VALU_DEP_4) | instskip(NEXT) | instid1(SALU_CYCLE_1)
	s_or_b32 s1, vcc_lo, s0
	s_and_saveexec_b32 s0, s1
	s_cbranch_execz .LBB215_15
; %bb.14:
	s_delay_alu instid0(VALU_DEP_1) | instskip(NEXT) | instid1(VALU_DEP_2)
	v_add_co_u32 v10, vcc_lo, s4, v8
	v_add_co_ci_u32_e32 v11, vcc_lo, s5, v9, vcc_lo
	global_load_b128 v[10:13], v[10:11], off
	s_waitcnt vmcnt(0)
	v_fma_f64 v[0:1], v[4:5], v[10:11], v[0:1]
	v_fma_f64 v[2:3], v[6:7], v[10:11], v[2:3]
	s_delay_alu instid0(VALU_DEP_2) | instskip(NEXT) | instid1(VALU_DEP_2)
	v_fma_f64 v[0:1], -v[6:7], v[12:13], v[0:1]
	v_fma_f64 v[2:3], v[4:5], v[12:13], v[2:3]
.LBB215_15:
	s_or_b32 exec_lo, exec_lo, s0
	s_delay_alu instid0(VALU_DEP_1)
	v_add_co_u32 v4, vcc_lo, s4, v8
	v_add_co_ci_u32_e32 v5, vcc_lo, s5, v9, vcc_lo
	global_store_b128 v[4:5], v[0:3], off
.LBB215_16:
	s_nop 0
	s_sendmsg sendmsg(MSG_DEALLOC_VGPRS)
	s_endpgm
	.section	.rodata,"a",@progbits
	.p2align	6, 0x0
	.amdhsa_kernel _ZN9rocsparseL41csrmvn_lrb_medium_rows_warp_reduce_kernelILj256ELj64Eli21rocsparse_complex_numIfES1_IdES3_S3_EEvbT1_lPT2_S6_jNS_24const_host_device_scalarIT6_EEPKS4_PKS5_PKT3_PKT4_S9_PT5_21rocsparse_index_base_b
		.amdhsa_group_segment_fixed_size 4096
		.amdhsa_private_segment_fixed_size 0
		.amdhsa_kernarg_size 128
		.amdhsa_user_sgpr_count 15
		.amdhsa_user_sgpr_dispatch_ptr 1
		.amdhsa_user_sgpr_queue_ptr 0
		.amdhsa_user_sgpr_kernarg_segment_ptr 1
		.amdhsa_user_sgpr_dispatch_id 0
		.amdhsa_user_sgpr_private_segment_size 0
		.amdhsa_wavefront_size32 1
		.amdhsa_uses_dynamic_stack 0
		.amdhsa_enable_private_segment 0
		.amdhsa_system_sgpr_workgroup_id_x 1
		.amdhsa_system_sgpr_workgroup_id_y 0
		.amdhsa_system_sgpr_workgroup_id_z 0
		.amdhsa_system_sgpr_workgroup_info 0
		.amdhsa_system_vgpr_workitem_id 2
		.amdhsa_next_free_vgpr 34
		.amdhsa_next_free_sgpr 18
		.amdhsa_reserve_vcc 1
		.amdhsa_float_round_mode_32 0
		.amdhsa_float_round_mode_16_64 0
		.amdhsa_float_denorm_mode_32 3
		.amdhsa_float_denorm_mode_16_64 3
		.amdhsa_dx10_clamp 1
		.amdhsa_ieee_mode 1
		.amdhsa_fp16_overflow 0
		.amdhsa_workgroup_processor_mode 1
		.amdhsa_memory_ordered 1
		.amdhsa_forward_progress 0
		.amdhsa_shared_vgpr_count 0
		.amdhsa_exception_fp_ieee_invalid_op 0
		.amdhsa_exception_fp_denorm_src 0
		.amdhsa_exception_fp_ieee_div_zero 0
		.amdhsa_exception_fp_ieee_overflow 0
		.amdhsa_exception_fp_ieee_underflow 0
		.amdhsa_exception_fp_ieee_inexact 0
		.amdhsa_exception_int_div_zero 0
	.end_amdhsa_kernel
	.section	.text._ZN9rocsparseL41csrmvn_lrb_medium_rows_warp_reduce_kernelILj256ELj64Eli21rocsparse_complex_numIfES1_IdES3_S3_EEvbT1_lPT2_S6_jNS_24const_host_device_scalarIT6_EEPKS4_PKS5_PKT3_PKT4_S9_PT5_21rocsparse_index_base_b,"axG",@progbits,_ZN9rocsparseL41csrmvn_lrb_medium_rows_warp_reduce_kernelILj256ELj64Eli21rocsparse_complex_numIfES1_IdES3_S3_EEvbT1_lPT2_S6_jNS_24const_host_device_scalarIT6_EEPKS4_PKS5_PKT3_PKT4_S9_PT5_21rocsparse_index_base_b,comdat
.Lfunc_end215:
	.size	_ZN9rocsparseL41csrmvn_lrb_medium_rows_warp_reduce_kernelILj256ELj64Eli21rocsparse_complex_numIfES1_IdES3_S3_EEvbT1_lPT2_S6_jNS_24const_host_device_scalarIT6_EEPKS4_PKS5_PKT3_PKT4_S9_PT5_21rocsparse_index_base_b, .Lfunc_end215-_ZN9rocsparseL41csrmvn_lrb_medium_rows_warp_reduce_kernelILj256ELj64Eli21rocsparse_complex_numIfES1_IdES3_S3_EEvbT1_lPT2_S6_jNS_24const_host_device_scalarIT6_EEPKS4_PKS5_PKT3_PKT4_S9_PT5_21rocsparse_index_base_b
                                        ; -- End function
	.section	.AMDGPU.csdata,"",@progbits
; Kernel info:
; codeLenInByte = 1620
; NumSgprs: 20
; NumVgprs: 34
; ScratchSize: 0
; MemoryBound: 0
; FloatMode: 240
; IeeeMode: 1
; LDSByteSize: 4096 bytes/workgroup (compile time only)
; SGPRBlocks: 2
; VGPRBlocks: 4
; NumSGPRsForWavesPerEU: 20
; NumVGPRsForWavesPerEU: 34
; Occupancy: 16
; WaveLimiterHint : 1
; COMPUTE_PGM_RSRC2:SCRATCH_EN: 0
; COMPUTE_PGM_RSRC2:USER_SGPR: 15
; COMPUTE_PGM_RSRC2:TRAP_HANDLER: 0
; COMPUTE_PGM_RSRC2:TGID_X_EN: 1
; COMPUTE_PGM_RSRC2:TGID_Y_EN: 0
; COMPUTE_PGM_RSRC2:TGID_Z_EN: 0
; COMPUTE_PGM_RSRC2:TIDIG_COMP_CNT: 2
	.section	.text._ZN9rocsparseL29csrmvn_lrb_medium_rows_kernelILj256Eli21rocsparse_complex_numIfES1_IdES3_S3_EEvbT0_PT1_S6_jNS_24const_host_device_scalarIT5_EEPKS4_PKS5_PKT2_PKT3_S9_PT4_21rocsparse_index_base_b,"axG",@progbits,_ZN9rocsparseL29csrmvn_lrb_medium_rows_kernelILj256Eli21rocsparse_complex_numIfES1_IdES3_S3_EEvbT0_PT1_S6_jNS_24const_host_device_scalarIT5_EEPKS4_PKS5_PKT2_PKT3_S9_PT4_21rocsparse_index_base_b,comdat
	.globl	_ZN9rocsparseL29csrmvn_lrb_medium_rows_kernelILj256Eli21rocsparse_complex_numIfES1_IdES3_S3_EEvbT0_PT1_S6_jNS_24const_host_device_scalarIT5_EEPKS4_PKS5_PKT2_PKT3_S9_PT4_21rocsparse_index_base_b ; -- Begin function _ZN9rocsparseL29csrmvn_lrb_medium_rows_kernelILj256Eli21rocsparse_complex_numIfES1_IdES3_S3_EEvbT0_PT1_S6_jNS_24const_host_device_scalarIT5_EEPKS4_PKS5_PKT2_PKT3_S9_PT4_21rocsparse_index_base_b
	.p2align	8
	.type	_ZN9rocsparseL29csrmvn_lrb_medium_rows_kernelILj256Eli21rocsparse_complex_numIfES1_IdES3_S3_EEvbT0_PT1_S6_jNS_24const_host_device_scalarIT5_EEPKS4_PKS5_PKT2_PKT3_S9_PT4_21rocsparse_index_base_b,@function
_ZN9rocsparseL29csrmvn_lrb_medium_rows_kernelILj256Eli21rocsparse_complex_numIfES1_IdES3_S3_EEvbT0_PT1_S6_jNS_24const_host_device_scalarIT5_EEPKS4_PKS5_PKT2_PKT3_S9_PT4_21rocsparse_index_base_b: ; @_ZN9rocsparseL29csrmvn_lrb_medium_rows_kernelILj256Eli21rocsparse_complex_numIfES1_IdES3_S3_EEvbT0_PT1_S6_jNS_24const_host_device_scalarIT5_EEPKS4_PKS5_PKT2_PKT3_S9_PT4_21rocsparse_index_base_b
; %bb.0:
	s_clause 0x1
	s_load_b64 s[12:13], s[2:3], 0x70
	s_load_b128 s[4:7], s[2:3], 0x28
	s_load_b64 s[16:17], s[0:1], 0x4
	s_mov_b64 s[0:1], src_shared_base
	v_and_b32_e32 v18, 0x3ff, v0
	s_load_b128 s[8:11], s[2:3], 0x58
	v_bfe_u32 v2, v0, 10, 10
	v_bfe_u32 v0, v0, 20, 10
	s_waitcnt lgkmcnt(0)
	s_bitcmp1_b32 s13, 0
	v_mov_b32_e32 v11, s7
	s_cselect_b32 s0, -1, 0
	v_mov_b32_e32 v10, s6
	s_and_b32 vcc_lo, s0, exec_lo
	s_cselect_b32 s13, s1, s5
	s_lshr_b32 s14, s16, 16
	s_xor_b32 s6, s0, -1
	s_mul_i32 s14, s14, s17
	v_mov_b32_e32 v5, s13
	v_mul_lo_u32 v1, s14, v18
	s_delay_alu instid0(VALU_DEP_1) | instskip(SKIP_1) | instid1(VALU_DEP_2)
	v_mad_u32_u24 v1, v2, s17, v1
	v_dual_mov_b32 v2, s8 :: v_dual_mov_b32 v3, s9
	v_add_lshl_u32 v6, v1, v0, 3
	v_dual_mov_b32 v0, s4 :: v_dual_mov_b32 v1, s5
	s_delay_alu instid0(VALU_DEP_2)
	v_add_nc_u32_e32 v4, 0x1800, v6
	ds_store_2addr_stride64_b64 v6, v[2:3], v[0:1] offset0:8 offset1:12
	v_add_nc_u32_e32 v0, 0x1000, v6
	v_cndmask_b32_e64 v4, s4, v4, s0
	flat_load_b64 v[8:9], v[4:5]
	s_cbranch_vccnz .LBB216_2
; %bb.1:
	v_dual_mov_b32 v1, s4 :: v_dual_mov_b32 v2, s5
	flat_load_b64 v[10:11], v[1:2] offset:8
.LBB216_2:
	s_and_b32 s4, s0, exec_lo
	s_cselect_b32 s1, s1, s9
	v_cndmask_b32_e64 v0, s8, v0, s0
	v_dual_mov_b32 v1, s1 :: v_dual_mov_b32 v6, s10
	v_mov_b32_e32 v7, s11
	s_and_not1_b32 vcc_lo, exec_lo, s6
	flat_load_b64 v[4:5], v[0:1]
	s_cbranch_vccnz .LBB216_4
; %bb.3:
	v_dual_mov_b32 v0, s8 :: v_dual_mov_b32 v1, s9
	flat_load_b64 v[6:7], v[0:1] offset:8
.LBB216_4:
	s_waitcnt vmcnt(1) lgkmcnt(1)
	v_cmp_eq_f64_e32 vcc_lo, 0, v[8:9]
	v_cmp_eq_f64_e64 s0, 0, v[10:11]
	s_delay_alu instid0(VALU_DEP_1)
	s_and_b32 s4, vcc_lo, s0
	s_mov_b32 s0, -1
	s_and_saveexec_b32 s1, s4
	s_cbranch_execz .LBB216_6
; %bb.5:
	s_waitcnt vmcnt(0) lgkmcnt(0)
	v_cmp_neq_f64_e32 vcc_lo, 1.0, v[4:5]
	v_cmp_neq_f64_e64 s0, 0, v[6:7]
	s_delay_alu instid0(VALU_DEP_1) | instskip(NEXT) | instid1(SALU_CYCLE_1)
	s_or_b32 s0, vcc_lo, s0
	s_or_not1_b32 s0, s0, exec_lo
.LBB216_6:
	s_or_b32 exec_lo, exec_lo, s1
	s_and_saveexec_b32 s1, s0
	s_cbranch_execz .LBB216_31
; %bb.7:
	s_clause 0x1
	s_load_b32 s0, s[2:3], 0x20
	s_load_b128 s[4:7], s[2:3], 0x10
	s_mov_b32 s1, 0
	v_mov_b32_e32 v2, 0
	v_mov_b32_e32 v3, 0
	s_waitcnt lgkmcnt(0)
	s_lshl_b64 s[8:9], s[0:1], 2
	s_delay_alu instid0(SALU_CYCLE_1)
	s_add_u32 s6, s6, s8
	s_addc_u32 s7, s7, s9
	s_load_b32 s0, s[6:7], 0x0
	s_waitcnt lgkmcnt(0)
	s_add_i32 s6, s0, s15
	v_sub_co_u32 v0, s0, v18, s12
	s_ashr_i32 s7, s6, 31
	v_sub_co_ci_u32_e64 v1, null, 0, 0, s0
	s_lshl_b64 s[6:7], s[6:7], 2
	s_delay_alu instid0(SALU_CYCLE_1)
	s_add_u32 s4, s4, s6
	s_addc_u32 s5, s5, s7
	s_load_b32 s4, s[4:5], 0x0
	s_load_b64 s[6:7], s[2:3], 0x38
	s_waitcnt lgkmcnt(0)
	s_ashr_i32 s5, s4, 31
	s_delay_alu instid0(SALU_CYCLE_1) | instskip(NEXT) | instid1(SALU_CYCLE_1)
	s_lshl_b64 s[8:9], s[4:5], 3
	s_add_u32 s6, s6, s8
	s_addc_u32 s7, s7, s9
	s_load_b128 s[8:11], s[6:7], 0x0
	s_load_b64 s[6:7], s[2:3], 0x68
	s_waitcnt lgkmcnt(0)
	v_add_co_u32 v12, vcc_lo, s8, v0
	v_add_co_ci_u32_e32 v13, vcc_lo, s9, v1, vcc_lo
	v_dual_mov_b32 v0, v2 :: v_dual_mov_b32 v1, v3
	s_sub_u32 s8, s10, s12
	s_subb_u32 s9, s11, 0
	s_mov_b32 s10, exec_lo
	v_cmpx_gt_i64_e64 s[8:9], v[12:13]
	s_cbranch_execz .LBB216_11
; %bb.8:
	s_clause 0x2
	s_load_b128 s[16:19], s[2:3], 0x40
	s_load_b32 s0, s[2:3], 0x0
	s_load_b64 s[2:3], s[2:3], 0x50
	v_lshlrev_b64 v[0:1], 3, v[12:13]
	v_lshlrev_b64 v[14:15], 2, v[12:13]
	v_mov_b32_e32 v2, 0
	v_mov_b32_e32 v3, 0
	s_waitcnt lgkmcnt(0)
	s_delay_alu instid0(VALU_DEP_4) | instskip(SKIP_3) | instid1(VALU_DEP_4)
	v_add_co_u32 v0, vcc_lo, v0, s18
	v_add_co_ci_u32_e32 v1, vcc_lo, s19, v1, vcc_lo
	v_add_co_u32 v14, vcc_lo, s16, v14
	v_add_co_ci_u32_e32 v15, vcc_lo, s17, v15, vcc_lo
	v_add_co_u32 v16, vcc_lo, v0, 4
	s_delay_alu instid0(VALU_DEP_4)
	v_add_co_ci_u32_e32 v17, vcc_lo, 0, v1, vcc_lo
	v_dual_mov_b32 v0, v2 :: v_dual_mov_b32 v1, v3
	s_bitcmp1_b32 s0, 0
	s_cselect_b32 s11, -1, 0
.LBB216_9:                              ; =>This Inner Loop Header: Depth=1
	global_load_b32 v19, v[14:15], off
	global_load_b64 v[23:24], v[16:17], off offset:-4
	v_add_co_u32 v14, s0, 0x400, v14
	s_delay_alu instid0(VALU_DEP_1)
	v_add_co_ci_u32_e64 v15, s0, 0, v15, s0
	s_waitcnt vmcnt(1)
	v_subrev_nc_u32_e32 v19, s12, v19
	s_waitcnt vmcnt(0)
	v_cndmask_b32_e64 v24, v24, -v24, s11
	v_cvt_f64_f32_e32 v[26:27], v23
	s_delay_alu instid0(VALU_DEP_3) | instskip(NEXT) | instid1(VALU_DEP_3)
	v_ashrrev_i32_e32 v20, 31, v19
	v_cvt_f64_f32_e32 v[24:25], v24
	s_delay_alu instid0(VALU_DEP_2) | instskip(NEXT) | instid1(VALU_DEP_1)
	v_lshlrev_b64 v[19:20], 4, v[19:20]
	v_add_co_u32 v19, vcc_lo, s2, v19
	s_delay_alu instid0(VALU_DEP_2)
	v_add_co_ci_u32_e32 v20, vcc_lo, s3, v20, vcc_lo
	v_add_co_u32 v12, vcc_lo, 0x100, v12
	v_add_co_ci_u32_e32 v13, vcc_lo, 0, v13, vcc_lo
	global_load_b128 v[19:22], v[19:20], off
	v_add_co_u32 v16, vcc_lo, 0x800, v16
	v_add_co_ci_u32_e32 v17, vcc_lo, 0, v17, vcc_lo
	v_cmp_le_i64_e32 vcc_lo, s[8:9], v[12:13]
	s_or_b32 s1, vcc_lo, s1
	v_mul_f64 v[28:29], -v[10:11], v[24:25]
	v_mul_f64 v[23:24], v[8:9], v[24:25]
	s_delay_alu instid0(VALU_DEP_2) | instskip(NEXT) | instid1(VALU_DEP_2)
	v_fma_f64 v[28:29], v[8:9], v[26:27], v[28:29]
	v_fma_f64 v[23:24], v[10:11], v[26:27], v[23:24]
	s_waitcnt vmcnt(0)
	s_delay_alu instid0(VALU_DEP_2) | instskip(NEXT) | instid1(VALU_DEP_2)
	v_fma_f64 v[0:1], v[28:29], v[19:20], v[0:1]
	v_fma_f64 v[2:3], v[23:24], v[19:20], v[2:3]
	s_delay_alu instid0(VALU_DEP_2) | instskip(NEXT) | instid1(VALU_DEP_2)
	v_fma_f64 v[0:1], -v[23:24], v[21:22], v[0:1]
	v_fma_f64 v[2:3], v[28:29], v[21:22], v[2:3]
	s_and_not1_b32 exec_lo, exec_lo, s1
	s_cbranch_execnz .LBB216_9
; %bb.10:
	s_or_b32 exec_lo, exec_lo, s1
.LBB216_11:
	s_delay_alu instid0(SALU_CYCLE_1)
	s_or_b32 exec_lo, exec_lo, s10
	v_lshlrev_b32_e32 v8, 4, v18
	s_mov_b32 s0, exec_lo
	ds_store_b128 v8, v[0:3]
	s_waitcnt vmcnt(0) lgkmcnt(0)
	s_barrier
	buffer_gl0_inv
	v_cmpx_gt_u32_e32 0x80, v18
	s_cbranch_execz .LBB216_13
; %bb.12:
	ds_load_b128 v[0:3], v8 offset:2048
	ds_load_b128 v[9:12], v8
	s_waitcnt lgkmcnt(0)
	v_add_f64 v[0:1], v[0:1], v[9:10]
	v_add_f64 v[2:3], v[2:3], v[11:12]
	ds_store_b128 v8, v[0:3]
.LBB216_13:
	s_or_b32 exec_lo, exec_lo, s0
	s_delay_alu instid0(SALU_CYCLE_1)
	s_mov_b32 s0, exec_lo
	s_waitcnt lgkmcnt(0)
	s_barrier
	buffer_gl0_inv
	v_cmpx_gt_u32_e32 64, v18
	s_cbranch_execz .LBB216_15
; %bb.14:
	ds_load_b128 v[0:3], v8 offset:1024
	ds_load_b128 v[9:12], v8
	s_waitcnt lgkmcnt(0)
	v_add_f64 v[0:1], v[0:1], v[9:10]
	v_add_f64 v[2:3], v[2:3], v[11:12]
	ds_store_b128 v8, v[0:3]
.LBB216_15:
	s_or_b32 exec_lo, exec_lo, s0
	s_delay_alu instid0(SALU_CYCLE_1)
	s_mov_b32 s0, exec_lo
	s_waitcnt lgkmcnt(0)
	s_barrier
	buffer_gl0_inv
	v_cmpx_gt_u32_e32 32, v18
	s_cbranch_execz .LBB216_17
; %bb.16:
	ds_load_b128 v[0:3], v8 offset:512
	ds_load_b128 v[9:12], v8
	s_waitcnt lgkmcnt(0)
	v_add_f64 v[0:1], v[0:1], v[9:10]
	v_add_f64 v[2:3], v[2:3], v[11:12]
	ds_store_b128 v8, v[0:3]
.LBB216_17:
	s_or_b32 exec_lo, exec_lo, s0
	s_delay_alu instid0(SALU_CYCLE_1)
	s_mov_b32 s0, exec_lo
	s_waitcnt lgkmcnt(0)
	s_barrier
	buffer_gl0_inv
	v_cmpx_gt_u32_e32 16, v18
	s_cbranch_execz .LBB216_19
; %bb.18:
	ds_load_b128 v[0:3], v8 offset:256
	ds_load_b128 v[9:12], v8
	s_waitcnt lgkmcnt(0)
	v_add_f64 v[0:1], v[0:1], v[9:10]
	v_add_f64 v[2:3], v[2:3], v[11:12]
	ds_store_b128 v8, v[0:3]
.LBB216_19:
	s_or_b32 exec_lo, exec_lo, s0
	s_delay_alu instid0(SALU_CYCLE_1)
	s_mov_b32 s0, exec_lo
	s_waitcnt lgkmcnt(0)
	s_barrier
	buffer_gl0_inv
	v_cmpx_gt_u32_e32 8, v18
	s_cbranch_execz .LBB216_21
; %bb.20:
	ds_load_b128 v[0:3], v8 offset:128
	ds_load_b128 v[9:12], v8
	s_waitcnt lgkmcnt(0)
	v_add_f64 v[0:1], v[0:1], v[9:10]
	v_add_f64 v[2:3], v[2:3], v[11:12]
	ds_store_b128 v8, v[0:3]
.LBB216_21:
	s_or_b32 exec_lo, exec_lo, s0
	s_delay_alu instid0(SALU_CYCLE_1)
	s_mov_b32 s0, exec_lo
	s_waitcnt lgkmcnt(0)
	s_barrier
	buffer_gl0_inv
	v_cmpx_gt_u32_e32 4, v18
	s_cbranch_execz .LBB216_23
; %bb.22:
	ds_load_b128 v[0:3], v8 offset:64
	ds_load_b128 v[9:12], v8
	s_waitcnt lgkmcnt(0)
	v_add_f64 v[0:1], v[0:1], v[9:10]
	v_add_f64 v[2:3], v[2:3], v[11:12]
	ds_store_b128 v8, v[0:3]
.LBB216_23:
	s_or_b32 exec_lo, exec_lo, s0
	s_delay_alu instid0(SALU_CYCLE_1)
	s_mov_b32 s0, exec_lo
	s_waitcnt lgkmcnt(0)
	s_barrier
	buffer_gl0_inv
	v_cmpx_gt_u32_e32 2, v18
	s_cbranch_execz .LBB216_25
; %bb.24:
	ds_load_b128 v[0:3], v8
	ds_load_b128 v[9:12], v8 offset:32
	s_waitcnt lgkmcnt(0)
	v_add_f64 v[0:1], v[9:10], v[0:1]
	v_add_f64 v[2:3], v[11:12], v[2:3]
	ds_store_b128 v8, v[0:3]
.LBB216_25:
	s_or_b32 exec_lo, exec_lo, s0
	v_cmp_eq_u32_e32 vcc_lo, 0, v18
	s_waitcnt lgkmcnt(0)
	s_barrier
	buffer_gl0_inv
	s_and_saveexec_b32 s0, vcc_lo
	s_cbranch_execz .LBB216_27
; %bb.26:
	v_mov_b32_e32 v12, 0
	ds_load_b128 v[0:3], v12
	ds_load_b128 v[8:11], v12 offset:16
	s_waitcnt lgkmcnt(0)
	v_add_f64 v[0:1], v[8:9], v[0:1]
	v_add_f64 v[2:3], v[10:11], v[2:3]
	ds_store_b128 v12, v[0:3]
.LBB216_27:
	s_or_b32 exec_lo, exec_lo, s0
	s_waitcnt lgkmcnt(0)
	s_barrier
	buffer_gl0_inv
	s_and_b32 exec_lo, exec_lo, vcc_lo
	s_cbranch_execz .LBB216_31
; %bb.28:
	v_cmp_neq_f64_e32 vcc_lo, 0, v[4:5]
	v_cmp_neq_f64_e64 s0, 0, v[6:7]
	v_mov_b32_e32 v8, 0
	ds_load_b128 v[0:3], v8
	s_or_b32 s1, vcc_lo, s0
	s_delay_alu instid0(SALU_CYCLE_1)
	s_and_saveexec_b32 s0, s1
	s_cbranch_execz .LBB216_30
; %bb.29:
	s_lshl_b64 s[2:3], s[4:5], 4
	s_delay_alu instid0(SALU_CYCLE_1)
	s_add_u32 s2, s6, s2
	s_addc_u32 s3, s7, s3
	s_load_b128 s[8:11], s[2:3], 0x0
	s_waitcnt lgkmcnt(0)
	v_fma_f64 v[0:1], v[4:5], s[8:9], v[0:1]
	v_fma_f64 v[2:3], v[6:7], s[8:9], v[2:3]
	s_delay_alu instid0(VALU_DEP_2) | instskip(NEXT) | instid1(VALU_DEP_2)
	v_fma_f64 v[0:1], -v[6:7], s[10:11], v[0:1]
	v_fma_f64 v[2:3], v[4:5], s[10:11], v[2:3]
.LBB216_30:
	s_or_b32 exec_lo, exec_lo, s0
	s_lshl_b64 s[0:1], s[4:5], 4
	s_delay_alu instid0(SALU_CYCLE_1)
	s_add_u32 s0, s6, s0
	s_addc_u32 s1, s7, s1
	s_waitcnt lgkmcnt(0)
	global_store_b128 v8, v[0:3], s[0:1]
.LBB216_31:
	s_nop 0
	s_sendmsg sendmsg(MSG_DEALLOC_VGPRS)
	s_endpgm
	.section	.rodata,"a",@progbits
	.p2align	6, 0x0
	.amdhsa_kernel _ZN9rocsparseL29csrmvn_lrb_medium_rows_kernelILj256Eli21rocsparse_complex_numIfES1_IdES3_S3_EEvbT0_PT1_S6_jNS_24const_host_device_scalarIT5_EEPKS4_PKS5_PKT2_PKT3_S9_PT4_21rocsparse_index_base_b
		.amdhsa_group_segment_fixed_size 8192
		.amdhsa_private_segment_fixed_size 0
		.amdhsa_kernarg_size 120
		.amdhsa_user_sgpr_count 15
		.amdhsa_user_sgpr_dispatch_ptr 1
		.amdhsa_user_sgpr_queue_ptr 0
		.amdhsa_user_sgpr_kernarg_segment_ptr 1
		.amdhsa_user_sgpr_dispatch_id 0
		.amdhsa_user_sgpr_private_segment_size 0
		.amdhsa_wavefront_size32 1
		.amdhsa_uses_dynamic_stack 0
		.amdhsa_enable_private_segment 0
		.amdhsa_system_sgpr_workgroup_id_x 1
		.amdhsa_system_sgpr_workgroup_id_y 0
		.amdhsa_system_sgpr_workgroup_id_z 0
		.amdhsa_system_sgpr_workgroup_info 0
		.amdhsa_system_vgpr_workitem_id 2
		.amdhsa_next_free_vgpr 30
		.amdhsa_next_free_sgpr 20
		.amdhsa_reserve_vcc 1
		.amdhsa_float_round_mode_32 0
		.amdhsa_float_round_mode_16_64 0
		.amdhsa_float_denorm_mode_32 3
		.amdhsa_float_denorm_mode_16_64 3
		.amdhsa_dx10_clamp 1
		.amdhsa_ieee_mode 1
		.amdhsa_fp16_overflow 0
		.amdhsa_workgroup_processor_mode 1
		.amdhsa_memory_ordered 1
		.amdhsa_forward_progress 0
		.amdhsa_shared_vgpr_count 0
		.amdhsa_exception_fp_ieee_invalid_op 0
		.amdhsa_exception_fp_denorm_src 0
		.amdhsa_exception_fp_ieee_div_zero 0
		.amdhsa_exception_fp_ieee_overflow 0
		.amdhsa_exception_fp_ieee_underflow 0
		.amdhsa_exception_fp_ieee_inexact 0
		.amdhsa_exception_int_div_zero 0
	.end_amdhsa_kernel
	.section	.text._ZN9rocsparseL29csrmvn_lrb_medium_rows_kernelILj256Eli21rocsparse_complex_numIfES1_IdES3_S3_EEvbT0_PT1_S6_jNS_24const_host_device_scalarIT5_EEPKS4_PKS5_PKT2_PKT3_S9_PT4_21rocsparse_index_base_b,"axG",@progbits,_ZN9rocsparseL29csrmvn_lrb_medium_rows_kernelILj256Eli21rocsparse_complex_numIfES1_IdES3_S3_EEvbT0_PT1_S6_jNS_24const_host_device_scalarIT5_EEPKS4_PKS5_PKT2_PKT3_S9_PT4_21rocsparse_index_base_b,comdat
.Lfunc_end216:
	.size	_ZN9rocsparseL29csrmvn_lrb_medium_rows_kernelILj256Eli21rocsparse_complex_numIfES1_IdES3_S3_EEvbT0_PT1_S6_jNS_24const_host_device_scalarIT5_EEPKS4_PKS5_PKT2_PKT3_S9_PT4_21rocsparse_index_base_b, .Lfunc_end216-_ZN9rocsparseL29csrmvn_lrb_medium_rows_kernelILj256Eli21rocsparse_complex_numIfES1_IdES3_S3_EEvbT0_PT1_S6_jNS_24const_host_device_scalarIT5_EEPKS4_PKS5_PKT2_PKT3_S9_PT4_21rocsparse_index_base_b
                                        ; -- End function
	.section	.AMDGPU.csdata,"",@progbits
; Kernel info:
; codeLenInByte = 1752
; NumSgprs: 22
; NumVgprs: 30
; ScratchSize: 0
; MemoryBound: 0
; FloatMode: 240
; IeeeMode: 1
; LDSByteSize: 8192 bytes/workgroup (compile time only)
; SGPRBlocks: 2
; VGPRBlocks: 3
; NumSGPRsForWavesPerEU: 22
; NumVGPRsForWavesPerEU: 30
; Occupancy: 16
; WaveLimiterHint : 1
; COMPUTE_PGM_RSRC2:SCRATCH_EN: 0
; COMPUTE_PGM_RSRC2:USER_SGPR: 15
; COMPUTE_PGM_RSRC2:TRAP_HANDLER: 0
; COMPUTE_PGM_RSRC2:TGID_X_EN: 1
; COMPUTE_PGM_RSRC2:TGID_Y_EN: 0
; COMPUTE_PGM_RSRC2:TGID_Z_EN: 0
; COMPUTE_PGM_RSRC2:TIDIG_COMP_CNT: 2
	.section	.text._ZN9rocsparseL27csrmvn_lrb_long_rows_kernelIli21rocsparse_complex_numIfES1_IdES3_S3_EEvbT_PjPT0_S7_jNS_24const_host_device_scalarIT4_EEPKS4_PKS6_PKT1_PKT2_SA_PT3_21rocsparse_index_base_b,"axG",@progbits,_ZN9rocsparseL27csrmvn_lrb_long_rows_kernelIli21rocsparse_complex_numIfES1_IdES3_S3_EEvbT_PjPT0_S7_jNS_24const_host_device_scalarIT4_EEPKS4_PKS6_PKT1_PKT2_SA_PT3_21rocsparse_index_base_b,comdat
	.globl	_ZN9rocsparseL27csrmvn_lrb_long_rows_kernelIli21rocsparse_complex_numIfES1_IdES3_S3_EEvbT_PjPT0_S7_jNS_24const_host_device_scalarIT4_EEPKS4_PKS6_PKT1_PKT2_SA_PT3_21rocsparse_index_base_b ; -- Begin function _ZN9rocsparseL27csrmvn_lrb_long_rows_kernelIli21rocsparse_complex_numIfES1_IdES3_S3_EEvbT_PjPT0_S7_jNS_24const_host_device_scalarIT4_EEPKS4_PKS6_PKT1_PKT2_SA_PT3_21rocsparse_index_base_b
	.p2align	8
	.type	_ZN9rocsparseL27csrmvn_lrb_long_rows_kernelIli21rocsparse_complex_numIfES1_IdES3_S3_EEvbT_PjPT0_S7_jNS_24const_host_device_scalarIT4_EEPKS4_PKS6_PKT1_PKT2_SA_PT3_21rocsparse_index_base_b,@function
_ZN9rocsparseL27csrmvn_lrb_long_rows_kernelIli21rocsparse_complex_numIfES1_IdES3_S3_EEvbT_PjPT0_S7_jNS_24const_host_device_scalarIT4_EEPKS4_PKS6_PKT1_PKT2_SA_PT3_21rocsparse_index_base_b: ; @_ZN9rocsparseL27csrmvn_lrb_long_rows_kernelIli21rocsparse_complex_numIfES1_IdES3_S3_EEvbT_PjPT0_S7_jNS_24const_host_device_scalarIT4_EEPKS4_PKS6_PKT1_PKT2_SA_PT3_21rocsparse_index_base_b
; %bb.0:
	s_mov_b32 s12, s15
	s_clause 0x1
	s_load_b64 s[22:23], s[2:3], 0x78
	s_load_b128 s[4:7], s[2:3], 0x30
	s_load_b64 s[14:15], s[0:1], 0x4
	s_mov_b64 s[0:1], src_shared_base
	v_and_b32_e32 v14, 0x3ff, v0
	s_load_b128 s[8:11], s[2:3], 0x60
	v_bfe_u32 v2, v0, 10, 10
	v_bfe_u32 v0, v0, 20, 10
	s_waitcnt lgkmcnt(0)
	s_bitcmp1_b32 s23, 0
	s_cselect_b32 s0, -1, 0
	s_delay_alu instid0(SALU_CYCLE_1) | instskip(SKIP_4) | instid1(SALU_CYCLE_1)
	s_and_b32 vcc_lo, s0, exec_lo
	s_cselect_b32 s13, s1, s5
	s_lshr_b32 s14, s14, 16
	v_mov_b32_e32 v5, s13
	s_mul_i32 s14, s14, s15
	v_mul_lo_u32 v1, s14, v14
	s_delay_alu instid0(VALU_DEP_1) | instskip(SKIP_1) | instid1(VALU_DEP_2)
	v_mad_u32_u24 v1, v2, s15, v1
	v_dual_mov_b32 v2, s8 :: v_dual_mov_b32 v3, s9
	v_add_lshl_u32 v6, v1, v0, 3
	v_dual_mov_b32 v0, s4 :: v_dual_mov_b32 v1, s5
	s_delay_alu instid0(VALU_DEP_2)
	v_add_nc_u32_e32 v4, 0x1800, v6
	ds_store_2addr_stride64_b64 v6, v[2:3], v[0:1] offset0:8 offset1:12
	v_add_nc_u32_e32 v0, 0x1000, v6
	v_mov_b32_e32 v6, s6
	v_cndmask_b32_e64 v4, s4, v4, s0
	v_mov_b32_e32 v7, s7
	s_xor_b32 s6, s0, -1
	flat_load_b64 v[4:5], v[4:5]
	s_cbranch_vccnz .LBB217_2
; %bb.1:
	v_dual_mov_b32 v1, s4 :: v_dual_mov_b32 v2, s5
	flat_load_b64 v[6:7], v[1:2] offset:8
.LBB217_2:
	s_and_b32 s4, s0, exec_lo
	s_cselect_b32 s1, s1, s9
	v_cndmask_b32_e64 v0, s8, v0, s0
	v_dual_mov_b32 v1, s1 :: v_dual_mov_b32 v8, s10
	v_mov_b32_e32 v9, s11
	s_and_not1_b32 vcc_lo, exec_lo, s6
	flat_load_b64 v[10:11], v[0:1]
	s_cbranch_vccnz .LBB217_4
; %bb.3:
	v_dual_mov_b32 v0, s8 :: v_dual_mov_b32 v1, s9
	flat_load_b64 v[8:9], v[0:1] offset:8
.LBB217_4:
	s_waitcnt vmcnt(1) lgkmcnt(1)
	v_cmp_eq_f64_e32 vcc_lo, 0, v[4:5]
	v_cmp_eq_f64_e64 s0, 0, v[6:7]
	s_delay_alu instid0(VALU_DEP_1)
	s_and_b32 s4, vcc_lo, s0
	s_mov_b32 s0, -1
	s_and_saveexec_b32 s1, s4
	s_cbranch_execz .LBB217_6
; %bb.5:
	s_waitcnt vmcnt(0) lgkmcnt(0)
	v_cmp_neq_f64_e32 vcc_lo, 1.0, v[10:11]
	v_cmp_neq_f64_e64 s0, 0, v[8:9]
	s_delay_alu instid0(VALU_DEP_1) | instskip(NEXT) | instid1(SALU_CYCLE_1)
	s_or_b32 s0, vcc_lo, s0
	s_or_not1_b32 s0, s0, exec_lo
.LBB217_6:
	s_or_b32 exec_lo, exec_lo, s1
	s_and_saveexec_b32 s1, s0
	s_cbranch_execz .LBB217_44
; %bb.7:
	s_clause 0x1
	s_load_b32 s0, s[2:3], 0x28
	s_load_b64 s[4:5], s[2:3], 0x20
	s_mov_b32 s1, 0
	s_load_b64 s[16:17], s[2:3], 0x70
	s_waitcnt lgkmcnt(0)
	s_lshl_b64 s[6:7], s[0:1], 2
	s_delay_alu instid0(SALU_CYCLE_1) | instskip(SKIP_4) | instid1(SALU_CYCLE_1)
	s_add_u32 s4, s4, s6
	s_addc_u32 s5, s5, s7
	s_lshl_b32 s0, -1, s0
	s_load_b32 s8, s[4:5], 0x0
	s_not_b32 s0, s0
	s_mul_hi_u32 s0, s0, 0x2aaaaaab
	s_delay_alu instid0(SALU_CYCLE_1) | instskip(NEXT) | instid1(SALU_CYCLE_1)
	s_lshr_b32 s0, s0, 7
	s_add_i32 s10, s0, 1
	s_not_b32 s0, s0
	v_cvt_f32_u32_e32 v0, s10
	s_delay_alu instid0(VALU_DEP_1) | instskip(SKIP_2) | instid1(VALU_DEP_1)
	v_rcp_iflag_f32_e32 v0, v0
	s_waitcnt_depctr 0xfff
	v_mul_f32_e32 v0, 0x4f7ffffe, v0
	v_cvt_u32_f32_e32 v0, v0
	s_delay_alu instid0(VALU_DEP_1) | instskip(SKIP_2) | instid1(VALU_DEP_3)
	v_readfirstlane_b32 s6, v0
	v_mov_b32_e32 v0, 0
	v_mov_b32_e32 v1, 0
	s_mul_i32 s0, s0, s6
	s_delay_alu instid0(SALU_CYCLE_1) | instskip(NEXT) | instid1(SALU_CYCLE_1)
	s_mul_hi_u32 s0, s6, s0
	s_add_i32 s6, s6, s0
	s_delay_alu instid0(SALU_CYCLE_1) | instskip(SKIP_4) | instid1(SALU_CYCLE_1)
	s_mul_hi_u32 s0, s12, s6
	s_load_b128 s[4:7], s[2:3], 0x10
	s_mul_i32 s9, s0, s10
	s_add_i32 s11, s0, 1
	s_sub_i32 s9, s12, s9
	s_sub_i32 s13, s9, s10
	s_cmp_ge_u32 s9, s10
	s_cselect_b32 s0, s11, s0
	s_cselect_b32 s9, s13, s9
	s_add_i32 s11, s0, 1
	s_cmp_ge_u32 s9, s10
	s_cselect_b32 s0, s11, s0
	s_waitcnt lgkmcnt(0)
	s_add_i32 s8, s0, s8
	s_mul_i32 s20, s0, s10
	s_ashr_i32 s9, s8, 31
	s_sub_i32 s24, s12, s20
	s_lshl_b64 s[8:9], s[8:9], 2
	v_or_b32_e32 v2, s24, v14
	s_add_u32 s6, s6, s8
	s_addc_u32 s7, s7, s9
	s_load_b32 s6, s[6:7], 0x0
	s_load_b64 s[8:9], s[2:3], 0x40
	v_cmp_eq_u32_e32 vcc_lo, 0, v2
	v_dual_mov_b32 v3, v1 :: v_dual_mov_b32 v2, v0
	s_waitcnt lgkmcnt(0)
	s_ashr_i32 s7, s6, 31
	s_delay_alu instid0(SALU_CYCLE_1) | instskip(NEXT) | instid1(SALU_CYCLE_1)
	s_lshl_b64 s[10:11], s[6:7], 3
	s_add_u32 s8, s8, s10
	s_addc_u32 s9, s9, s11
	s_ashr_i32 s13, s12, 31
	s_delay_alu instid0(SALU_CYCLE_1) | instskip(NEXT) | instid1(SALU_CYCLE_1)
	s_lshl_b64 s[10:11], s[12:13], 2
	s_add_u32 s18, s4, s10
	s_addc_u32 s19, s5, s11
	s_load_b128 s[8:11], s[8:9], 0x0
	s_load_b32 s23, s[18:19], 0x0
	s_and_saveexec_b32 s0, vcc_lo
	s_cbranch_execz .LBB217_11
; %bb.8:
	s_waitcnt vmcnt(0)
	v_add_f64 v[0:1], v[10:11], -1.0
	s_lshl_b64 s[12:13], s[6:7], 4
	s_mov_b32 s25, exec_lo
	s_add_u32 s12, s16, s12
	s_addc_u32 s13, s17, s13
	v_mbcnt_lo_u32_b32 v12, s25, 0
	s_load_b128 s[12:15], s[12:13], 0x0
	s_waitcnt vmcnt(0) expcnt(0) lgkmcnt(0)
	v_mul_f64 v[2:3], s[14:15], -v[8:9]
	s_delay_alu instid0(VALU_DEP_3)
	v_mul_f64 v[10:11], v[0:1], s[14:15]
	s_mov_b32 s14, exec_lo
	v_cmpx_eq_u32_e32 0, v12
	s_cbranch_execz .LBB217_10
; %bb.9:
	s_ashr_i32 s21, s20, 31
	s_delay_alu instid0(SALU_CYCLE_1) | instskip(NEXT) | instid1(SALU_CYCLE_1)
	s_lshl_b64 s[26:27], s[20:21], 2
	s_add_u32 s26, s4, s26
	s_addc_u32 s27, s5, s27
	s_bcnt1_i32_b32 s15, s25
	s_delay_alu instid0(SALU_CYCLE_1) | instskip(NEXT) | instid1(SALU_CYCLE_1)
	s_and_b32 s15, s15, 1
	v_dual_mov_b32 v12, 0 :: v_dual_mov_b32 v13, s15
	global_atomic_xor_b32 v12, v13, s[26:27]
.LBB217_10:
	s_or_b32 exec_lo, exec_lo, s14
	s_delay_alu instid0(VALU_DEP_3) | instskip(NEXT) | instid1(VALU_DEP_3)
	v_fma_f64 v[0:1], v[0:1], s[12:13], v[2:3]
	v_fma_f64 v[2:3], v[8:9], s[12:13], v[10:11]
.LBB217_11:
	s_or_b32 exec_lo, exec_lo, s0
	s_mul_i32 s0, s24, 3
	s_delay_alu instid0(SALU_CYCLE_1)
	s_lshl_b64 s[0:1], s[0:1], 8
	s_waitcnt lgkmcnt(0)
	s_sub_u32 s8, s8, s22
	s_subb_u32 s9, s9, 0
	s_add_u32 s12, s8, s0
	s_addc_u32 s13, s9, s1
	s_sub_u32 s0, s10, s22
	s_subb_u32 s1, s11, 0
	s_add_u32 s8, s12, 0x300
	s_addc_u32 s9, s13, 0
	s_waitcnt vmcnt(0)
	v_add_co_u32 v8, s11, s12, v14
	v_cmp_lt_i64_e64 s10, s[8:9], s[0:1]
	v_add_co_ci_u32_e64 v9, null, s13, 0, s11
	s_delay_alu instid0(VALU_DEP_2)
	s_and_b32 s10, s10, exec_lo
	s_cselect_b32 s9, s9, s1
	s_cselect_b32 s8, s8, s0
	s_mov_b32 s1, exec_lo
	v_cmpx_gt_i64_e64 s[8:9], v[8:9]
	s_cbranch_execz .LBB217_15
; %bb.12:
	s_clause 0x1
	s_load_b128 s[12:15], s[2:3], 0x48
	s_load_b32 s0, s[2:3], 0x0
	v_lshlrev_b64 v[10:11], 3, v[8:9]
	s_load_b64 s[2:3], s[2:3], 0x58
	v_lshlrev_b64 v[12:13], 2, v[8:9]
	s_mov_b32 s11, 0
	s_waitcnt lgkmcnt(0)
	s_delay_alu instid0(VALU_DEP_2) | instskip(SKIP_2) | instid1(VALU_DEP_2)
	v_add_co_u32 v10, vcc_lo, v10, s14
	v_add_co_ci_u32_e32 v11, vcc_lo, s15, v11, vcc_lo
	s_bitcmp1_b32 s0, 0
	v_add_co_u32 v10, vcc_lo, v10, 4
	s_delay_alu instid0(VALU_DEP_2)
	v_add_co_ci_u32_e32 v11, vcc_lo, 0, v11, vcc_lo
	v_add_co_u32 v12, vcc_lo, s12, v12
	v_add_co_ci_u32_e32 v13, vcc_lo, s13, v13, vcc_lo
	s_cselect_b32 s10, -1, 0
.LBB217_13:                             ; =>This Inner Loop Header: Depth=1
	global_load_b32 v15, v[12:13], off
	global_load_b64 v[19:20], v[10:11], off offset:-4
	v_add_co_u32 v12, s0, 0x400, v12
	s_delay_alu instid0(VALU_DEP_1)
	v_add_co_ci_u32_e64 v13, s0, 0, v13, s0
	s_waitcnt vmcnt(1)
	v_subrev_nc_u32_e32 v15, s22, v15
	s_waitcnt vmcnt(0)
	v_cndmask_b32_e64 v20, v20, -v20, s10
	v_cvt_f64_f32_e32 v[22:23], v19
	s_delay_alu instid0(VALU_DEP_3) | instskip(NEXT) | instid1(VALU_DEP_3)
	v_ashrrev_i32_e32 v16, 31, v15
	v_cvt_f64_f32_e32 v[20:21], v20
	s_delay_alu instid0(VALU_DEP_2) | instskip(NEXT) | instid1(VALU_DEP_1)
	v_lshlrev_b64 v[15:16], 4, v[15:16]
	v_add_co_u32 v15, vcc_lo, s2, v15
	s_delay_alu instid0(VALU_DEP_2)
	v_add_co_ci_u32_e32 v16, vcc_lo, s3, v16, vcc_lo
	v_add_co_u32 v8, vcc_lo, 0x100, v8
	v_add_co_ci_u32_e32 v9, vcc_lo, 0, v9, vcc_lo
	global_load_b128 v[15:18], v[15:16], off
	v_add_co_u32 v10, vcc_lo, 0x800, v10
	v_add_co_ci_u32_e32 v11, vcc_lo, 0, v11, vcc_lo
	v_cmp_le_i64_e32 vcc_lo, s[8:9], v[8:9]
	s_or_b32 s11, vcc_lo, s11
	v_mul_f64 v[24:25], -v[6:7], v[20:21]
	v_mul_f64 v[19:20], v[4:5], v[20:21]
	s_delay_alu instid0(VALU_DEP_2) | instskip(NEXT) | instid1(VALU_DEP_2)
	v_fma_f64 v[24:25], v[4:5], v[22:23], v[24:25]
	v_fma_f64 v[19:20], v[6:7], v[22:23], v[19:20]
	s_waitcnt vmcnt(0)
	s_delay_alu instid0(VALU_DEP_2) | instskip(NEXT) | instid1(VALU_DEP_2)
	v_fma_f64 v[0:1], v[24:25], v[15:16], v[0:1]
	v_fma_f64 v[2:3], v[19:20], v[15:16], v[2:3]
	s_delay_alu instid0(VALU_DEP_2) | instskip(NEXT) | instid1(VALU_DEP_2)
	v_fma_f64 v[0:1], -v[19:20], v[17:18], v[0:1]
	v_fma_f64 v[2:3], v[24:25], v[17:18], v[2:3]
	s_and_not1_b32 exec_lo, exec_lo, s11
	s_cbranch_execnz .LBB217_13
; %bb.14:
	s_or_b32 exec_lo, exec_lo, s11
.LBB217_15:
	s_delay_alu instid0(SALU_CYCLE_1)
	s_or_b32 exec_lo, exec_lo, s1
	v_lshlrev_b32_e32 v4, 4, v14
	s_mov_b32 s0, exec_lo
	ds_store_b128 v4, v[0:3]
	s_waitcnt lgkmcnt(0)
	s_waitcnt_vscnt null, 0x0
	s_barrier
	buffer_gl0_inv
	v_cmpx_gt_u32_e32 0x80, v14
	s_cbranch_execz .LBB217_17
; %bb.16:
	ds_load_b128 v[0:3], v4 offset:2048
	ds_load_b128 v[5:8], v4
	s_waitcnt lgkmcnt(0)
	v_add_f64 v[0:1], v[0:1], v[5:6]
	v_add_f64 v[2:3], v[2:3], v[7:8]
	ds_store_b128 v4, v[0:3]
.LBB217_17:
	s_or_b32 exec_lo, exec_lo, s0
	s_delay_alu instid0(SALU_CYCLE_1)
	s_mov_b32 s0, exec_lo
	s_waitcnt lgkmcnt(0)
	s_barrier
	buffer_gl0_inv
	v_cmpx_gt_u32_e32 64, v14
	s_cbranch_execz .LBB217_19
; %bb.18:
	ds_load_b128 v[0:3], v4 offset:1024
	ds_load_b128 v[5:8], v4
	s_waitcnt lgkmcnt(0)
	v_add_f64 v[0:1], v[0:1], v[5:6]
	v_add_f64 v[2:3], v[2:3], v[7:8]
	ds_store_b128 v4, v[0:3]
.LBB217_19:
	s_or_b32 exec_lo, exec_lo, s0
	s_delay_alu instid0(SALU_CYCLE_1)
	s_mov_b32 s0, exec_lo
	s_waitcnt lgkmcnt(0)
	;; [unrolled: 16-line block ×6, first 2 shown]
	s_barrier
	buffer_gl0_inv
	v_cmpx_gt_u32_e32 2, v14
	s_cbranch_execz .LBB217_29
; %bb.28:
	ds_load_b128 v[0:3], v4
	ds_load_b128 v[5:8], v4 offset:32
	s_waitcnt lgkmcnt(0)
	v_add_f64 v[0:1], v[5:6], v[0:1]
	v_add_f64 v[2:3], v[7:8], v[2:3]
	ds_store_b128 v4, v[0:3]
.LBB217_29:
	s_or_b32 exec_lo, exec_lo, s0
	v_cmp_eq_u32_e32 vcc_lo, 0, v14
	s_waitcnt lgkmcnt(0)
	s_barrier
	buffer_gl0_inv
	s_and_saveexec_b32 s0, vcc_lo
	s_cbranch_execz .LBB217_31
; %bb.30:
	v_mov_b32_e32 v8, 0
	ds_load_b128 v[0:3], v8
	ds_load_b128 v[4:7], v8 offset:16
	s_waitcnt lgkmcnt(0)
	v_add_f64 v[0:1], v[4:5], v[0:1]
	v_add_f64 v[2:3], v[6:7], v[2:3]
	ds_store_b128 v8, v[0:3]
.LBB217_31:
	s_or_b32 exec_lo, exec_lo, s0
	s_waitcnt lgkmcnt(0)
	s_barrier
	buffer_gl0_inv
	s_and_b32 exec_lo, exec_lo, vcc_lo
	s_cbranch_execz .LBB217_44
; %bb.32:
	s_cmp_eq_u32 s24, 0
	s_cbranch_scc1 .LBB217_38
; %bb.33:
	s_ashr_i32 s21, s20, 31
	v_mov_b32_e32 v0, 0
	s_lshl_b64 s[0:1], s[20:21], 2
	s_delay_alu instid0(SALU_CYCLE_1)
	s_add_u32 s0, s4, s0
	s_addc_u32 s1, s5, s1
	s_branch .LBB217_35
.LBB217_34:                             ;   in Loop: Header=BB217_35 Depth=1
	s_or_b32 exec_lo, exec_lo, s2
	s_waitcnt vmcnt(0)
	v_readfirstlane_b32 s2, v1
	s_delay_alu instid0(VALU_DEP_1)
	s_cmp_eq_u32 s2, s23
	s_cbranch_scc0 .LBB217_37
.LBB217_35:                             ; =>This Inner Loop Header: Depth=1
	v_mbcnt_lo_u32_b32 v1, exec_lo, 0
	s_delay_alu instid0(VALU_DEP_1)
	v_cmp_eq_u32_e32 vcc_lo, 0, v1
                                        ; implicit-def: $vgpr1
	s_and_saveexec_b32 s2, vcc_lo
	s_cbranch_execz .LBB217_34
; %bb.36:                               ;   in Loop: Header=BB217_35 Depth=1
	global_load_b32 v1, v0, s[0:1] glc
	s_branch .LBB217_34
.LBB217_37:
	v_mov_b32_e32 v0, 0
	global_load_b32 v1, v0, s[18:19]
	s_waitcnt vmcnt(0)
	v_xor_b32_e32 v1, 1, v1
	global_store_b32 v0, v1, s[18:19]
.LBB217_38:
	v_mov_b32_e32 v8, 0
	s_mov_b32 s3, exec_lo
	s_lshl_b64 s[0:1], s[6:7], 4
	v_mbcnt_lo_u32_b32 v4, s3, 0
	s_add_u32 s0, s16, s0
	ds_load_b128 v[0:3], v8
	s_addc_u32 s1, s17, s1
	s_mov_b32 s2, exec_lo
	v_cmpx_eq_u32_e32 0, v4
	s_cbranch_execz .LBB217_41
; %bb.39:
	global_load_b64 v[6:7], v8, s[0:1]
	s_bcnt1_i32_b32 s3, s3
	s_delay_alu instid0(SALU_CYCLE_1) | instskip(SKIP_2) | instid1(VALU_DEP_1)
	v_cvt_f64_u32_e32 v[4:5], s3
	s_mov_b32 s3, 0
	s_waitcnt lgkmcnt(0)
	v_mul_f64 v[0:1], v[0:1], v[4:5]
.LBB217_40:                             ; =>This Inner Loop Header: Depth=1
	s_waitcnt vmcnt(0)
	s_delay_alu instid0(VALU_DEP_1)
	v_add_f64 v[4:5], v[6:7], v[0:1]
	global_atomic_cmpswap_b64 v[4:5], v8, v[4:7], s[0:1] glc
	s_waitcnt vmcnt(0)
	v_cmp_eq_u64_e32 vcc_lo, v[4:5], v[6:7]
	v_dual_mov_b32 v7, v5 :: v_dual_mov_b32 v6, v4
	s_or_b32 s3, vcc_lo, s3
	s_delay_alu instid0(SALU_CYCLE_1)
	s_and_not1_b32 exec_lo, exec_lo, s3
	s_cbranch_execnz .LBB217_40
.LBB217_41:
	s_or_b32 exec_lo, exec_lo, s2
	s_delay_alu instid0(SALU_CYCLE_1) | instskip(SKIP_3) | instid1(VALU_DEP_1)
	s_mov_b32 s3, exec_lo
	s_mov_b32 s2, 0
	s_waitcnt lgkmcnt(0)
	v_mbcnt_lo_u32_b32 v0, s3, 0
	v_cmp_eq_u32_e32 vcc_lo, 0, v0
	s_and_b32 s4, exec_lo, vcc_lo
	s_delay_alu instid0(SALU_CYCLE_1)
	s_mov_b32 exec_lo, s4
	s_cbranch_execz .LBB217_44
; %bb.42:
	v_mov_b32_e32 v6, 0
	s_bcnt1_i32_b32 s3, s3
	s_delay_alu instid0(SALU_CYCLE_1)
	v_cvt_f64_u32_e32 v[0:1], s3
	global_load_b64 v[4:5], v6, s[0:1] offset:8
	v_mul_f64 v[0:1], v[2:3], v[0:1]
.LBB217_43:                             ; =>This Inner Loop Header: Depth=1
	s_waitcnt vmcnt(0)
	s_delay_alu instid0(VALU_DEP_1)
	v_add_f64 v[2:3], v[4:5], v[0:1]
	global_atomic_cmpswap_b64 v[2:3], v6, v[2:5], s[0:1] offset:8 glc
	s_waitcnt vmcnt(0)
	v_cmp_eq_u64_e32 vcc_lo, v[2:3], v[4:5]
	v_dual_mov_b32 v5, v3 :: v_dual_mov_b32 v4, v2
	s_or_b32 s2, vcc_lo, s2
	s_delay_alu instid0(SALU_CYCLE_1)
	s_and_not1_b32 exec_lo, exec_lo, s2
	s_cbranch_execnz .LBB217_43
.LBB217_44:
	s_nop 0
	s_sendmsg sendmsg(MSG_DEALLOC_VGPRS)
	s_endpgm
	.section	.rodata,"a",@progbits
	.p2align	6, 0x0
	.amdhsa_kernel _ZN9rocsparseL27csrmvn_lrb_long_rows_kernelIli21rocsparse_complex_numIfES1_IdES3_S3_EEvbT_PjPT0_S7_jNS_24const_host_device_scalarIT4_EEPKS4_PKS6_PKT1_PKT2_SA_PT3_21rocsparse_index_base_b
		.amdhsa_group_segment_fixed_size 8192
		.amdhsa_private_segment_fixed_size 0
		.amdhsa_kernarg_size 128
		.amdhsa_user_sgpr_count 15
		.amdhsa_user_sgpr_dispatch_ptr 1
		.amdhsa_user_sgpr_queue_ptr 0
		.amdhsa_user_sgpr_kernarg_segment_ptr 1
		.amdhsa_user_sgpr_dispatch_id 0
		.amdhsa_user_sgpr_private_segment_size 0
		.amdhsa_wavefront_size32 1
		.amdhsa_uses_dynamic_stack 0
		.amdhsa_enable_private_segment 0
		.amdhsa_system_sgpr_workgroup_id_x 1
		.amdhsa_system_sgpr_workgroup_id_y 0
		.amdhsa_system_sgpr_workgroup_id_z 0
		.amdhsa_system_sgpr_workgroup_info 0
		.amdhsa_system_vgpr_workitem_id 2
		.amdhsa_next_free_vgpr 26
		.amdhsa_next_free_sgpr 28
		.amdhsa_reserve_vcc 1
		.amdhsa_float_round_mode_32 0
		.amdhsa_float_round_mode_16_64 0
		.amdhsa_float_denorm_mode_32 3
		.amdhsa_float_denorm_mode_16_64 3
		.amdhsa_dx10_clamp 1
		.amdhsa_ieee_mode 1
		.amdhsa_fp16_overflow 0
		.amdhsa_workgroup_processor_mode 1
		.amdhsa_memory_ordered 1
		.amdhsa_forward_progress 0
		.amdhsa_shared_vgpr_count 0
		.amdhsa_exception_fp_ieee_invalid_op 0
		.amdhsa_exception_fp_denorm_src 0
		.amdhsa_exception_fp_ieee_div_zero 0
		.amdhsa_exception_fp_ieee_overflow 0
		.amdhsa_exception_fp_ieee_underflow 0
		.amdhsa_exception_fp_ieee_inexact 0
		.amdhsa_exception_int_div_zero 0
	.end_amdhsa_kernel
	.section	.text._ZN9rocsparseL27csrmvn_lrb_long_rows_kernelIli21rocsparse_complex_numIfES1_IdES3_S3_EEvbT_PjPT0_S7_jNS_24const_host_device_scalarIT4_EEPKS4_PKS6_PKT1_PKT2_SA_PT3_21rocsparse_index_base_b,"axG",@progbits,_ZN9rocsparseL27csrmvn_lrb_long_rows_kernelIli21rocsparse_complex_numIfES1_IdES3_S3_EEvbT_PjPT0_S7_jNS_24const_host_device_scalarIT4_EEPKS4_PKS6_PKT1_PKT2_SA_PT3_21rocsparse_index_base_b,comdat
.Lfunc_end217:
	.size	_ZN9rocsparseL27csrmvn_lrb_long_rows_kernelIli21rocsparse_complex_numIfES1_IdES3_S3_EEvbT_PjPT0_S7_jNS_24const_host_device_scalarIT4_EEPKS4_PKS6_PKT1_PKT2_SA_PT3_21rocsparse_index_base_b, .Lfunc_end217-_ZN9rocsparseL27csrmvn_lrb_long_rows_kernelIli21rocsparse_complex_numIfES1_IdES3_S3_EEvbT_PjPT0_S7_jNS_24const_host_device_scalarIT4_EEPKS4_PKS6_PKT1_PKT2_SA_PT3_21rocsparse_index_base_b
                                        ; -- End function
	.section	.AMDGPU.csdata,"",@progbits
; Kernel info:
; codeLenInByte = 2416
; NumSgprs: 30
; NumVgprs: 26
; ScratchSize: 0
; MemoryBound: 0
; FloatMode: 240
; IeeeMode: 1
; LDSByteSize: 8192 bytes/workgroup (compile time only)
; SGPRBlocks: 3
; VGPRBlocks: 3
; NumSGPRsForWavesPerEU: 30
; NumVGPRsForWavesPerEU: 26
; Occupancy: 16
; WaveLimiterHint : 1
; COMPUTE_PGM_RSRC2:SCRATCH_EN: 0
; COMPUTE_PGM_RSRC2:USER_SGPR: 15
; COMPUTE_PGM_RSRC2:TRAP_HANDLER: 0
; COMPUTE_PGM_RSRC2:TGID_X_EN: 1
; COMPUTE_PGM_RSRC2:TGID_Y_EN: 0
; COMPUTE_PGM_RSRC2:TGID_Z_EN: 0
; COMPUTE_PGM_RSRC2:TIDIG_COMP_CNT: 2
	.section	.text._ZN9rocsparseL28csrmvn_lrb_short_rows_kernelIll21rocsparse_complex_numIfES1_IdES3_S3_EEvbT_PT0_S6_jNS_24const_host_device_scalarIT4_EEPKS4_PKS5_PKT1_PKT2_S9_PT3_21rocsparse_index_base_b,"axG",@progbits,_ZN9rocsparseL28csrmvn_lrb_short_rows_kernelIll21rocsparse_complex_numIfES1_IdES3_S3_EEvbT_PT0_S6_jNS_24const_host_device_scalarIT4_EEPKS4_PKS5_PKT1_PKT2_S9_PT3_21rocsparse_index_base_b,comdat
	.globl	_ZN9rocsparseL28csrmvn_lrb_short_rows_kernelIll21rocsparse_complex_numIfES1_IdES3_S3_EEvbT_PT0_S6_jNS_24const_host_device_scalarIT4_EEPKS4_PKS5_PKT1_PKT2_S9_PT3_21rocsparse_index_base_b ; -- Begin function _ZN9rocsparseL28csrmvn_lrb_short_rows_kernelIll21rocsparse_complex_numIfES1_IdES3_S3_EEvbT_PT0_S6_jNS_24const_host_device_scalarIT4_EEPKS4_PKS5_PKT1_PKT2_S9_PT3_21rocsparse_index_base_b
	.p2align	8
	.type	_ZN9rocsparseL28csrmvn_lrb_short_rows_kernelIll21rocsparse_complex_numIfES1_IdES3_S3_EEvbT_PT0_S6_jNS_24const_host_device_scalarIT4_EEPKS4_PKS5_PKT1_PKT2_S9_PT3_21rocsparse_index_base_b,@function
_ZN9rocsparseL28csrmvn_lrb_short_rows_kernelIll21rocsparse_complex_numIfES1_IdES3_S3_EEvbT_PT0_S6_jNS_24const_host_device_scalarIT4_EEPKS4_PKS5_PKT1_PKT2_S9_PT3_21rocsparse_index_base_b: ; @_ZN9rocsparseL28csrmvn_lrb_short_rows_kernelIll21rocsparse_complex_numIfES1_IdES3_S3_EEvbT_PT0_S6_jNS_24const_host_device_scalarIT4_EEPKS4_PKS5_PKT1_PKT2_S9_PT3_21rocsparse_index_base_b
; %bb.0:
	s_clause 0x2
	s_load_b64 s[12:13], s[0:1], 0x70
	s_load_b128 s[8:11], s[0:1], 0x28
	s_load_b128 s[4:7], s[0:1], 0x58
	s_mov_b64 s[2:3], src_private_base
	v_mov_b32_e32 v1, 0
	s_waitcnt lgkmcnt(0)
	s_bitcmp1_b32 s13, 0
	v_dual_mov_b32 v3, s8 :: v_dual_mov_b32 v6, s5
	s_cselect_b32 s2, -1, 0
	v_mov_b32_e32 v4, s9
	s_and_b32 vcc_lo, s2, exec_lo
	s_cselect_b32 s13, s3, s9
	v_cndmask_b32_e64 v1, s8, v1, s2
	v_dual_mov_b32 v5, s4 :: v_dual_mov_b32 v2, s13
	s_clause 0x1
	scratch_store_b64 off, v[3:4], off
	scratch_store_b64 off, v[5:6], off offset:8
	v_dual_mov_b32 v12, s11 :: v_dual_mov_b32 v11, s10
	flat_load_b64 v[9:10], v[1:2]
	s_xor_b32 s10, s2, -1
	s_cbranch_vccnz .LBB218_2
; %bb.1:
	v_dual_mov_b32 v1, s8 :: v_dual_mov_b32 v2, s9
	flat_load_b64 v[11:12], v[1:2] offset:8
.LBB218_2:
	s_and_b32 s8, s2, exec_lo
	s_cselect_b32 s3, s3, s5
	s_delay_alu instid0(SALU_CYCLE_1) | instskip(SKIP_2) | instid1(VALU_DEP_2)
	v_dual_mov_b32 v1, 8 :: v_dual_mov_b32 v2, s3
	v_dual_mov_b32 v8, s7 :: v_dual_mov_b32 v7, s6
	s_and_not1_b32 vcc_lo, exec_lo, s10
	v_cndmask_b32_e64 v1, s4, v1, s2
	flat_load_b64 v[5:6], v[1:2]
	s_cbranch_vccnz .LBB218_4
; %bb.3:
	v_dual_mov_b32 v1, s4 :: v_dual_mov_b32 v2, s5
	flat_load_b64 v[7:8], v[1:2] offset:8
.LBB218_4:
	s_waitcnt vmcnt(1) lgkmcnt(1)
	v_cmp_eq_f64_e32 vcc_lo, 0, v[9:10]
	v_cmp_eq_f64_e64 s2, 0, v[11:12]
	s_delay_alu instid0(VALU_DEP_1)
	s_and_b32 s4, vcc_lo, s2
	s_mov_b32 s2, -1
	s_and_saveexec_b32 s3, s4
	s_cbranch_execz .LBB218_6
; %bb.5:
	s_waitcnt vmcnt(0) lgkmcnt(0)
	v_cmp_neq_f64_e32 vcc_lo, 1.0, v[5:6]
	v_cmp_neq_f64_e64 s2, 0, v[7:8]
	s_delay_alu instid0(VALU_DEP_1) | instskip(NEXT) | instid1(SALU_CYCLE_1)
	s_or_b32 s2, vcc_lo, s2
	s_or_not1_b32 s2, s2, exec_lo
.LBB218_6:
	s_or_b32 exec_lo, exec_lo, s3
	s_and_saveexec_b32 s3, s2
	s_cbranch_execz .LBB218_20
; %bb.7:
	s_clause 0x1
	s_load_b32 s2, s[0:1], 0x20
	s_load_b128 s[16:19], s[0:1], 0x10
	s_mov_b32 s3, 0
	s_delay_alu instid0(SALU_CYCLE_1) | instskip(SKIP_2) | instid1(SALU_CYCLE_1)
	s_mov_b32 s7, s3
	s_waitcnt lgkmcnt(0)
	s_lshl_b64 s[4:5], s[2:3], 3
	s_add_u32 s4, s18, s4
	s_addc_u32 s5, s19, s5
	s_add_i32 s6, s2, 1
	s_delay_alu instid0(SALU_CYCLE_1) | instskip(NEXT) | instid1(SALU_CYCLE_1)
	s_lshl_b64 s[6:7], s[6:7], 3
	s_add_u32 s6, s18, s6
	s_addc_u32 s7, s19, s7
	s_clause 0x1
	s_load_b64 s[18:19], s[4:5], 0x0
	s_load_b32 s4, s[6:7], 0x0
	s_lshl_b32 s14, s15, 8
	s_delay_alu instid0(SALU_CYCLE_1) | instskip(SKIP_2) | instid1(SALU_CYCLE_1)
	s_add_i32 s5, s14, 0x100
	s_waitcnt lgkmcnt(0)
	s_sub_i32 s4, s4, s18
	s_min_u32 s13, s4, s5
	s_cmp_gt_u32 s2, 23
	s_cbranch_scc1 .LBB218_14
; %bb.8:
	s_clause 0x1
	s_load_b32 s20, s[0:1], 0x0
	s_load_b256 s[4:11], s[0:1], 0x38
	v_mov_b32_e32 v14, 0
	s_lshl_b32 s15, 0x100, s2
	v_bfe_u32 v15, v0, 0, s2
	v_lshl_add_u32 v19, v0, 4, 0
	s_delay_alu instid0(VALU_DEP_3) | instskip(SKIP_4) | instid1(SALU_CYCLE_1)
	v_mov_b32_e32 v16, v14
	s_waitcnt lgkmcnt(0)
	s_bitcmp1_b32 s20, 0
	s_cselect_b32 s20, -1, 0
	s_lshl_b64 s[22:23], s[18:19], 3
	s_add_u32 s21, s16, s22
	s_addc_u32 s22, s17, s23
	s_branch .LBB218_11
.LBB218_9:                              ;   in Loop: Header=BB218_11 Depth=1
	s_or_b32 exec_lo, exec_lo, s24
	ds_store_2addr_b64 v19, v[3:4], v[17:18] offset1:1
.LBB218_10:                             ;   in Loop: Header=BB218_11 Depth=1
	s_or_b32 exec_lo, exec_lo, s23
	v_add_nc_u32_e32 v19, 0x1000, v19
	s_addk_i32 s3, 0x100
	s_delay_alu instid0(SALU_CYCLE_1)
	s_cmp_ge_u32 s3, s15
	s_cbranch_scc1 .LBB218_14
.LBB218_11:                             ; =>This Inner Loop Header: Depth=1
	v_add_nc_u32_e32 v1, s3, v0
	s_mov_b32 s23, exec_lo
	s_delay_alu instid0(VALU_DEP_1) | instskip(NEXT) | instid1(VALU_DEP_1)
	v_lshrrev_b32_e32 v1, s2, v1
	v_add_nc_u32_e32 v13, s14, v1
	s_delay_alu instid0(VALU_DEP_1)
	v_cmpx_gt_u32_e64 s13, v13
	s_cbranch_execz .LBB218_10
; %bb.12:                               ;   in Loop: Header=BB218_11 Depth=1
	v_lshlrev_b64 v[1:2], 3, v[13:14]
	s_delay_alu instid0(VALU_DEP_1) | instskip(NEXT) | instid1(VALU_DEP_2)
	v_add_co_u32 v1, vcc_lo, s21, v1
	v_add_co_ci_u32_e32 v2, vcc_lo, s22, v2, vcc_lo
	global_load_b64 v[1:2], v[1:2], off
	s_waitcnt vmcnt(0)
	v_lshlrev_b64 v[1:2], 3, v[1:2]
	s_delay_alu instid0(VALU_DEP_1) | instskip(NEXT) | instid1(VALU_DEP_2)
	v_add_co_u32 v1, vcc_lo, s4, v1
	v_add_co_ci_u32_e32 v2, vcc_lo, s5, v2, vcc_lo
	global_load_b128 v[1:4], v[1:2], off
	s_waitcnt vmcnt(0)
	v_sub_co_u32 v17, vcc_lo, v3, v1
	v_sub_co_ci_u32_e32 v18, vcc_lo, v4, v2, vcc_lo
	v_mov_b32_e32 v3, 0
	v_mov_b32_e32 v4, 0
	s_delay_alu instid0(VALU_DEP_3) | instskip(NEXT) | instid1(VALU_DEP_2)
	v_cmp_gt_i64_e32 vcc_lo, v[17:18], v[15:16]
	v_dual_mov_b32 v18, v4 :: v_dual_mov_b32 v17, v3
	s_and_saveexec_b32 s24, vcc_lo
	s_cbranch_execz .LBB218_9
; %bb.13:                               ;   in Loop: Header=BB218_11 Depth=1
	v_sub_co_u32 v1, vcc_lo, v1, s12
	v_subrev_co_ci_u32_e32 v2, vcc_lo, 0, v2, vcc_lo
	s_delay_alu instid0(VALU_DEP_2) | instskip(NEXT) | instid1(VALU_DEP_2)
	v_add_co_u32 v1, vcc_lo, v1, v15
	v_add_co_ci_u32_e32 v2, vcc_lo, 0, v2, vcc_lo
	s_delay_alu instid0(VALU_DEP_1) | instskip(NEXT) | instid1(VALU_DEP_1)
	v_lshlrev_b64 v[1:2], 3, v[1:2]
	v_add_co_u32 v3, vcc_lo, s6, v1
	s_delay_alu instid0(VALU_DEP_2)
	v_add_co_ci_u32_e32 v4, vcc_lo, s7, v2, vcc_lo
	v_add_co_u32 v1, vcc_lo, s8, v1
	v_add_co_ci_u32_e32 v2, vcc_lo, s9, v2, vcc_lo
	global_load_b64 v[3:4], v[3:4], off
	global_load_b64 v[17:18], v[1:2], off
	s_waitcnt vmcnt(1)
	v_sub_co_u32 v1, vcc_lo, v3, s12
	v_subrev_co_ci_u32_e32 v2, vcc_lo, 0, v4, vcc_lo
	s_waitcnt vmcnt(0)
	v_cndmask_b32_e64 v13, v18, -v18, s20
	v_cvt_f64_f32_e32 v[17:18], v17
	s_delay_alu instid0(VALU_DEP_3) | instskip(NEXT) | instid1(VALU_DEP_3)
	v_lshlrev_b64 v[1:2], 4, v[1:2]
	v_cvt_f64_f32_e32 v[20:21], v13
	s_delay_alu instid0(VALU_DEP_2) | instskip(NEXT) | instid1(VALU_DEP_3)
	v_add_co_u32 v1, vcc_lo, s10, v1
	v_add_co_ci_u32_e32 v2, vcc_lo, s11, v2, vcc_lo
	global_load_b128 v[1:4], v[1:2], off
	v_mul_f64 v[22:23], v[9:10], v[20:21]
	v_mul_f64 v[20:21], -v[11:12], v[20:21]
	s_delay_alu instid0(VALU_DEP_2) | instskip(NEXT) | instid1(VALU_DEP_2)
	v_fma_f64 v[22:23], v[11:12], v[17:18], v[22:23]
	v_fma_f64 v[17:18], v[9:10], v[17:18], v[20:21]
	s_waitcnt vmcnt(0)
	s_delay_alu instid0(VALU_DEP_2) | instskip(NEXT) | instid1(VALU_DEP_2)
	v_mul_f64 v[20:21], v[3:4], -v[22:23]
	v_mul_f64 v[24:25], v[3:4], v[17:18]
	s_delay_alu instid0(VALU_DEP_2) | instskip(NEXT) | instid1(VALU_DEP_2)
	v_fma_f64 v[3:4], v[17:18], v[1:2], v[20:21]
	v_fma_f64 v[17:18], v[22:23], v[1:2], v[24:25]
	s_branch .LBB218_9
.LBB218_14:
	s_sub_i32 s3, s13, s14
	s_waitcnt vmcnt(0) lgkmcnt(0)
	s_waitcnt_vscnt null, 0x0
	v_cmp_gt_u32_e32 vcc_lo, s3, v0
	s_barrier
	buffer_gl0_inv
	s_and_b32 exec_lo, exec_lo, vcc_lo
	s_cbranch_execz .LBB218_20
; %bb.15:
	s_lshl_b64 s[4:5], s[18:19], 3
	s_mov_b32 s15, 0
	s_add_u32 s3, s16, s4
	s_addc_u32 s6, s17, s5
	s_lshl_b64 s[4:5], s[14:15], 3
	v_dual_mov_b32 v2, 0 :: v_dual_lshlrev_b32 v1, 3, v0
	s_add_u32 s4, s3, s4
	s_addc_u32 s5, s6, s5
	v_dual_mov_b32 v3, 0 :: v_dual_lshlrev_b32 v0, s2, v0
	global_load_b64 v[9:10], v1, s[4:5]
	s_load_b64 s[4:5], s[0:1], 0x68
	s_mov_b32 s0, 1
	v_lshl_add_u32 v4, v0, 4, 0
	v_dual_mov_b32 v0, v2 :: v_dual_mov_b32 v1, v3
.LBB218_16:                             ; =>This Inner Loop Header: Depth=1
	ds_load_2addr_b64 v[11:14], v4 offset1:1
	v_add_nc_u32_e32 v4, 16, v4
	s_lshr_b32 s1, s0, s2
	s_add_i32 s0, s0, 1
	s_cmp_lg_u32 s1, 0
	s_waitcnt lgkmcnt(0)
	v_add_f64 v[0:1], v[0:1], v[11:12]
	v_add_f64 v[2:3], v[2:3], v[13:14]
	s_cbranch_scc0 .LBB218_16
; %bb.17:
	v_cmp_neq_f64_e32 vcc_lo, 0, v[5:6]
	v_cmp_neq_f64_e64 s0, 0, v[7:8]
	s_waitcnt vmcnt(0)
	v_lshlrev_b64 v[9:10], 4, v[9:10]
	s_delay_alu instid0(VALU_DEP_2) | instskip(NEXT) | instid1(SALU_CYCLE_1)
	s_or_b32 s1, vcc_lo, s0
	s_and_saveexec_b32 s0, s1
	s_cbranch_execz .LBB218_19
; %bb.18:
	s_delay_alu instid0(VALU_DEP_1) | instskip(NEXT) | instid1(VALU_DEP_2)
	v_add_co_u32 v11, vcc_lo, s4, v9
	v_add_co_ci_u32_e32 v12, vcc_lo, s5, v10, vcc_lo
	global_load_b128 v[11:14], v[11:12], off
	s_waitcnt vmcnt(0)
	v_fma_f64 v[0:1], v[5:6], v[11:12], v[0:1]
	v_fma_f64 v[2:3], v[7:8], v[11:12], v[2:3]
	s_delay_alu instid0(VALU_DEP_2) | instskip(NEXT) | instid1(VALU_DEP_2)
	v_fma_f64 v[0:1], -v[7:8], v[13:14], v[0:1]
	v_fma_f64 v[2:3], v[5:6], v[13:14], v[2:3]
.LBB218_19:
	s_or_b32 exec_lo, exec_lo, s0
	s_delay_alu instid0(VALU_DEP_1)
	v_add_co_u32 v4, vcc_lo, s4, v9
	v_add_co_ci_u32_e32 v5, vcc_lo, s5, v10, vcc_lo
	global_store_b128 v[4:5], v[0:3], off
.LBB218_20:
	s_endpgm
	.section	.rodata,"a",@progbits
	.p2align	6, 0x0
	.amdhsa_kernel _ZN9rocsparseL28csrmvn_lrb_short_rows_kernelIll21rocsparse_complex_numIfES1_IdES3_S3_EEvbT_PT0_S6_jNS_24const_host_device_scalarIT4_EEPKS4_PKS5_PKT1_PKT2_S9_PT3_21rocsparse_index_base_b
		.amdhsa_group_segment_fixed_size 0
		.amdhsa_private_segment_fixed_size 24
		.amdhsa_kernarg_size 120
		.amdhsa_user_sgpr_count 15
		.amdhsa_user_sgpr_dispatch_ptr 0
		.amdhsa_user_sgpr_queue_ptr 0
		.amdhsa_user_sgpr_kernarg_segment_ptr 1
		.amdhsa_user_sgpr_dispatch_id 0
		.amdhsa_user_sgpr_private_segment_size 0
		.amdhsa_wavefront_size32 1
		.amdhsa_uses_dynamic_stack 0
		.amdhsa_enable_private_segment 1
		.amdhsa_system_sgpr_workgroup_id_x 1
		.amdhsa_system_sgpr_workgroup_id_y 0
		.amdhsa_system_sgpr_workgroup_id_z 0
		.amdhsa_system_sgpr_workgroup_info 0
		.amdhsa_system_vgpr_workitem_id 0
		.amdhsa_next_free_vgpr 26
		.amdhsa_next_free_sgpr 25
		.amdhsa_reserve_vcc 1
		.amdhsa_float_round_mode_32 0
		.amdhsa_float_round_mode_16_64 0
		.amdhsa_float_denorm_mode_32 3
		.amdhsa_float_denorm_mode_16_64 3
		.amdhsa_dx10_clamp 1
		.amdhsa_ieee_mode 1
		.amdhsa_fp16_overflow 0
		.amdhsa_workgroup_processor_mode 1
		.amdhsa_memory_ordered 1
		.amdhsa_forward_progress 0
		.amdhsa_shared_vgpr_count 0
		.amdhsa_exception_fp_ieee_invalid_op 0
		.amdhsa_exception_fp_denorm_src 0
		.amdhsa_exception_fp_ieee_div_zero 0
		.amdhsa_exception_fp_ieee_overflow 0
		.amdhsa_exception_fp_ieee_underflow 0
		.amdhsa_exception_fp_ieee_inexact 0
		.amdhsa_exception_int_div_zero 0
	.end_amdhsa_kernel
	.section	.text._ZN9rocsparseL28csrmvn_lrb_short_rows_kernelIll21rocsparse_complex_numIfES1_IdES3_S3_EEvbT_PT0_S6_jNS_24const_host_device_scalarIT4_EEPKS4_PKS5_PKT1_PKT2_S9_PT3_21rocsparse_index_base_b,"axG",@progbits,_ZN9rocsparseL28csrmvn_lrb_short_rows_kernelIll21rocsparse_complex_numIfES1_IdES3_S3_EEvbT_PT0_S6_jNS_24const_host_device_scalarIT4_EEPKS4_PKS5_PKT1_PKT2_S9_PT3_21rocsparse_index_base_b,comdat
.Lfunc_end218:
	.size	_ZN9rocsparseL28csrmvn_lrb_short_rows_kernelIll21rocsparse_complex_numIfES1_IdES3_S3_EEvbT_PT0_S6_jNS_24const_host_device_scalarIT4_EEPKS4_PKS5_PKT1_PKT2_S9_PT3_21rocsparse_index_base_b, .Lfunc_end218-_ZN9rocsparseL28csrmvn_lrb_short_rows_kernelIll21rocsparse_complex_numIfES1_IdES3_S3_EEvbT_PT0_S6_jNS_24const_host_device_scalarIT4_EEPKS4_PKS5_PKT1_PKT2_S9_PT3_21rocsparse_index_base_b
                                        ; -- End function
	.section	.AMDGPU.csdata,"",@progbits
; Kernel info:
; codeLenInByte = 1228
; NumSgprs: 27
; NumVgprs: 26
; ScratchSize: 24
; MemoryBound: 0
; FloatMode: 240
; IeeeMode: 1
; LDSByteSize: 0 bytes/workgroup (compile time only)
; SGPRBlocks: 3
; VGPRBlocks: 3
; NumSGPRsForWavesPerEU: 27
; NumVGPRsForWavesPerEU: 26
; Occupancy: 16
; WaveLimiterHint : 1
; COMPUTE_PGM_RSRC2:SCRATCH_EN: 1
; COMPUTE_PGM_RSRC2:USER_SGPR: 15
; COMPUTE_PGM_RSRC2:TRAP_HANDLER: 0
; COMPUTE_PGM_RSRC2:TGID_X_EN: 1
; COMPUTE_PGM_RSRC2:TGID_Y_EN: 0
; COMPUTE_PGM_RSRC2:TGID_Z_EN: 0
; COMPUTE_PGM_RSRC2:TIDIG_COMP_CNT: 0
	.section	.text._ZN9rocsparseL30csrmvn_lrb_short_rows_2_kernelIll21rocsparse_complex_numIfES1_IdES3_S3_EEvbT_PT0_S6_jNS_24const_host_device_scalarIT4_EEPKS4_PKS5_PKT1_PKT2_S9_PT3_21rocsparse_index_base_b,"axG",@progbits,_ZN9rocsparseL30csrmvn_lrb_short_rows_2_kernelIll21rocsparse_complex_numIfES1_IdES3_S3_EEvbT_PT0_S6_jNS_24const_host_device_scalarIT4_EEPKS4_PKS5_PKT1_PKT2_S9_PT3_21rocsparse_index_base_b,comdat
	.globl	_ZN9rocsparseL30csrmvn_lrb_short_rows_2_kernelIll21rocsparse_complex_numIfES1_IdES3_S3_EEvbT_PT0_S6_jNS_24const_host_device_scalarIT4_EEPKS4_PKS5_PKT1_PKT2_S9_PT3_21rocsparse_index_base_b ; -- Begin function _ZN9rocsparseL30csrmvn_lrb_short_rows_2_kernelIll21rocsparse_complex_numIfES1_IdES3_S3_EEvbT_PT0_S6_jNS_24const_host_device_scalarIT4_EEPKS4_PKS5_PKT1_PKT2_S9_PT3_21rocsparse_index_base_b
	.p2align	8
	.type	_ZN9rocsparseL30csrmvn_lrb_short_rows_2_kernelIll21rocsparse_complex_numIfES1_IdES3_S3_EEvbT_PT0_S6_jNS_24const_host_device_scalarIT4_EEPKS4_PKS5_PKT1_PKT2_S9_PT3_21rocsparse_index_base_b,@function
_ZN9rocsparseL30csrmvn_lrb_short_rows_2_kernelIll21rocsparse_complex_numIfES1_IdES3_S3_EEvbT_PT0_S6_jNS_24const_host_device_scalarIT4_EEPKS4_PKS5_PKT1_PKT2_S9_PT3_21rocsparse_index_base_b: ; @_ZN9rocsparseL30csrmvn_lrb_short_rows_2_kernelIll21rocsparse_complex_numIfES1_IdES3_S3_EEvbT_PT0_S6_jNS_24const_host_device_scalarIT4_EEPKS4_PKS5_PKT1_PKT2_S9_PT3_21rocsparse_index_base_b
; %bb.0:
	s_clause 0x2
	s_load_b64 s[16:17], s[0:1], 0x70
	s_load_b128 s[8:11], s[0:1], 0x28
	s_load_b128 s[4:7], s[0:1], 0x58
	s_mov_b64 s[2:3], src_private_base
	v_mov_b32_e32 v1, 0
	s_waitcnt lgkmcnt(0)
	s_bitcmp1_b32 s17, 0
	v_dual_mov_b32 v3, s8 :: v_dual_mov_b32 v6, s5
	s_cselect_b32 s2, -1, 0
	v_mov_b32_e32 v4, s9
	s_and_b32 vcc_lo, s2, exec_lo
	s_cselect_b32 s12, s3, s9
	v_cndmask_b32_e64 v1, s8, v1, s2
	v_dual_mov_b32 v5, s4 :: v_dual_mov_b32 v2, s12
	s_clause 0x1
	scratch_store_b64 off, v[3:4], off
	scratch_store_b64 off, v[5:6], off offset:8
	v_dual_mov_b32 v16, s11 :: v_dual_mov_b32 v15, s10
	flat_load_b64 v[13:14], v[1:2]
	s_xor_b32 s10, s2, -1
	s_cbranch_vccnz .LBB219_2
; %bb.1:
	v_dual_mov_b32 v1, s8 :: v_dual_mov_b32 v2, s9
	flat_load_b64 v[15:16], v[1:2] offset:8
.LBB219_2:
	s_and_b32 s8, s2, exec_lo
	s_cselect_b32 s3, s3, s5
	s_delay_alu instid0(SALU_CYCLE_1) | instskip(SKIP_2) | instid1(VALU_DEP_2)
	v_dual_mov_b32 v1, 8 :: v_dual_mov_b32 v2, s3
	v_dual_mov_b32 v12, s7 :: v_dual_mov_b32 v11, s6
	s_and_not1_b32 vcc_lo, exec_lo, s10
	v_cndmask_b32_e64 v1, s4, v1, s2
	flat_load_b64 v[9:10], v[1:2]
	s_cbranch_vccnz .LBB219_4
; %bb.3:
	v_dual_mov_b32 v1, s4 :: v_dual_mov_b32 v2, s5
	flat_load_b64 v[11:12], v[1:2] offset:8
.LBB219_4:
	s_waitcnt vmcnt(1) lgkmcnt(1)
	v_cmp_eq_f64_e32 vcc_lo, 0, v[13:14]
	v_cmp_eq_f64_e64 s2, 0, v[15:16]
	s_delay_alu instid0(VALU_DEP_1)
	s_and_b32 s4, vcc_lo, s2
	s_mov_b32 s2, -1
	s_and_saveexec_b32 s3, s4
	s_cbranch_execz .LBB219_6
; %bb.5:
	s_waitcnt vmcnt(0) lgkmcnt(0)
	v_cmp_neq_f64_e32 vcc_lo, 1.0, v[9:10]
	v_cmp_neq_f64_e64 s2, 0, v[11:12]
	s_delay_alu instid0(VALU_DEP_1) | instskip(NEXT) | instid1(SALU_CYCLE_1)
	s_or_b32 s2, vcc_lo, s2
	s_or_not1_b32 s2, s2, exec_lo
.LBB219_6:
	s_or_b32 exec_lo, exec_lo, s3
	s_and_saveexec_b32 s3, s2
	s_cbranch_execz .LBB219_32
; %bb.7:
	s_clause 0x2
	s_load_b32 s12, s[0:1], 0x20
	s_load_b32 s2, s[0:1], 0x0
	s_load_b128 s[8:11], s[0:1], 0x10
	s_mov_b32 s13, 0
	v_mov_b32_e32 v18, 0
	s_mov_b32 s5, s13
	s_waitcnt lgkmcnt(0)
	v_lshrrev_b32_e32 v1, s12, v0
	s_bitcmp1_b32 s2, 0
	v_bfe_u32 v17, v0, 0, s12
	s_cselect_b32 s18, -1, 0
	s_lshl_b64 s[2:3], s[12:13], 3
	s_delay_alu instid0(SALU_CYCLE_1) | instskip(SKIP_2) | instid1(SALU_CYCLE_1)
	s_add_u32 s2, s10, s2
	s_addc_u32 s3, s11, s3
	s_add_i32 s4, s12, 1
	s_lshl_b64 s[4:5], s[4:5], 3
	s_delay_alu instid0(SALU_CYCLE_1)
	s_add_u32 s4, s10, s4
	s_addc_u32 s5, s11, s5
	s_clause 0x1
	s_load_b64 s[20:21], s[2:3], 0x0
	s_load_b32 s17, s[4:5], 0x0
	s_clause 0x1
	s_load_b64 s[10:11], s[0:1], 0x68
	s_load_b256 s[0:7], s[0:1], 0x38
	s_lshr_b32 s13, 0x400, s12
	s_delay_alu instid0(SALU_CYCLE_1) | instskip(NEXT) | instid1(SALU_CYCLE_1)
	s_mul_i32 s14, s13, s15
	s_add_i32 s15, s14, s13
	v_add_nc_u32_e32 v1, s14, v1
	s_waitcnt lgkmcnt(0)
	s_sub_i32 s17, s17, s20
	s_lshl_b64 s[20:21], s[20:21], 3
	s_min_u32 s17, s17, s15
	s_add_u32 s8, s8, s20
	s_addc_u32 s9, s9, s21
	s_mov_b32 s15, exec_lo
	v_cmpx_gt_u32_e64 s17, v1
	s_cbranch_execz .LBB219_11
; %bb.8:
	v_mov_b32_e32 v2, v18
	s_delay_alu instid0(VALU_DEP_1) | instskip(NEXT) | instid1(VALU_DEP_1)
	v_lshlrev_b64 v[1:2], 3, v[1:2]
	v_add_co_u32 v1, vcc_lo, s8, v1
	s_delay_alu instid0(VALU_DEP_2) | instskip(SKIP_3) | instid1(VALU_DEP_1)
	v_add_co_ci_u32_e32 v2, vcc_lo, s9, v2, vcc_lo
	global_load_b64 v[1:2], v[1:2], off
	s_waitcnt vmcnt(0)
	v_lshlrev_b64 v[1:2], 3, v[1:2]
	v_add_co_u32 v1, vcc_lo, s0, v1
	s_delay_alu instid0(VALU_DEP_2)
	v_add_co_ci_u32_e32 v2, vcc_lo, s1, v2, vcc_lo
	global_load_b128 v[5:8], v[1:2], off
	v_mov_b32_e32 v1, 0
	v_mov_b32_e32 v2, 0
	s_waitcnt vmcnt(0)
	v_sub_co_u32 v3, vcc_lo, v7, v5
	v_sub_co_ci_u32_e32 v4, vcc_lo, v8, v6, vcc_lo
	s_delay_alu instid0(VALU_DEP_1)
	v_cmp_gt_i64_e32 vcc_lo, v[3:4], v[17:18]
	v_dual_mov_b32 v4, v2 :: v_dual_mov_b32 v3, v1
	s_and_saveexec_b32 s19, vcc_lo
	s_cbranch_execz .LBB219_10
; %bb.9:
	v_sub_co_u32 v1, vcc_lo, v5, s16
	v_subrev_co_ci_u32_e32 v2, vcc_lo, 0, v6, vcc_lo
	s_delay_alu instid0(VALU_DEP_2) | instskip(NEXT) | instid1(VALU_DEP_2)
	v_add_co_u32 v1, vcc_lo, v1, v17
	v_add_co_ci_u32_e32 v2, vcc_lo, 0, v2, vcc_lo
	s_delay_alu instid0(VALU_DEP_1) | instskip(NEXT) | instid1(VALU_DEP_1)
	v_lshlrev_b64 v[1:2], 3, v[1:2]
	v_add_co_u32 v3, vcc_lo, s2, v1
	s_delay_alu instid0(VALU_DEP_2)
	v_add_co_ci_u32_e32 v4, vcc_lo, s3, v2, vcc_lo
	v_add_co_u32 v1, vcc_lo, s4, v1
	v_add_co_ci_u32_e32 v2, vcc_lo, s5, v2, vcc_lo
	global_load_b64 v[3:4], v[3:4], off
	global_load_b64 v[1:2], v[1:2], off
	s_waitcnt vmcnt(1)
	v_sub_co_u32 v3, vcc_lo, v3, s16
	v_subrev_co_ci_u32_e32 v4, vcc_lo, 0, v4, vcc_lo
	s_waitcnt vmcnt(0)
	v_cndmask_b32_e64 v2, v2, -v2, s18
	s_delay_alu instid0(VALU_DEP_2) | instskip(NEXT) | instid1(VALU_DEP_2)
	v_lshlrev_b64 v[3:4], 4, v[3:4]
	v_cvt_f64_f32_e32 v[7:8], v2
	v_cvt_f64_f32_e32 v[1:2], v1
	s_delay_alu instid0(VALU_DEP_3) | instskip(NEXT) | instid1(VALU_DEP_4)
	v_add_co_u32 v3, vcc_lo, s6, v3
	v_add_co_ci_u32_e32 v4, vcc_lo, s7, v4, vcc_lo
	global_load_b128 v[3:6], v[3:4], off
	v_mul_f64 v[19:20], v[13:14], v[7:8]
	v_mul_f64 v[7:8], -v[15:16], v[7:8]
	s_delay_alu instid0(VALU_DEP_2) | instskip(NEXT) | instid1(VALU_DEP_2)
	v_fma_f64 v[19:20], v[15:16], v[1:2], v[19:20]
	v_fma_f64 v[1:2], v[13:14], v[1:2], v[7:8]
	s_waitcnt vmcnt(0)
	s_delay_alu instid0(VALU_DEP_2) | instskip(NEXT) | instid1(VALU_DEP_2)
	v_mul_f64 v[7:8], v[5:6], -v[19:20]
	v_mul_f64 v[5:6], v[5:6], v[1:2]
	s_delay_alu instid0(VALU_DEP_2) | instskip(NEXT) | instid1(VALU_DEP_2)
	v_fma_f64 v[1:2], v[1:2], v[3:4], v[7:8]
	v_fma_f64 v[3:4], v[19:20], v[3:4], v[5:6]
.LBB219_10:
	s_or_b32 exec_lo, exec_lo, s19
	v_lshlrev_b32_e32 v5, 4, v0
	ds_store_b128 v5, v[1:4]
.LBB219_11:
	s_or_b32 exec_lo, exec_lo, s15
	v_or_b32_e32 v1, 0x100, v0
	s_mov_b32 s15, exec_lo
	s_delay_alu instid0(VALU_DEP_1) | instskip(NEXT) | instid1(VALU_DEP_1)
	v_lshrrev_b32_e32 v1, s12, v1
	v_add_nc_u32_e32 v1, s14, v1
	s_delay_alu instid0(VALU_DEP_1)
	v_cmpx_gt_u32_e64 s17, v1
	s_cbranch_execz .LBB219_15
; %bb.12:
	v_mov_b32_e32 v2, 0
	s_delay_alu instid0(VALU_DEP_1) | instskip(NEXT) | instid1(VALU_DEP_1)
	v_lshlrev_b64 v[1:2], 3, v[1:2]
	v_add_co_u32 v1, vcc_lo, s8, v1
	s_delay_alu instid0(VALU_DEP_2) | instskip(SKIP_3) | instid1(VALU_DEP_1)
	v_add_co_ci_u32_e32 v2, vcc_lo, s9, v2, vcc_lo
	global_load_b64 v[1:2], v[1:2], off
	s_waitcnt vmcnt(0)
	v_lshlrev_b64 v[1:2], 3, v[1:2]
	v_add_co_u32 v1, vcc_lo, s0, v1
	s_delay_alu instid0(VALU_DEP_2)
	v_add_co_ci_u32_e32 v2, vcc_lo, s1, v2, vcc_lo
	global_load_b128 v[5:8], v[1:2], off
	v_mov_b32_e32 v1, 0
	v_mov_b32_e32 v2, 0
	s_waitcnt vmcnt(0)
	v_sub_co_u32 v3, vcc_lo, v7, v5
	v_sub_co_ci_u32_e32 v4, vcc_lo, v8, v6, vcc_lo
	s_delay_alu instid0(VALU_DEP_1)
	v_cmp_gt_i64_e32 vcc_lo, v[3:4], v[17:18]
	v_dual_mov_b32 v4, v2 :: v_dual_mov_b32 v3, v1
	s_and_saveexec_b32 s19, vcc_lo
	s_cbranch_execz .LBB219_14
; %bb.13:
	v_sub_co_u32 v1, vcc_lo, v5, s16
	v_subrev_co_ci_u32_e32 v2, vcc_lo, 0, v6, vcc_lo
	s_delay_alu instid0(VALU_DEP_2) | instskip(NEXT) | instid1(VALU_DEP_2)
	v_add_co_u32 v1, vcc_lo, v1, v17
	v_add_co_ci_u32_e32 v2, vcc_lo, 0, v2, vcc_lo
	s_delay_alu instid0(VALU_DEP_1) | instskip(NEXT) | instid1(VALU_DEP_1)
	v_lshlrev_b64 v[1:2], 3, v[1:2]
	v_add_co_u32 v3, vcc_lo, s2, v1
	s_delay_alu instid0(VALU_DEP_2)
	v_add_co_ci_u32_e32 v4, vcc_lo, s3, v2, vcc_lo
	v_add_co_u32 v1, vcc_lo, s4, v1
	v_add_co_ci_u32_e32 v2, vcc_lo, s5, v2, vcc_lo
	global_load_b64 v[3:4], v[3:4], off
	global_load_b64 v[1:2], v[1:2], off
	s_waitcnt vmcnt(1)
	v_sub_co_u32 v3, vcc_lo, v3, s16
	v_subrev_co_ci_u32_e32 v4, vcc_lo, 0, v4, vcc_lo
	s_waitcnt vmcnt(0)
	v_cndmask_b32_e64 v2, v2, -v2, s18
	s_delay_alu instid0(VALU_DEP_2) | instskip(NEXT) | instid1(VALU_DEP_2)
	v_lshlrev_b64 v[3:4], 4, v[3:4]
	v_cvt_f64_f32_e32 v[7:8], v2
	v_cvt_f64_f32_e32 v[1:2], v1
	s_delay_alu instid0(VALU_DEP_3) | instskip(NEXT) | instid1(VALU_DEP_4)
	v_add_co_u32 v3, vcc_lo, s6, v3
	v_add_co_ci_u32_e32 v4, vcc_lo, s7, v4, vcc_lo
	global_load_b128 v[3:6], v[3:4], off
	v_mul_f64 v[19:20], v[13:14], v[7:8]
	v_mul_f64 v[7:8], -v[15:16], v[7:8]
	s_delay_alu instid0(VALU_DEP_2) | instskip(NEXT) | instid1(VALU_DEP_2)
	v_fma_f64 v[19:20], v[15:16], v[1:2], v[19:20]
	v_fma_f64 v[1:2], v[13:14], v[1:2], v[7:8]
	s_waitcnt vmcnt(0)
	s_delay_alu instid0(VALU_DEP_2) | instskip(NEXT) | instid1(VALU_DEP_2)
	v_mul_f64 v[7:8], v[5:6], -v[19:20]
	v_mul_f64 v[5:6], v[5:6], v[1:2]
	s_delay_alu instid0(VALU_DEP_2) | instskip(NEXT) | instid1(VALU_DEP_2)
	v_fma_f64 v[1:2], v[1:2], v[3:4], v[7:8]
	v_fma_f64 v[3:4], v[19:20], v[3:4], v[5:6]
.LBB219_14:
	s_or_b32 exec_lo, exec_lo, s19
	v_lshlrev_b32_e32 v5, 4, v0
	ds_store_b128 v5, v[1:4] offset:4096
.LBB219_15:
	s_or_b32 exec_lo, exec_lo, s15
	v_or_b32_e32 v1, 0x200, v0
	s_mov_b32 s15, exec_lo
	s_delay_alu instid0(VALU_DEP_1) | instskip(NEXT) | instid1(VALU_DEP_1)
	v_lshrrev_b32_e32 v1, s12, v1
	v_add_nc_u32_e32 v1, s14, v1
	s_delay_alu instid0(VALU_DEP_1)
	v_cmpx_gt_u32_e64 s17, v1
	s_cbranch_execz .LBB219_19
; %bb.16:
	v_mov_b32_e32 v2, 0
	s_delay_alu instid0(VALU_DEP_1) | instskip(NEXT) | instid1(VALU_DEP_1)
	v_lshlrev_b64 v[1:2], 3, v[1:2]
	v_add_co_u32 v1, vcc_lo, s8, v1
	s_delay_alu instid0(VALU_DEP_2) | instskip(SKIP_3) | instid1(VALU_DEP_1)
	v_add_co_ci_u32_e32 v2, vcc_lo, s9, v2, vcc_lo
	global_load_b64 v[1:2], v[1:2], off
	s_waitcnt vmcnt(0)
	v_lshlrev_b64 v[1:2], 3, v[1:2]
	v_add_co_u32 v1, vcc_lo, s0, v1
	s_delay_alu instid0(VALU_DEP_2)
	v_add_co_ci_u32_e32 v2, vcc_lo, s1, v2, vcc_lo
	global_load_b128 v[5:8], v[1:2], off
	v_mov_b32_e32 v1, 0
	v_mov_b32_e32 v2, 0
	s_waitcnt vmcnt(0)
	v_sub_co_u32 v3, vcc_lo, v7, v5
	v_sub_co_ci_u32_e32 v4, vcc_lo, v8, v6, vcc_lo
	s_delay_alu instid0(VALU_DEP_1)
	v_cmp_gt_i64_e32 vcc_lo, v[3:4], v[17:18]
	v_dual_mov_b32 v4, v2 :: v_dual_mov_b32 v3, v1
	s_and_saveexec_b32 s19, vcc_lo
	s_cbranch_execz .LBB219_18
; %bb.17:
	v_sub_co_u32 v1, vcc_lo, v5, s16
	v_subrev_co_ci_u32_e32 v2, vcc_lo, 0, v6, vcc_lo
	s_delay_alu instid0(VALU_DEP_2) | instskip(NEXT) | instid1(VALU_DEP_2)
	v_add_co_u32 v1, vcc_lo, v1, v17
	v_add_co_ci_u32_e32 v2, vcc_lo, 0, v2, vcc_lo
	s_delay_alu instid0(VALU_DEP_1) | instskip(NEXT) | instid1(VALU_DEP_1)
	v_lshlrev_b64 v[1:2], 3, v[1:2]
	v_add_co_u32 v3, vcc_lo, s2, v1
	s_delay_alu instid0(VALU_DEP_2)
	v_add_co_ci_u32_e32 v4, vcc_lo, s3, v2, vcc_lo
	v_add_co_u32 v1, vcc_lo, s4, v1
	v_add_co_ci_u32_e32 v2, vcc_lo, s5, v2, vcc_lo
	global_load_b64 v[3:4], v[3:4], off
	global_load_b64 v[1:2], v[1:2], off
	s_waitcnt vmcnt(1)
	v_sub_co_u32 v3, vcc_lo, v3, s16
	v_subrev_co_ci_u32_e32 v4, vcc_lo, 0, v4, vcc_lo
	s_waitcnt vmcnt(0)
	v_cndmask_b32_e64 v2, v2, -v2, s18
	s_delay_alu instid0(VALU_DEP_2) | instskip(NEXT) | instid1(VALU_DEP_2)
	v_lshlrev_b64 v[3:4], 4, v[3:4]
	v_cvt_f64_f32_e32 v[7:8], v2
	v_cvt_f64_f32_e32 v[1:2], v1
	s_delay_alu instid0(VALU_DEP_3) | instskip(NEXT) | instid1(VALU_DEP_4)
	v_add_co_u32 v3, vcc_lo, s6, v3
	v_add_co_ci_u32_e32 v4, vcc_lo, s7, v4, vcc_lo
	global_load_b128 v[3:6], v[3:4], off
	v_mul_f64 v[19:20], v[13:14], v[7:8]
	v_mul_f64 v[7:8], -v[15:16], v[7:8]
	s_delay_alu instid0(VALU_DEP_2) | instskip(NEXT) | instid1(VALU_DEP_2)
	v_fma_f64 v[19:20], v[15:16], v[1:2], v[19:20]
	v_fma_f64 v[1:2], v[13:14], v[1:2], v[7:8]
	s_waitcnt vmcnt(0)
	s_delay_alu instid0(VALU_DEP_2) | instskip(NEXT) | instid1(VALU_DEP_2)
	v_mul_f64 v[7:8], v[5:6], -v[19:20]
	v_mul_f64 v[5:6], v[5:6], v[1:2]
	s_delay_alu instid0(VALU_DEP_2) | instskip(NEXT) | instid1(VALU_DEP_2)
	v_fma_f64 v[1:2], v[1:2], v[3:4], v[7:8]
	v_fma_f64 v[3:4], v[19:20], v[3:4], v[5:6]
.LBB219_18:
	s_or_b32 exec_lo, exec_lo, s19
	v_lshlrev_b32_e32 v5, 4, v0
	ds_store_b128 v5, v[1:4] offset:8192
.LBB219_19:
	s_or_b32 exec_lo, exec_lo, s15
	v_or_b32_e32 v1, 0x300, v0
	s_mov_b32 s15, exec_lo
	s_delay_alu instid0(VALU_DEP_1) | instskip(NEXT) | instid1(VALU_DEP_1)
	v_lshrrev_b32_e32 v1, s12, v1
	v_add_nc_u32_e32 v1, s14, v1
	s_delay_alu instid0(VALU_DEP_1)
	v_cmpx_gt_u32_e64 s17, v1
	s_cbranch_execz .LBB219_23
; %bb.20:
	v_mov_b32_e32 v2, 0
	s_delay_alu instid0(VALU_DEP_1) | instskip(NEXT) | instid1(VALU_DEP_1)
	v_lshlrev_b64 v[1:2], 3, v[1:2]
	v_add_co_u32 v1, vcc_lo, s8, v1
	s_delay_alu instid0(VALU_DEP_2) | instskip(SKIP_3) | instid1(VALU_DEP_1)
	v_add_co_ci_u32_e32 v2, vcc_lo, s9, v2, vcc_lo
	global_load_b64 v[1:2], v[1:2], off
	s_waitcnt vmcnt(0)
	v_lshlrev_b64 v[1:2], 3, v[1:2]
	v_add_co_u32 v1, vcc_lo, s0, v1
	s_delay_alu instid0(VALU_DEP_2)
	v_add_co_ci_u32_e32 v2, vcc_lo, s1, v2, vcc_lo
	global_load_b128 v[5:8], v[1:2], off
	v_mov_b32_e32 v1, 0
	v_mov_b32_e32 v2, 0
	s_waitcnt vmcnt(0)
	v_sub_co_u32 v3, vcc_lo, v7, v5
	v_sub_co_ci_u32_e32 v4, vcc_lo, v8, v6, vcc_lo
	s_delay_alu instid0(VALU_DEP_1)
	v_cmp_gt_i64_e32 vcc_lo, v[3:4], v[17:18]
	v_dual_mov_b32 v4, v2 :: v_dual_mov_b32 v3, v1
	s_and_saveexec_b32 s0, vcc_lo
	s_cbranch_execz .LBB219_22
; %bb.21:
	v_sub_co_u32 v1, vcc_lo, v5, s16
	v_subrev_co_ci_u32_e32 v2, vcc_lo, 0, v6, vcc_lo
	s_delay_alu instid0(VALU_DEP_2) | instskip(NEXT) | instid1(VALU_DEP_2)
	v_add_co_u32 v1, vcc_lo, v1, v17
	v_add_co_ci_u32_e32 v2, vcc_lo, 0, v2, vcc_lo
	s_delay_alu instid0(VALU_DEP_1) | instskip(NEXT) | instid1(VALU_DEP_1)
	v_lshlrev_b64 v[1:2], 3, v[1:2]
	v_add_co_u32 v3, vcc_lo, s2, v1
	s_delay_alu instid0(VALU_DEP_2)
	v_add_co_ci_u32_e32 v4, vcc_lo, s3, v2, vcc_lo
	v_add_co_u32 v1, vcc_lo, s4, v1
	v_add_co_ci_u32_e32 v2, vcc_lo, s5, v2, vcc_lo
	global_load_b64 v[3:4], v[3:4], off
	global_load_b64 v[1:2], v[1:2], off
	s_waitcnt vmcnt(1)
	v_sub_co_u32 v3, vcc_lo, v3, s16
	v_subrev_co_ci_u32_e32 v4, vcc_lo, 0, v4, vcc_lo
	s_waitcnt vmcnt(0)
	v_cndmask_b32_e64 v2, v2, -v2, s18
	s_delay_alu instid0(VALU_DEP_2) | instskip(NEXT) | instid1(VALU_DEP_2)
	v_lshlrev_b64 v[3:4], 4, v[3:4]
	v_cvt_f64_f32_e32 v[7:8], v2
	v_cvt_f64_f32_e32 v[1:2], v1
	s_delay_alu instid0(VALU_DEP_3) | instskip(NEXT) | instid1(VALU_DEP_4)
	v_add_co_u32 v3, vcc_lo, s6, v3
	v_add_co_ci_u32_e32 v4, vcc_lo, s7, v4, vcc_lo
	global_load_b128 v[3:6], v[3:4], off
	v_mul_f64 v[17:18], v[13:14], v[7:8]
	v_mul_f64 v[7:8], -v[15:16], v[7:8]
	s_delay_alu instid0(VALU_DEP_2) | instskip(NEXT) | instid1(VALU_DEP_2)
	v_fma_f64 v[15:16], v[15:16], v[1:2], v[17:18]
	v_fma_f64 v[1:2], v[13:14], v[1:2], v[7:8]
	s_waitcnt vmcnt(0)
	s_delay_alu instid0(VALU_DEP_2) | instskip(NEXT) | instid1(VALU_DEP_2)
	v_mul_f64 v[7:8], v[5:6], -v[15:16]
	v_mul_f64 v[5:6], v[5:6], v[1:2]
	s_delay_alu instid0(VALU_DEP_2) | instskip(NEXT) | instid1(VALU_DEP_2)
	v_fma_f64 v[1:2], v[1:2], v[3:4], v[7:8]
	v_fma_f64 v[3:4], v[15:16], v[3:4], v[5:6]
.LBB219_22:
	s_or_b32 exec_lo, exec_lo, s0
	v_lshlrev_b32_e32 v5, 4, v0
	ds_store_b128 v5, v[1:4] offset:12288
.LBB219_23:
	s_or_b32 exec_lo, exec_lo, s15
	s_cmp_lt_u32 s12, 11
	s_waitcnt vmcnt(0) lgkmcnt(0)
	s_waitcnt_vscnt null, 0x0
	s_barrier
	buffer_gl0_inv
	s_cbranch_scc0 .LBB219_32
; %bb.24:
	v_cmp_neq_f64_e32 vcc_lo, 0, v[9:10]
	v_cmp_neq_f64_e64 s0, 0, v[11:12]
	s_mov_b32 s15, 0
	v_mov_b32_e32 v5, 0
	s_lshl_b64 s[2:3], s[14:15], 3
	s_sub_i32 s1, s17, s14
	s_add_u32 s2, s8, s2
	s_addc_u32 s3, s9, s3
	s_delay_alu instid0(VALU_DEP_2)
	s_or_b32 s0, vcc_lo, s0
	s_branch .LBB219_27
.LBB219_25:                             ;   in Loop: Header=BB219_27 Depth=1
	s_or_b32 exec_lo, exec_lo, s5
	s_delay_alu instid0(VALU_DEP_1) | instskip(NEXT) | instid1(VALU_DEP_2)
	v_add_co_u32 v6, vcc_lo, s10, v6
	v_add_co_ci_u32_e32 v7, vcc_lo, s11, v7, vcc_lo
	global_store_b128 v[6:7], v[1:4], off
.LBB219_26:                             ;   in Loop: Header=BB219_27 Depth=1
	s_or_b32 exec_lo, exec_lo, s4
	s_addk_i32 s15, 0x100
	s_delay_alu instid0(SALU_CYCLE_1)
	s_cmp_lt_u32 s15, s13
	s_cbranch_scc0 .LBB219_32
.LBB219_27:                             ; =>This Loop Header: Depth=1
                                        ;     Child Loop BB219_29 Depth 2
	v_add_nc_u32_e32 v4, s15, v0
	s_mov_b32 s4, exec_lo
	s_delay_alu instid0(VALU_DEP_1)
	v_cmpx_gt_u32_e64 s1, v4
	s_cbranch_execz .LBB219_26
; %bb.28:                               ;   in Loop: Header=BB219_27 Depth=1
	v_lshlrev_b64 v[1:2], 3, v[4:5]
	s_mov_b32 s5, 1
	s_delay_alu instid0(VALU_DEP_1) | instskip(NEXT) | instid1(VALU_DEP_2)
	v_add_co_u32 v1, vcc_lo, s2, v1
	v_add_co_ci_u32_e32 v2, vcc_lo, s3, v2, vcc_lo
	global_load_b64 v[6:7], v[1:2], off
	v_lshlrev_b32_e32 v1, s12, v4
	v_mov_b32_e32 v3, 0
	v_mov_b32_e32 v4, 0
	s_delay_alu instid0(VALU_DEP_2) | instskip(NEXT) | instid1(VALU_DEP_2)
	v_dual_mov_b32 v1, v3 :: v_dual_lshlrev_b32 v8, 4, v1
	v_mov_b32_e32 v2, v4
.LBB219_29:                             ;   Parent Loop BB219_27 Depth=1
                                        ; =>  This Inner Loop Header: Depth=2
	ds_load_b128 v[13:16], v8
	v_add_nc_u32_e32 v8, 16, v8
	s_lshr_b32 s6, s5, s12
	s_add_i32 s5, s5, 1
	s_cmp_lg_u32 s6, 0
	s_waitcnt lgkmcnt(0)
	v_add_f64 v[1:2], v[1:2], v[13:14]
	v_add_f64 v[3:4], v[3:4], v[15:16]
	s_cbranch_scc0 .LBB219_29
; %bb.30:                               ;   in Loop: Header=BB219_27 Depth=1
	s_waitcnt vmcnt(0)
	v_lshlrev_b64 v[6:7], 4, v[6:7]
	s_and_saveexec_b32 s5, s0
	s_cbranch_execz .LBB219_25
; %bb.31:                               ;   in Loop: Header=BB219_27 Depth=1
	s_delay_alu instid0(VALU_DEP_1) | instskip(NEXT) | instid1(VALU_DEP_2)
	v_add_co_u32 v13, vcc_lo, s10, v6
	v_add_co_ci_u32_e32 v14, vcc_lo, s11, v7, vcc_lo
	global_load_b128 v[13:16], v[13:14], off
	s_waitcnt vmcnt(0)
	v_fma_f64 v[1:2], v[9:10], v[13:14], v[1:2]
	v_fma_f64 v[3:4], v[11:12], v[13:14], v[3:4]
	s_delay_alu instid0(VALU_DEP_2) | instskip(NEXT) | instid1(VALU_DEP_2)
	v_fma_f64 v[1:2], -v[11:12], v[15:16], v[1:2]
	v_fma_f64 v[3:4], v[9:10], v[15:16], v[3:4]
	s_branch .LBB219_25
.LBB219_32:
	s_endpgm
	.section	.rodata,"a",@progbits
	.p2align	6, 0x0
	.amdhsa_kernel _ZN9rocsparseL30csrmvn_lrb_short_rows_2_kernelIll21rocsparse_complex_numIfES1_IdES3_S3_EEvbT_PT0_S6_jNS_24const_host_device_scalarIT4_EEPKS4_PKS5_PKT1_PKT2_S9_PT3_21rocsparse_index_base_b
		.amdhsa_group_segment_fixed_size 16384
		.amdhsa_private_segment_fixed_size 24
		.amdhsa_kernarg_size 120
		.amdhsa_user_sgpr_count 15
		.amdhsa_user_sgpr_dispatch_ptr 0
		.amdhsa_user_sgpr_queue_ptr 0
		.amdhsa_user_sgpr_kernarg_segment_ptr 1
		.amdhsa_user_sgpr_dispatch_id 0
		.amdhsa_user_sgpr_private_segment_size 0
		.amdhsa_wavefront_size32 1
		.amdhsa_uses_dynamic_stack 0
		.amdhsa_enable_private_segment 1
		.amdhsa_system_sgpr_workgroup_id_x 1
		.amdhsa_system_sgpr_workgroup_id_y 0
		.amdhsa_system_sgpr_workgroup_id_z 0
		.amdhsa_system_sgpr_workgroup_info 0
		.amdhsa_system_vgpr_workitem_id 0
		.amdhsa_next_free_vgpr 21
		.amdhsa_next_free_sgpr 22
		.amdhsa_reserve_vcc 1
		.amdhsa_float_round_mode_32 0
		.amdhsa_float_round_mode_16_64 0
		.amdhsa_float_denorm_mode_32 3
		.amdhsa_float_denorm_mode_16_64 3
		.amdhsa_dx10_clamp 1
		.amdhsa_ieee_mode 1
		.amdhsa_fp16_overflow 0
		.amdhsa_workgroup_processor_mode 1
		.amdhsa_memory_ordered 1
		.amdhsa_forward_progress 0
		.amdhsa_shared_vgpr_count 0
		.amdhsa_exception_fp_ieee_invalid_op 0
		.amdhsa_exception_fp_denorm_src 0
		.amdhsa_exception_fp_ieee_div_zero 0
		.amdhsa_exception_fp_ieee_overflow 0
		.amdhsa_exception_fp_ieee_underflow 0
		.amdhsa_exception_fp_ieee_inexact 0
		.amdhsa_exception_int_div_zero 0
	.end_amdhsa_kernel
	.section	.text._ZN9rocsparseL30csrmvn_lrb_short_rows_2_kernelIll21rocsparse_complex_numIfES1_IdES3_S3_EEvbT_PT0_S6_jNS_24const_host_device_scalarIT4_EEPKS4_PKS5_PKT1_PKT2_S9_PT3_21rocsparse_index_base_b,"axG",@progbits,_ZN9rocsparseL30csrmvn_lrb_short_rows_2_kernelIll21rocsparse_complex_numIfES1_IdES3_S3_EEvbT_PT0_S6_jNS_24const_host_device_scalarIT4_EEPKS4_PKS5_PKT1_PKT2_S9_PT3_21rocsparse_index_base_b,comdat
.Lfunc_end219:
	.size	_ZN9rocsparseL30csrmvn_lrb_short_rows_2_kernelIll21rocsparse_complex_numIfES1_IdES3_S3_EEvbT_PT0_S6_jNS_24const_host_device_scalarIT4_EEPKS4_PKS5_PKT1_PKT2_S9_PT3_21rocsparse_index_base_b, .Lfunc_end219-_ZN9rocsparseL30csrmvn_lrb_short_rows_2_kernelIll21rocsparse_complex_numIfES1_IdES3_S3_EEvbT_PT0_S6_jNS_24const_host_device_scalarIT4_EEPKS4_PKS5_PKT1_PKT2_S9_PT3_21rocsparse_index_base_b
                                        ; -- End function
	.section	.AMDGPU.csdata,"",@progbits
; Kernel info:
; codeLenInByte = 2484
; NumSgprs: 24
; NumVgprs: 21
; ScratchSize: 24
; MemoryBound: 0
; FloatMode: 240
; IeeeMode: 1
; LDSByteSize: 16384 bytes/workgroup (compile time only)
; SGPRBlocks: 2
; VGPRBlocks: 2
; NumSGPRsForWavesPerEU: 24
; NumVGPRsForWavesPerEU: 21
; Occupancy: 16
; WaveLimiterHint : 1
; COMPUTE_PGM_RSRC2:SCRATCH_EN: 1
; COMPUTE_PGM_RSRC2:USER_SGPR: 15
; COMPUTE_PGM_RSRC2:TRAP_HANDLER: 0
; COMPUTE_PGM_RSRC2:TGID_X_EN: 1
; COMPUTE_PGM_RSRC2:TGID_Y_EN: 0
; COMPUTE_PGM_RSRC2:TGID_Z_EN: 0
; COMPUTE_PGM_RSRC2:TIDIG_COMP_CNT: 0
	.section	.text._ZN9rocsparseL41csrmvn_lrb_medium_rows_warp_reduce_kernelILj256ELj32Ell21rocsparse_complex_numIfES1_IdES3_S3_EEvbT1_lPT2_S6_jNS_24const_host_device_scalarIT6_EEPKS4_PKS5_PKT3_PKT4_S9_PT5_21rocsparse_index_base_b,"axG",@progbits,_ZN9rocsparseL41csrmvn_lrb_medium_rows_warp_reduce_kernelILj256ELj32Ell21rocsparse_complex_numIfES1_IdES3_S3_EEvbT1_lPT2_S6_jNS_24const_host_device_scalarIT6_EEPKS4_PKS5_PKT3_PKT4_S9_PT5_21rocsparse_index_base_b,comdat
	.globl	_ZN9rocsparseL41csrmvn_lrb_medium_rows_warp_reduce_kernelILj256ELj32Ell21rocsparse_complex_numIfES1_IdES3_S3_EEvbT1_lPT2_S6_jNS_24const_host_device_scalarIT6_EEPKS4_PKS5_PKT3_PKT4_S9_PT5_21rocsparse_index_base_b ; -- Begin function _ZN9rocsparseL41csrmvn_lrb_medium_rows_warp_reduce_kernelILj256ELj32Ell21rocsparse_complex_numIfES1_IdES3_S3_EEvbT1_lPT2_S6_jNS_24const_host_device_scalarIT6_EEPKS4_PKS5_PKT3_PKT4_S9_PT5_21rocsparse_index_base_b
	.p2align	8
	.type	_ZN9rocsparseL41csrmvn_lrb_medium_rows_warp_reduce_kernelILj256ELj32Ell21rocsparse_complex_numIfES1_IdES3_S3_EEvbT1_lPT2_S6_jNS_24const_host_device_scalarIT6_EEPKS4_PKS5_PKT3_PKT4_S9_PT5_21rocsparse_index_base_b,@function
_ZN9rocsparseL41csrmvn_lrb_medium_rows_warp_reduce_kernelILj256ELj32Ell21rocsparse_complex_numIfES1_IdES3_S3_EEvbT1_lPT2_S6_jNS_24const_host_device_scalarIT6_EEPKS4_PKS5_PKT3_PKT4_S9_PT5_21rocsparse_index_base_b: ; @_ZN9rocsparseL41csrmvn_lrb_medium_rows_warp_reduce_kernelILj256ELj32Ell21rocsparse_complex_numIfES1_IdES3_S3_EEvbT1_lPT2_S6_jNS_24const_host_device_scalarIT6_EEPKS4_PKS5_PKT3_PKT4_S9_PT5_21rocsparse_index_base_b
; %bb.0:
	s_clause 0x1
	s_load_b64 s[12:13], s[2:3], 0x78
	s_load_b128 s[4:7], s[2:3], 0x30
	s_load_b64 s[16:17], s[0:1], 0x4
	s_mov_b64 s[0:1], src_shared_base
	v_and_b32_e32 v10, 0x3ff, v0
	s_load_b128 s[8:11], s[2:3], 0x60
	v_bfe_u32 v2, v0, 10, 10
	v_bfe_u32 v0, v0, 20, 10
	s_waitcnt lgkmcnt(0)
	s_bitcmp1_b32 s13, 0
	s_cselect_b32 s0, -1, 0
	s_delay_alu instid0(SALU_CYCLE_1) | instskip(SKIP_4) | instid1(SALU_CYCLE_1)
	s_and_b32 vcc_lo, s0, exec_lo
	s_cselect_b32 s13, s1, s5
	s_lshr_b32 s14, s16, 16
	v_mov_b32_e32 v6, s13
	s_mul_i32 s14, s14, s17
	v_mul_lo_u32 v1, s14, v10
	s_delay_alu instid0(VALU_DEP_1) | instskip(SKIP_1) | instid1(VALU_DEP_2)
	v_mad_u32_u24 v1, v2, s17, v1
	v_dual_mov_b32 v2, s8 :: v_dual_mov_b32 v3, s9
	v_add_lshl_u32 v4, v1, v0, 3
	v_dual_mov_b32 v0, s4 :: v_dual_mov_b32 v1, s5
	s_delay_alu instid0(VALU_DEP_2)
	v_add_nc_u32_e32 v5, 0x800, v4
	ds_store_2addr_stride64_b64 v4, v[2:3], v[0:1] offset1:4
	v_dual_mov_b32 v2, s6 :: v_dual_mov_b32 v3, s7
	v_cndmask_b32_e64 v5, s4, v5, s0
	s_xor_b32 s6, s0, -1
	flat_load_b64 v[0:1], v[5:6]
	s_cbranch_vccnz .LBB220_2
; %bb.1:
	v_dual_mov_b32 v2, s4 :: v_dual_mov_b32 v3, s5
	flat_load_b64 v[2:3], v[2:3] offset:8
.LBB220_2:
	s_and_b32 s4, s0, exec_lo
	s_cselect_b32 s1, s1, s9
	v_cndmask_b32_e64 v4, s8, v4, s0
	v_dual_mov_b32 v5, s1 :: v_dual_mov_b32 v6, s10
	v_mov_b32_e32 v7, s11
	s_and_not1_b32 vcc_lo, exec_lo, s6
	flat_load_b64 v[4:5], v[4:5]
	s_cbranch_vccnz .LBB220_4
; %bb.3:
	v_dual_mov_b32 v6, s8 :: v_dual_mov_b32 v7, s9
	flat_load_b64 v[6:7], v[6:7] offset:8
.LBB220_4:
	s_waitcnt vmcnt(1) lgkmcnt(1)
	v_cmp_eq_f64_e32 vcc_lo, 0, v[0:1]
	v_cmp_eq_f64_e64 s0, 0, v[2:3]
	s_delay_alu instid0(VALU_DEP_1)
	s_and_b32 s4, vcc_lo, s0
	s_mov_b32 s0, -1
	s_and_saveexec_b32 s1, s4
	s_cbranch_execz .LBB220_6
; %bb.5:
	s_waitcnt vmcnt(0) lgkmcnt(0)
	v_cmp_neq_f64_e32 vcc_lo, 1.0, v[4:5]
	v_cmp_neq_f64_e64 s0, 0, v[6:7]
	s_delay_alu instid0(VALU_DEP_1) | instskip(NEXT) | instid1(SALU_CYCLE_1)
	s_or_b32 s0, vcc_lo, s0
	s_or_not1_b32 s0, s0, exec_lo
.LBB220_6:
	s_or_b32 exec_lo, exec_lo, s1
	s_and_saveexec_b32 s1, s0
	s_cbranch_execz .LBB220_16
; %bb.7:
	s_load_b64 s[0:1], s[2:3], 0x10
	v_lshrrev_b32_e32 v8, 5, v10
	s_delay_alu instid0(VALU_DEP_1) | instskip(NEXT) | instid1(VALU_DEP_1)
	v_lshl_or_b32 v8, s15, 3, v8
	v_ashrrev_i32_e32 v9, 31, v8
	s_waitcnt lgkmcnt(0)
	s_delay_alu instid0(VALU_DEP_1)
	v_cmp_gt_i64_e32 vcc_lo, s[0:1], v[8:9]
	s_and_b32 exec_lo, exec_lo, vcc_lo
	s_cbranch_execz .LBB220_16
; %bb.8:
	s_clause 0x1
	s_load_b32 s0, s[2:3], 0x28
	s_load_b128 s[4:7], s[2:3], 0x18
	s_mov_b32 s1, 0
	v_lshlrev_b64 v[8:9], 3, v[8:9]
	v_and_b32_e32 v22, 31, v10
	s_waitcnt lgkmcnt(0)
	s_lshl_b64 s[8:9], s[0:1], 3
	s_delay_alu instid0(SALU_CYCLE_1) | instskip(SKIP_4) | instid1(SALU_CYCLE_1)
	s_add_u32 s6, s6, s8
	s_addc_u32 s7, s7, s9
	s_load_b64 s[6:7], s[6:7], 0x0
	s_waitcnt lgkmcnt(0)
	s_lshl_b64 s[6:7], s[6:7], 3
	s_add_u32 s0, s4, s6
	s_addc_u32 s4, s5, s7
	v_add_co_u32 v8, vcc_lo, s0, v8
	v_add_co_ci_u32_e32 v9, vcc_lo, s4, v9, vcc_lo
	s_load_b64 s[4:5], s[2:3], 0x40
	v_sub_co_u32 v10, s0, v22, s12
	global_load_b64 v[8:9], v[8:9], off
	s_mov_b32 s6, exec_lo
	s_waitcnt vmcnt(0)
	v_lshlrev_b64 v[11:12], 3, v[8:9]
	s_waitcnt lgkmcnt(0)
	s_delay_alu instid0(VALU_DEP_1) | instskip(NEXT) | instid1(VALU_DEP_2)
	v_add_co_u32 v11, vcc_lo, s4, v11
	v_add_co_ci_u32_e32 v12, vcc_lo, s5, v12, vcc_lo
	s_load_b64 s[4:5], s[2:3], 0x70
	global_load_b128 v[12:15], v[11:12], off
	v_sub_co_ci_u32_e64 v11, null, 0, 0, s0
	s_waitcnt vmcnt(0)
	v_sub_co_u32 v14, vcc_lo, v14, s12
	v_subrev_co_ci_u32_e32 v15, vcc_lo, 0, v15, vcc_lo
	v_add_co_u32 v16, vcc_lo, v12, v10
	v_add_co_ci_u32_e32 v17, vcc_lo, v13, v11, vcc_lo
	v_mov_b32_e32 v10, 0
	v_mov_b32_e32 v11, 0
	s_delay_alu instid0(VALU_DEP_1) | instskip(NEXT) | instid1(VALU_DEP_4)
	v_dual_mov_b32 v13, v11 :: v_dual_mov_b32 v12, v10
	v_cmpx_lt_i64_e64 v[16:17], v[14:15]
	s_cbranch_execz .LBB220_12
; %bb.9:
	s_clause 0x2
	s_load_b128 s[8:11], s[2:3], 0x48
	s_load_b32 s0, s[2:3], 0x0
	s_load_b64 s[2:3], s[2:3], 0x58
	v_lshlrev_b64 v[12:13], 3, v[16:17]
	v_mov_b32_e32 v10, 0
	v_mov_b32_e32 v11, 0
	s_waitcnt lgkmcnt(0)
	s_delay_alu instid0(VALU_DEP_3) | instskip(NEXT) | instid1(VALU_DEP_4)
	v_add_co_u32 v20, vcc_lo, v12, s10
	v_add_co_ci_u32_e32 v21, vcc_lo, s11, v13, vcc_lo
	v_add_co_u32 v18, vcc_lo, s8, v12
	v_add_co_ci_u32_e32 v19, vcc_lo, s9, v13, vcc_lo
	s_delay_alu instid0(VALU_DEP_4) | instskip(NEXT) | instid1(VALU_DEP_4)
	v_add_co_u32 v20, vcc_lo, v20, 4
	v_add_co_ci_u32_e32 v21, vcc_lo, 0, v21, vcc_lo
	v_dual_mov_b32 v13, v11 :: v_dual_mov_b32 v12, v10
	s_bitcmp1_b32 s0, 0
	s_cselect_b32 s7, -1, 0
.LBB220_10:                             ; =>This Inner Loop Header: Depth=1
	global_load_b64 v[23:24], v[18:19], off
	global_load_b64 v[27:28], v[20:21], off offset:-4
	v_add_co_u32 v18, s0, 0x100, v18
	s_delay_alu instid0(VALU_DEP_1)
	v_add_co_ci_u32_e64 v19, s0, 0, v19, s0
	s_waitcnt vmcnt(1)
	v_sub_co_u32 v23, vcc_lo, v23, s12
	v_subrev_co_ci_u32_e32 v24, vcc_lo, 0, v24, vcc_lo
	s_waitcnt vmcnt(0)
	v_cndmask_b32_e64 v28, v28, -v28, s7
	v_cvt_f64_f32_e32 v[30:31], v27
	s_delay_alu instid0(VALU_DEP_3) | instskip(NEXT) | instid1(VALU_DEP_3)
	v_lshlrev_b64 v[23:24], 4, v[23:24]
	v_cvt_f64_f32_e32 v[28:29], v28
	s_delay_alu instid0(VALU_DEP_2) | instskip(NEXT) | instid1(VALU_DEP_3)
	v_add_co_u32 v23, vcc_lo, s2, v23
	v_add_co_ci_u32_e32 v24, vcc_lo, s3, v24, vcc_lo
	v_add_co_u32 v16, vcc_lo, v16, 32
	v_add_co_ci_u32_e32 v17, vcc_lo, 0, v17, vcc_lo
	global_load_b128 v[23:26], v[23:24], off
	v_add_co_u32 v20, vcc_lo, 0x100, v20
	v_add_co_ci_u32_e32 v21, vcc_lo, 0, v21, vcc_lo
	v_cmp_ge_i64_e32 vcc_lo, v[16:17], v[14:15]
	s_or_b32 s1, vcc_lo, s1
	v_mul_f64 v[32:33], -v[2:3], v[28:29]
	v_mul_f64 v[27:28], v[0:1], v[28:29]
	s_delay_alu instid0(VALU_DEP_2) | instskip(NEXT) | instid1(VALU_DEP_2)
	v_fma_f64 v[32:33], v[0:1], v[30:31], v[32:33]
	v_fma_f64 v[27:28], v[2:3], v[30:31], v[27:28]
	s_waitcnt vmcnt(0)
	s_delay_alu instid0(VALU_DEP_2) | instskip(NEXT) | instid1(VALU_DEP_2)
	v_fma_f64 v[12:13], v[32:33], v[23:24], v[12:13]
	v_fma_f64 v[10:11], v[27:28], v[23:24], v[10:11]
	s_delay_alu instid0(VALU_DEP_2) | instskip(NEXT) | instid1(VALU_DEP_2)
	v_fma_f64 v[12:13], -v[27:28], v[25:26], v[12:13]
	v_fma_f64 v[10:11], v[32:33], v[25:26], v[10:11]
	s_and_not1_b32 exec_lo, exec_lo, s1
	s_cbranch_execnz .LBB220_10
; %bb.11:
	s_or_b32 exec_lo, exec_lo, s1
.LBB220_12:
	s_delay_alu instid0(SALU_CYCLE_1) | instskip(SKIP_1) | instid1(VALU_DEP_1)
	s_or_b32 exec_lo, exec_lo, s6
	v_mbcnt_lo_u32_b32 v14, -1, 0
	v_xor_b32_e32 v0, 16, v14
	s_delay_alu instid0(VALU_DEP_1) | instskip(SKIP_1) | instid1(VALU_DEP_1)
	v_cmp_gt_i32_e32 vcc_lo, 32, v0
	v_cndmask_b32_e32 v0, v14, v0, vcc_lo
	v_lshlrev_b32_e32 v3, 2, v0
	ds_bpermute_b32 v0, v3, v12
	ds_bpermute_b32 v1, v3, v13
	;; [unrolled: 1-line block ×4, first 2 shown]
	s_waitcnt lgkmcnt(0)
	v_add_f64 v[0:1], v[12:13], v[0:1]
	v_add_f64 v[2:3], v[10:11], v[2:3]
	v_xor_b32_e32 v10, 8, v14
	s_delay_alu instid0(VALU_DEP_1) | instskip(SKIP_1) | instid1(VALU_DEP_1)
	v_cmp_gt_i32_e32 vcc_lo, 32, v10
	v_cndmask_b32_e32 v10, v14, v10, vcc_lo
	v_lshlrev_b32_e32 v13, 2, v10
	ds_bpermute_b32 v10, v13, v0
	ds_bpermute_b32 v11, v13, v1
	ds_bpermute_b32 v12, v13, v2
	ds_bpermute_b32 v13, v13, v3
	s_waitcnt lgkmcnt(2)
	v_add_f64 v[0:1], v[0:1], v[10:11]
	v_xor_b32_e32 v10, 4, v14
	s_waitcnt lgkmcnt(0)
	v_add_f64 v[2:3], v[2:3], v[12:13]
	s_delay_alu instid0(VALU_DEP_2) | instskip(SKIP_1) | instid1(VALU_DEP_1)
	v_cmp_gt_i32_e32 vcc_lo, 32, v10
	v_cndmask_b32_e32 v10, v14, v10, vcc_lo
	v_lshlrev_b32_e32 v13, 2, v10
	ds_bpermute_b32 v10, v13, v0
	ds_bpermute_b32 v11, v13, v1
	;; [unrolled: 1-line block ×4, first 2 shown]
	s_waitcnt lgkmcnt(2)
	v_add_f64 v[0:1], v[0:1], v[10:11]
	v_xor_b32_e32 v10, 2, v14
	s_waitcnt lgkmcnt(0)
	v_add_f64 v[2:3], v[2:3], v[12:13]
	s_delay_alu instid0(VALU_DEP_2) | instskip(SKIP_1) | instid1(VALU_DEP_1)
	v_cmp_gt_i32_e32 vcc_lo, 32, v10
	v_cndmask_b32_e32 v10, v14, v10, vcc_lo
	v_lshlrev_b32_e32 v13, 2, v10
	ds_bpermute_b32 v10, v13, v0
	ds_bpermute_b32 v11, v13, v1
	;; [unrolled: 1-line block ×4, first 2 shown]
	s_waitcnt lgkmcnt(2)
	v_add_f64 v[0:1], v[0:1], v[10:11]
	v_xor_b32_e32 v10, 1, v14
	s_waitcnt lgkmcnt(0)
	v_add_f64 v[2:3], v[2:3], v[12:13]
	s_delay_alu instid0(VALU_DEP_2) | instskip(SKIP_2) | instid1(VALU_DEP_2)
	v_cmp_gt_i32_e32 vcc_lo, 32, v10
	v_cndmask_b32_e32 v10, v14, v10, vcc_lo
	v_cmp_eq_u32_e32 vcc_lo, 31, v22
	v_lshlrev_b32_e32 v13, 2, v10
	ds_bpermute_b32 v10, v13, v0
	ds_bpermute_b32 v11, v13, v1
	;; [unrolled: 1-line block ×4, first 2 shown]
	s_and_b32 exec_lo, exec_lo, vcc_lo
	s_cbranch_execz .LBB220_16
; %bb.13:
	v_cmp_neq_f64_e32 vcc_lo, 0, v[4:5]
	v_cmp_neq_f64_e64 s0, 0, v[6:7]
	s_waitcnt lgkmcnt(2)
	v_add_f64 v[0:1], v[0:1], v[10:11]
	s_waitcnt lgkmcnt(0)
	v_add_f64 v[2:3], v[2:3], v[12:13]
	v_lshlrev_b64 v[8:9], 4, v[8:9]
	s_delay_alu instid0(VALU_DEP_4) | instskip(NEXT) | instid1(SALU_CYCLE_1)
	s_or_b32 s1, vcc_lo, s0
	s_and_saveexec_b32 s0, s1
	s_cbranch_execz .LBB220_15
; %bb.14:
	s_delay_alu instid0(VALU_DEP_1) | instskip(NEXT) | instid1(VALU_DEP_2)
	v_add_co_u32 v10, vcc_lo, s4, v8
	v_add_co_ci_u32_e32 v11, vcc_lo, s5, v9, vcc_lo
	global_load_b128 v[10:13], v[10:11], off
	s_waitcnt vmcnt(0)
	v_fma_f64 v[0:1], v[4:5], v[10:11], v[0:1]
	v_fma_f64 v[2:3], v[6:7], v[10:11], v[2:3]
	s_delay_alu instid0(VALU_DEP_2) | instskip(NEXT) | instid1(VALU_DEP_2)
	v_fma_f64 v[0:1], -v[6:7], v[12:13], v[0:1]
	v_fma_f64 v[2:3], v[4:5], v[12:13], v[2:3]
.LBB220_15:
	s_or_b32 exec_lo, exec_lo, s0
	s_delay_alu instid0(VALU_DEP_1)
	v_add_co_u32 v4, vcc_lo, s4, v8
	v_add_co_ci_u32_e32 v5, vcc_lo, s5, v9, vcc_lo
	global_store_b128 v[4:5], v[0:3], off
.LBB220_16:
	s_nop 0
	s_sendmsg sendmsg(MSG_DEALLOC_VGPRS)
	s_endpgm
	.section	.rodata,"a",@progbits
	.p2align	6, 0x0
	.amdhsa_kernel _ZN9rocsparseL41csrmvn_lrb_medium_rows_warp_reduce_kernelILj256ELj32Ell21rocsparse_complex_numIfES1_IdES3_S3_EEvbT1_lPT2_S6_jNS_24const_host_device_scalarIT6_EEPKS4_PKS5_PKT3_PKT4_S9_PT5_21rocsparse_index_base_b
		.amdhsa_group_segment_fixed_size 4096
		.amdhsa_private_segment_fixed_size 0
		.amdhsa_kernarg_size 128
		.amdhsa_user_sgpr_count 15
		.amdhsa_user_sgpr_dispatch_ptr 1
		.amdhsa_user_sgpr_queue_ptr 0
		.amdhsa_user_sgpr_kernarg_segment_ptr 1
		.amdhsa_user_sgpr_dispatch_id 0
		.amdhsa_user_sgpr_private_segment_size 0
		.amdhsa_wavefront_size32 1
		.amdhsa_uses_dynamic_stack 0
		.amdhsa_enable_private_segment 0
		.amdhsa_system_sgpr_workgroup_id_x 1
		.amdhsa_system_sgpr_workgroup_id_y 0
		.amdhsa_system_sgpr_workgroup_id_z 0
		.amdhsa_system_sgpr_workgroup_info 0
		.amdhsa_system_vgpr_workitem_id 2
		.amdhsa_next_free_vgpr 34
		.amdhsa_next_free_sgpr 18
		.amdhsa_reserve_vcc 1
		.amdhsa_float_round_mode_32 0
		.amdhsa_float_round_mode_16_64 0
		.amdhsa_float_denorm_mode_32 3
		.amdhsa_float_denorm_mode_16_64 3
		.amdhsa_dx10_clamp 1
		.amdhsa_ieee_mode 1
		.amdhsa_fp16_overflow 0
		.amdhsa_workgroup_processor_mode 1
		.amdhsa_memory_ordered 1
		.amdhsa_forward_progress 0
		.amdhsa_shared_vgpr_count 0
		.amdhsa_exception_fp_ieee_invalid_op 0
		.amdhsa_exception_fp_denorm_src 0
		.amdhsa_exception_fp_ieee_div_zero 0
		.amdhsa_exception_fp_ieee_overflow 0
		.amdhsa_exception_fp_ieee_underflow 0
		.amdhsa_exception_fp_ieee_inexact 0
		.amdhsa_exception_int_div_zero 0
	.end_amdhsa_kernel
	.section	.text._ZN9rocsparseL41csrmvn_lrb_medium_rows_warp_reduce_kernelILj256ELj32Ell21rocsparse_complex_numIfES1_IdES3_S3_EEvbT1_lPT2_S6_jNS_24const_host_device_scalarIT6_EEPKS4_PKS5_PKT3_PKT4_S9_PT5_21rocsparse_index_base_b,"axG",@progbits,_ZN9rocsparseL41csrmvn_lrb_medium_rows_warp_reduce_kernelILj256ELj32Ell21rocsparse_complex_numIfES1_IdES3_S3_EEvbT1_lPT2_S6_jNS_24const_host_device_scalarIT6_EEPKS4_PKS5_PKT3_PKT4_S9_PT5_21rocsparse_index_base_b,comdat
.Lfunc_end220:
	.size	_ZN9rocsparseL41csrmvn_lrb_medium_rows_warp_reduce_kernelILj256ELj32Ell21rocsparse_complex_numIfES1_IdES3_S3_EEvbT1_lPT2_S6_jNS_24const_host_device_scalarIT6_EEPKS4_PKS5_PKT3_PKT4_S9_PT5_21rocsparse_index_base_b, .Lfunc_end220-_ZN9rocsparseL41csrmvn_lrb_medium_rows_warp_reduce_kernelILj256ELj32Ell21rocsparse_complex_numIfES1_IdES3_S3_EEvbT1_lPT2_S6_jNS_24const_host_device_scalarIT6_EEPKS4_PKS5_PKT3_PKT4_S9_PT5_21rocsparse_index_base_b
                                        ; -- End function
	.section	.AMDGPU.csdata,"",@progbits
; Kernel info:
; codeLenInByte = 1524
; NumSgprs: 20
; NumVgprs: 34
; ScratchSize: 0
; MemoryBound: 0
; FloatMode: 240
; IeeeMode: 1
; LDSByteSize: 4096 bytes/workgroup (compile time only)
; SGPRBlocks: 2
; VGPRBlocks: 4
; NumSGPRsForWavesPerEU: 20
; NumVGPRsForWavesPerEU: 34
; Occupancy: 16
; WaveLimiterHint : 1
; COMPUTE_PGM_RSRC2:SCRATCH_EN: 0
; COMPUTE_PGM_RSRC2:USER_SGPR: 15
; COMPUTE_PGM_RSRC2:TRAP_HANDLER: 0
; COMPUTE_PGM_RSRC2:TGID_X_EN: 1
; COMPUTE_PGM_RSRC2:TGID_Y_EN: 0
; COMPUTE_PGM_RSRC2:TGID_Z_EN: 0
; COMPUTE_PGM_RSRC2:TIDIG_COMP_CNT: 2
	.section	.text._ZN9rocsparseL41csrmvn_lrb_medium_rows_warp_reduce_kernelILj256ELj64Ell21rocsparse_complex_numIfES1_IdES3_S3_EEvbT1_lPT2_S6_jNS_24const_host_device_scalarIT6_EEPKS4_PKS5_PKT3_PKT4_S9_PT5_21rocsparse_index_base_b,"axG",@progbits,_ZN9rocsparseL41csrmvn_lrb_medium_rows_warp_reduce_kernelILj256ELj64Ell21rocsparse_complex_numIfES1_IdES3_S3_EEvbT1_lPT2_S6_jNS_24const_host_device_scalarIT6_EEPKS4_PKS5_PKT3_PKT4_S9_PT5_21rocsparse_index_base_b,comdat
	.globl	_ZN9rocsparseL41csrmvn_lrb_medium_rows_warp_reduce_kernelILj256ELj64Ell21rocsparse_complex_numIfES1_IdES3_S3_EEvbT1_lPT2_S6_jNS_24const_host_device_scalarIT6_EEPKS4_PKS5_PKT3_PKT4_S9_PT5_21rocsparse_index_base_b ; -- Begin function _ZN9rocsparseL41csrmvn_lrb_medium_rows_warp_reduce_kernelILj256ELj64Ell21rocsparse_complex_numIfES1_IdES3_S3_EEvbT1_lPT2_S6_jNS_24const_host_device_scalarIT6_EEPKS4_PKS5_PKT3_PKT4_S9_PT5_21rocsparse_index_base_b
	.p2align	8
	.type	_ZN9rocsparseL41csrmvn_lrb_medium_rows_warp_reduce_kernelILj256ELj64Ell21rocsparse_complex_numIfES1_IdES3_S3_EEvbT1_lPT2_S6_jNS_24const_host_device_scalarIT6_EEPKS4_PKS5_PKT3_PKT4_S9_PT5_21rocsparse_index_base_b,@function
_ZN9rocsparseL41csrmvn_lrb_medium_rows_warp_reduce_kernelILj256ELj64Ell21rocsparse_complex_numIfES1_IdES3_S3_EEvbT1_lPT2_S6_jNS_24const_host_device_scalarIT6_EEPKS4_PKS5_PKT3_PKT4_S9_PT5_21rocsparse_index_base_b: ; @_ZN9rocsparseL41csrmvn_lrb_medium_rows_warp_reduce_kernelILj256ELj64Ell21rocsparse_complex_numIfES1_IdES3_S3_EEvbT1_lPT2_S6_jNS_24const_host_device_scalarIT6_EEPKS4_PKS5_PKT3_PKT4_S9_PT5_21rocsparse_index_base_b
; %bb.0:
	s_clause 0x1
	s_load_b64 s[12:13], s[2:3], 0x78
	s_load_b128 s[4:7], s[2:3], 0x30
	s_load_b64 s[16:17], s[0:1], 0x4
	s_mov_b64 s[0:1], src_shared_base
	v_and_b32_e32 v10, 0x3ff, v0
	s_load_b128 s[8:11], s[2:3], 0x60
	v_bfe_u32 v2, v0, 10, 10
	v_bfe_u32 v0, v0, 20, 10
	s_waitcnt lgkmcnt(0)
	s_bitcmp1_b32 s13, 0
	s_cselect_b32 s0, -1, 0
	s_delay_alu instid0(SALU_CYCLE_1) | instskip(SKIP_4) | instid1(SALU_CYCLE_1)
	s_and_b32 vcc_lo, s0, exec_lo
	s_cselect_b32 s13, s1, s5
	s_lshr_b32 s14, s16, 16
	v_mov_b32_e32 v6, s13
	s_mul_i32 s14, s14, s17
	v_mul_lo_u32 v1, s14, v10
	s_delay_alu instid0(VALU_DEP_1) | instskip(SKIP_1) | instid1(VALU_DEP_2)
	v_mad_u32_u24 v1, v2, s17, v1
	v_dual_mov_b32 v2, s8 :: v_dual_mov_b32 v3, s9
	v_add_lshl_u32 v4, v1, v0, 3
	v_dual_mov_b32 v0, s4 :: v_dual_mov_b32 v1, s5
	s_delay_alu instid0(VALU_DEP_2)
	v_add_nc_u32_e32 v5, 0x800, v4
	ds_store_2addr_stride64_b64 v4, v[2:3], v[0:1] offset1:4
	v_dual_mov_b32 v2, s6 :: v_dual_mov_b32 v3, s7
	v_cndmask_b32_e64 v5, s4, v5, s0
	s_xor_b32 s6, s0, -1
	flat_load_b64 v[0:1], v[5:6]
	s_cbranch_vccnz .LBB221_2
; %bb.1:
	v_dual_mov_b32 v2, s4 :: v_dual_mov_b32 v3, s5
	flat_load_b64 v[2:3], v[2:3] offset:8
.LBB221_2:
	s_and_b32 s4, s0, exec_lo
	s_cselect_b32 s1, s1, s9
	v_cndmask_b32_e64 v4, s8, v4, s0
	v_dual_mov_b32 v5, s1 :: v_dual_mov_b32 v6, s10
	v_mov_b32_e32 v7, s11
	s_and_not1_b32 vcc_lo, exec_lo, s6
	flat_load_b64 v[4:5], v[4:5]
	s_cbranch_vccnz .LBB221_4
; %bb.3:
	v_dual_mov_b32 v6, s8 :: v_dual_mov_b32 v7, s9
	flat_load_b64 v[6:7], v[6:7] offset:8
.LBB221_4:
	s_waitcnt vmcnt(1) lgkmcnt(1)
	v_cmp_eq_f64_e32 vcc_lo, 0, v[0:1]
	v_cmp_eq_f64_e64 s0, 0, v[2:3]
	s_delay_alu instid0(VALU_DEP_1)
	s_and_b32 s4, vcc_lo, s0
	s_mov_b32 s0, -1
	s_and_saveexec_b32 s1, s4
	s_cbranch_execz .LBB221_6
; %bb.5:
	s_waitcnt vmcnt(0) lgkmcnt(0)
	v_cmp_neq_f64_e32 vcc_lo, 1.0, v[4:5]
	v_cmp_neq_f64_e64 s0, 0, v[6:7]
	s_delay_alu instid0(VALU_DEP_1) | instskip(NEXT) | instid1(SALU_CYCLE_1)
	s_or_b32 s0, vcc_lo, s0
	s_or_not1_b32 s0, s0, exec_lo
.LBB221_6:
	s_or_b32 exec_lo, exec_lo, s1
	s_and_saveexec_b32 s1, s0
	s_cbranch_execz .LBB221_16
; %bb.7:
	s_load_b64 s[0:1], s[2:3], 0x10
	v_lshrrev_b32_e32 v8, 6, v10
	s_delay_alu instid0(VALU_DEP_1) | instskip(NEXT) | instid1(VALU_DEP_1)
	v_lshl_or_b32 v8, s15, 2, v8
	v_ashrrev_i32_e32 v9, 31, v8
	s_waitcnt lgkmcnt(0)
	s_delay_alu instid0(VALU_DEP_1)
	v_cmp_gt_i64_e32 vcc_lo, s[0:1], v[8:9]
	s_and_b32 exec_lo, exec_lo, vcc_lo
	s_cbranch_execz .LBB221_16
; %bb.8:
	s_clause 0x1
	s_load_b32 s0, s[2:3], 0x28
	s_load_b128 s[4:7], s[2:3], 0x18
	s_mov_b32 s1, 0
	v_lshlrev_b64 v[8:9], 3, v[8:9]
	v_and_b32_e32 v22, 63, v10
	s_waitcnt lgkmcnt(0)
	s_lshl_b64 s[8:9], s[0:1], 3
	s_delay_alu instid0(SALU_CYCLE_1) | instskip(SKIP_4) | instid1(SALU_CYCLE_1)
	s_add_u32 s6, s6, s8
	s_addc_u32 s7, s7, s9
	s_load_b64 s[6:7], s[6:7], 0x0
	s_waitcnt lgkmcnt(0)
	s_lshl_b64 s[6:7], s[6:7], 3
	s_add_u32 s0, s4, s6
	s_addc_u32 s4, s5, s7
	v_add_co_u32 v8, vcc_lo, s0, v8
	v_add_co_ci_u32_e32 v9, vcc_lo, s4, v9, vcc_lo
	s_load_b64 s[4:5], s[2:3], 0x40
	v_sub_co_u32 v10, s0, v22, s12
	global_load_b64 v[8:9], v[8:9], off
	s_mov_b32 s6, exec_lo
	s_waitcnt vmcnt(0)
	v_lshlrev_b64 v[11:12], 3, v[8:9]
	s_waitcnt lgkmcnt(0)
	s_delay_alu instid0(VALU_DEP_1) | instskip(NEXT) | instid1(VALU_DEP_2)
	v_add_co_u32 v11, vcc_lo, s4, v11
	v_add_co_ci_u32_e32 v12, vcc_lo, s5, v12, vcc_lo
	s_load_b64 s[4:5], s[2:3], 0x70
	global_load_b128 v[12:15], v[11:12], off
	v_sub_co_ci_u32_e64 v11, null, 0, 0, s0
	s_waitcnt vmcnt(0)
	v_sub_co_u32 v14, vcc_lo, v14, s12
	v_subrev_co_ci_u32_e32 v15, vcc_lo, 0, v15, vcc_lo
	v_add_co_u32 v16, vcc_lo, v12, v10
	v_add_co_ci_u32_e32 v17, vcc_lo, v13, v11, vcc_lo
	v_mov_b32_e32 v10, 0
	v_mov_b32_e32 v11, 0
	s_delay_alu instid0(VALU_DEP_1) | instskip(NEXT) | instid1(VALU_DEP_4)
	v_dual_mov_b32 v13, v11 :: v_dual_mov_b32 v12, v10
	v_cmpx_lt_i64_e64 v[16:17], v[14:15]
	s_cbranch_execz .LBB221_12
; %bb.9:
	s_clause 0x2
	s_load_b128 s[8:11], s[2:3], 0x48
	s_load_b32 s0, s[2:3], 0x0
	s_load_b64 s[2:3], s[2:3], 0x58
	v_lshlrev_b64 v[12:13], 3, v[16:17]
	v_mov_b32_e32 v10, 0
	v_mov_b32_e32 v11, 0
	s_waitcnt lgkmcnt(0)
	s_delay_alu instid0(VALU_DEP_3) | instskip(NEXT) | instid1(VALU_DEP_4)
	v_add_co_u32 v20, vcc_lo, v12, s10
	v_add_co_ci_u32_e32 v21, vcc_lo, s11, v13, vcc_lo
	v_add_co_u32 v18, vcc_lo, s8, v12
	v_add_co_ci_u32_e32 v19, vcc_lo, s9, v13, vcc_lo
	s_delay_alu instid0(VALU_DEP_4) | instskip(NEXT) | instid1(VALU_DEP_4)
	v_add_co_u32 v20, vcc_lo, v20, 4
	v_add_co_ci_u32_e32 v21, vcc_lo, 0, v21, vcc_lo
	v_dual_mov_b32 v13, v11 :: v_dual_mov_b32 v12, v10
	s_bitcmp1_b32 s0, 0
	s_cselect_b32 s7, -1, 0
.LBB221_10:                             ; =>This Inner Loop Header: Depth=1
	global_load_b64 v[23:24], v[18:19], off
	global_load_b64 v[27:28], v[20:21], off offset:-4
	v_add_co_u32 v18, s0, 0x200, v18
	s_delay_alu instid0(VALU_DEP_1)
	v_add_co_ci_u32_e64 v19, s0, 0, v19, s0
	s_waitcnt vmcnt(1)
	v_sub_co_u32 v23, vcc_lo, v23, s12
	v_subrev_co_ci_u32_e32 v24, vcc_lo, 0, v24, vcc_lo
	s_waitcnt vmcnt(0)
	v_cndmask_b32_e64 v28, v28, -v28, s7
	v_cvt_f64_f32_e32 v[30:31], v27
	s_delay_alu instid0(VALU_DEP_3) | instskip(NEXT) | instid1(VALU_DEP_3)
	v_lshlrev_b64 v[23:24], 4, v[23:24]
	v_cvt_f64_f32_e32 v[28:29], v28
	s_delay_alu instid0(VALU_DEP_2) | instskip(NEXT) | instid1(VALU_DEP_3)
	v_add_co_u32 v23, vcc_lo, s2, v23
	v_add_co_ci_u32_e32 v24, vcc_lo, s3, v24, vcc_lo
	v_add_co_u32 v16, vcc_lo, v16, 64
	v_add_co_ci_u32_e32 v17, vcc_lo, 0, v17, vcc_lo
	global_load_b128 v[23:26], v[23:24], off
	v_add_co_u32 v20, vcc_lo, 0x200, v20
	v_add_co_ci_u32_e32 v21, vcc_lo, 0, v21, vcc_lo
	v_cmp_ge_i64_e32 vcc_lo, v[16:17], v[14:15]
	s_or_b32 s1, vcc_lo, s1
	v_mul_f64 v[32:33], -v[2:3], v[28:29]
	v_mul_f64 v[27:28], v[0:1], v[28:29]
	s_delay_alu instid0(VALU_DEP_2) | instskip(NEXT) | instid1(VALU_DEP_2)
	v_fma_f64 v[32:33], v[0:1], v[30:31], v[32:33]
	v_fma_f64 v[27:28], v[2:3], v[30:31], v[27:28]
	s_waitcnt vmcnt(0)
	s_delay_alu instid0(VALU_DEP_2) | instskip(NEXT) | instid1(VALU_DEP_2)
	v_fma_f64 v[12:13], v[32:33], v[23:24], v[12:13]
	v_fma_f64 v[10:11], v[27:28], v[23:24], v[10:11]
	s_delay_alu instid0(VALU_DEP_2) | instskip(NEXT) | instid1(VALU_DEP_2)
	v_fma_f64 v[12:13], -v[27:28], v[25:26], v[12:13]
	v_fma_f64 v[10:11], v[32:33], v[25:26], v[10:11]
	s_and_not1_b32 exec_lo, exec_lo, s1
	s_cbranch_execnz .LBB221_10
; %bb.11:
	s_or_b32 exec_lo, exec_lo, s1
.LBB221_12:
	s_delay_alu instid0(SALU_CYCLE_1) | instskip(SKIP_1) | instid1(VALU_DEP_1)
	s_or_b32 exec_lo, exec_lo, s6
	v_mbcnt_lo_u32_b32 v14, -1, 0
	v_or_b32_e32 v0, 32, v14
	s_delay_alu instid0(VALU_DEP_1) | instskip(SKIP_1) | instid1(VALU_DEP_1)
	v_cmp_gt_i32_e32 vcc_lo, 32, v0
	v_cndmask_b32_e32 v0, v14, v0, vcc_lo
	v_lshlrev_b32_e32 v3, 2, v0
	ds_bpermute_b32 v0, v3, v12
	ds_bpermute_b32 v1, v3, v13
	;; [unrolled: 1-line block ×4, first 2 shown]
	s_waitcnt lgkmcnt(0)
	v_add_f64 v[0:1], v[12:13], v[0:1]
	v_add_f64 v[2:3], v[10:11], v[2:3]
	v_xor_b32_e32 v10, 16, v14
	s_delay_alu instid0(VALU_DEP_1) | instskip(SKIP_1) | instid1(VALU_DEP_1)
	v_cmp_gt_i32_e32 vcc_lo, 32, v10
	v_cndmask_b32_e32 v10, v14, v10, vcc_lo
	v_lshlrev_b32_e32 v13, 2, v10
	ds_bpermute_b32 v10, v13, v0
	ds_bpermute_b32 v11, v13, v1
	ds_bpermute_b32 v12, v13, v2
	ds_bpermute_b32 v13, v13, v3
	s_waitcnt lgkmcnt(2)
	v_add_f64 v[0:1], v[0:1], v[10:11]
	v_xor_b32_e32 v10, 8, v14
	s_waitcnt lgkmcnt(0)
	v_add_f64 v[2:3], v[2:3], v[12:13]
	s_delay_alu instid0(VALU_DEP_2) | instskip(SKIP_1) | instid1(VALU_DEP_1)
	v_cmp_gt_i32_e32 vcc_lo, 32, v10
	v_cndmask_b32_e32 v10, v14, v10, vcc_lo
	v_lshlrev_b32_e32 v13, 2, v10
	ds_bpermute_b32 v10, v13, v0
	ds_bpermute_b32 v11, v13, v1
	ds_bpermute_b32 v12, v13, v2
	ds_bpermute_b32 v13, v13, v3
	s_waitcnt lgkmcnt(2)
	v_add_f64 v[0:1], v[0:1], v[10:11]
	v_xor_b32_e32 v10, 4, v14
	s_waitcnt lgkmcnt(0)
	v_add_f64 v[2:3], v[2:3], v[12:13]
	s_delay_alu instid0(VALU_DEP_2) | instskip(SKIP_1) | instid1(VALU_DEP_1)
	;; [unrolled: 13-line block ×3, first 2 shown]
	v_cmp_gt_i32_e32 vcc_lo, 32, v10
	v_cndmask_b32_e32 v10, v14, v10, vcc_lo
	v_lshlrev_b32_e32 v13, 2, v10
	ds_bpermute_b32 v10, v13, v0
	ds_bpermute_b32 v11, v13, v1
	;; [unrolled: 1-line block ×4, first 2 shown]
	s_waitcnt lgkmcnt(2)
	v_add_f64 v[0:1], v[0:1], v[10:11]
	v_xor_b32_e32 v10, 1, v14
	s_waitcnt lgkmcnt(0)
	v_add_f64 v[2:3], v[2:3], v[12:13]
	s_delay_alu instid0(VALU_DEP_2) | instskip(SKIP_2) | instid1(VALU_DEP_2)
	v_cmp_gt_i32_e32 vcc_lo, 32, v10
	v_cndmask_b32_e32 v10, v14, v10, vcc_lo
	v_cmp_eq_u32_e32 vcc_lo, 63, v22
	v_lshlrev_b32_e32 v13, 2, v10
	ds_bpermute_b32 v10, v13, v0
	ds_bpermute_b32 v11, v13, v1
	;; [unrolled: 1-line block ×4, first 2 shown]
	s_and_b32 exec_lo, exec_lo, vcc_lo
	s_cbranch_execz .LBB221_16
; %bb.13:
	v_cmp_neq_f64_e32 vcc_lo, 0, v[4:5]
	v_cmp_neq_f64_e64 s0, 0, v[6:7]
	s_waitcnt lgkmcnt(2)
	v_add_f64 v[0:1], v[0:1], v[10:11]
	s_waitcnt lgkmcnt(0)
	v_add_f64 v[2:3], v[2:3], v[12:13]
	v_lshlrev_b64 v[8:9], 4, v[8:9]
	s_delay_alu instid0(VALU_DEP_4) | instskip(NEXT) | instid1(SALU_CYCLE_1)
	s_or_b32 s1, vcc_lo, s0
	s_and_saveexec_b32 s0, s1
	s_cbranch_execz .LBB221_15
; %bb.14:
	s_delay_alu instid0(VALU_DEP_1) | instskip(NEXT) | instid1(VALU_DEP_2)
	v_add_co_u32 v10, vcc_lo, s4, v8
	v_add_co_ci_u32_e32 v11, vcc_lo, s5, v9, vcc_lo
	global_load_b128 v[10:13], v[10:11], off
	s_waitcnt vmcnt(0)
	v_fma_f64 v[0:1], v[4:5], v[10:11], v[0:1]
	v_fma_f64 v[2:3], v[6:7], v[10:11], v[2:3]
	s_delay_alu instid0(VALU_DEP_2) | instskip(NEXT) | instid1(VALU_DEP_2)
	v_fma_f64 v[0:1], -v[6:7], v[12:13], v[0:1]
	v_fma_f64 v[2:3], v[4:5], v[12:13], v[2:3]
.LBB221_15:
	s_or_b32 exec_lo, exec_lo, s0
	s_delay_alu instid0(VALU_DEP_1)
	v_add_co_u32 v4, vcc_lo, s4, v8
	v_add_co_ci_u32_e32 v5, vcc_lo, s5, v9, vcc_lo
	global_store_b128 v[4:5], v[0:3], off
.LBB221_16:
	s_nop 0
	s_sendmsg sendmsg(MSG_DEALLOC_VGPRS)
	s_endpgm
	.section	.rodata,"a",@progbits
	.p2align	6, 0x0
	.amdhsa_kernel _ZN9rocsparseL41csrmvn_lrb_medium_rows_warp_reduce_kernelILj256ELj64Ell21rocsparse_complex_numIfES1_IdES3_S3_EEvbT1_lPT2_S6_jNS_24const_host_device_scalarIT6_EEPKS4_PKS5_PKT3_PKT4_S9_PT5_21rocsparse_index_base_b
		.amdhsa_group_segment_fixed_size 4096
		.amdhsa_private_segment_fixed_size 0
		.amdhsa_kernarg_size 128
		.amdhsa_user_sgpr_count 15
		.amdhsa_user_sgpr_dispatch_ptr 1
		.amdhsa_user_sgpr_queue_ptr 0
		.amdhsa_user_sgpr_kernarg_segment_ptr 1
		.amdhsa_user_sgpr_dispatch_id 0
		.amdhsa_user_sgpr_private_segment_size 0
		.amdhsa_wavefront_size32 1
		.amdhsa_uses_dynamic_stack 0
		.amdhsa_enable_private_segment 0
		.amdhsa_system_sgpr_workgroup_id_x 1
		.amdhsa_system_sgpr_workgroup_id_y 0
		.amdhsa_system_sgpr_workgroup_id_z 0
		.amdhsa_system_sgpr_workgroup_info 0
		.amdhsa_system_vgpr_workitem_id 2
		.amdhsa_next_free_vgpr 34
		.amdhsa_next_free_sgpr 18
		.amdhsa_reserve_vcc 1
		.amdhsa_float_round_mode_32 0
		.amdhsa_float_round_mode_16_64 0
		.amdhsa_float_denorm_mode_32 3
		.amdhsa_float_denorm_mode_16_64 3
		.amdhsa_dx10_clamp 1
		.amdhsa_ieee_mode 1
		.amdhsa_fp16_overflow 0
		.amdhsa_workgroup_processor_mode 1
		.amdhsa_memory_ordered 1
		.amdhsa_forward_progress 0
		.amdhsa_shared_vgpr_count 0
		.amdhsa_exception_fp_ieee_invalid_op 0
		.amdhsa_exception_fp_denorm_src 0
		.amdhsa_exception_fp_ieee_div_zero 0
		.amdhsa_exception_fp_ieee_overflow 0
		.amdhsa_exception_fp_ieee_underflow 0
		.amdhsa_exception_fp_ieee_inexact 0
		.amdhsa_exception_int_div_zero 0
	.end_amdhsa_kernel
	.section	.text._ZN9rocsparseL41csrmvn_lrb_medium_rows_warp_reduce_kernelILj256ELj64Ell21rocsparse_complex_numIfES1_IdES3_S3_EEvbT1_lPT2_S6_jNS_24const_host_device_scalarIT6_EEPKS4_PKS5_PKT3_PKT4_S9_PT5_21rocsparse_index_base_b,"axG",@progbits,_ZN9rocsparseL41csrmvn_lrb_medium_rows_warp_reduce_kernelILj256ELj64Ell21rocsparse_complex_numIfES1_IdES3_S3_EEvbT1_lPT2_S6_jNS_24const_host_device_scalarIT6_EEPKS4_PKS5_PKT3_PKT4_S9_PT5_21rocsparse_index_base_b,comdat
.Lfunc_end221:
	.size	_ZN9rocsparseL41csrmvn_lrb_medium_rows_warp_reduce_kernelILj256ELj64Ell21rocsparse_complex_numIfES1_IdES3_S3_EEvbT1_lPT2_S6_jNS_24const_host_device_scalarIT6_EEPKS4_PKS5_PKT3_PKT4_S9_PT5_21rocsparse_index_base_b, .Lfunc_end221-_ZN9rocsparseL41csrmvn_lrb_medium_rows_warp_reduce_kernelILj256ELj64Ell21rocsparse_complex_numIfES1_IdES3_S3_EEvbT1_lPT2_S6_jNS_24const_host_device_scalarIT6_EEPKS4_PKS5_PKT3_PKT4_S9_PT5_21rocsparse_index_base_b
                                        ; -- End function
	.section	.AMDGPU.csdata,"",@progbits
; Kernel info:
; codeLenInByte = 1600
; NumSgprs: 20
; NumVgprs: 34
; ScratchSize: 0
; MemoryBound: 0
; FloatMode: 240
; IeeeMode: 1
; LDSByteSize: 4096 bytes/workgroup (compile time only)
; SGPRBlocks: 2
; VGPRBlocks: 4
; NumSGPRsForWavesPerEU: 20
; NumVGPRsForWavesPerEU: 34
; Occupancy: 16
; WaveLimiterHint : 1
; COMPUTE_PGM_RSRC2:SCRATCH_EN: 0
; COMPUTE_PGM_RSRC2:USER_SGPR: 15
; COMPUTE_PGM_RSRC2:TRAP_HANDLER: 0
; COMPUTE_PGM_RSRC2:TGID_X_EN: 1
; COMPUTE_PGM_RSRC2:TGID_Y_EN: 0
; COMPUTE_PGM_RSRC2:TGID_Z_EN: 0
; COMPUTE_PGM_RSRC2:TIDIG_COMP_CNT: 2
	.section	.text._ZN9rocsparseL29csrmvn_lrb_medium_rows_kernelILj256Ell21rocsparse_complex_numIfES1_IdES3_S3_EEvbT0_PT1_S6_jNS_24const_host_device_scalarIT5_EEPKS4_PKS5_PKT2_PKT3_S9_PT4_21rocsparse_index_base_b,"axG",@progbits,_ZN9rocsparseL29csrmvn_lrb_medium_rows_kernelILj256Ell21rocsparse_complex_numIfES1_IdES3_S3_EEvbT0_PT1_S6_jNS_24const_host_device_scalarIT5_EEPKS4_PKS5_PKT2_PKT3_S9_PT4_21rocsparse_index_base_b,comdat
	.globl	_ZN9rocsparseL29csrmvn_lrb_medium_rows_kernelILj256Ell21rocsparse_complex_numIfES1_IdES3_S3_EEvbT0_PT1_S6_jNS_24const_host_device_scalarIT5_EEPKS4_PKS5_PKT2_PKT3_S9_PT4_21rocsparse_index_base_b ; -- Begin function _ZN9rocsparseL29csrmvn_lrb_medium_rows_kernelILj256Ell21rocsparse_complex_numIfES1_IdES3_S3_EEvbT0_PT1_S6_jNS_24const_host_device_scalarIT5_EEPKS4_PKS5_PKT2_PKT3_S9_PT4_21rocsparse_index_base_b
	.p2align	8
	.type	_ZN9rocsparseL29csrmvn_lrb_medium_rows_kernelILj256Ell21rocsparse_complex_numIfES1_IdES3_S3_EEvbT0_PT1_S6_jNS_24const_host_device_scalarIT5_EEPKS4_PKS5_PKT2_PKT3_S9_PT4_21rocsparse_index_base_b,@function
_ZN9rocsparseL29csrmvn_lrb_medium_rows_kernelILj256Ell21rocsparse_complex_numIfES1_IdES3_S3_EEvbT0_PT1_S6_jNS_24const_host_device_scalarIT5_EEPKS4_PKS5_PKT2_PKT3_S9_PT4_21rocsparse_index_base_b: ; @_ZN9rocsparseL29csrmvn_lrb_medium_rows_kernelILj256Ell21rocsparse_complex_numIfES1_IdES3_S3_EEvbT0_PT1_S6_jNS_24const_host_device_scalarIT5_EEPKS4_PKS5_PKT2_PKT3_S9_PT4_21rocsparse_index_base_b
; %bb.0:
	s_clause 0x1
	s_load_b64 s[12:13], s[2:3], 0x70
	s_load_b128 s[4:7], s[2:3], 0x28
	s_load_b64 s[16:17], s[0:1], 0x4
	s_mov_b64 s[0:1], src_shared_base
	v_and_b32_e32 v18, 0x3ff, v0
	s_mov_b32 s14, s15
	s_load_b128 s[8:11], s[2:3], 0x58
	v_bfe_u32 v2, v0, 10, 10
	v_bfe_u32 v0, v0, 20, 10
	s_waitcnt lgkmcnt(0)
	s_bitcmp1_b32 s13, 0
	v_mov_b32_e32 v11, s7
	s_cselect_b32 s0, -1, 0
	v_mov_b32_e32 v10, s6
	s_and_b32 vcc_lo, s0, exec_lo
	s_cselect_b32 s13, s1, s5
	s_lshr_b32 s15, s16, 16
	s_xor_b32 s6, s0, -1
	s_mul_i32 s15, s15, s17
	v_mov_b32_e32 v5, s13
	v_mul_lo_u32 v1, s15, v18
	s_delay_alu instid0(VALU_DEP_1) | instskip(SKIP_1) | instid1(VALU_DEP_2)
	v_mad_u32_u24 v1, v2, s17, v1
	v_dual_mov_b32 v2, s8 :: v_dual_mov_b32 v3, s9
	v_add_lshl_u32 v6, v1, v0, 3
	v_dual_mov_b32 v0, s4 :: v_dual_mov_b32 v1, s5
	s_delay_alu instid0(VALU_DEP_2)
	v_add_nc_u32_e32 v4, 0x1800, v6
	ds_store_2addr_stride64_b64 v6, v[2:3], v[0:1] offset0:8 offset1:12
	v_add_nc_u32_e32 v0, 0x1000, v6
	v_cndmask_b32_e64 v4, s4, v4, s0
	flat_load_b64 v[8:9], v[4:5]
	s_cbranch_vccnz .LBB222_2
; %bb.1:
	v_dual_mov_b32 v1, s4 :: v_dual_mov_b32 v2, s5
	flat_load_b64 v[10:11], v[1:2] offset:8
.LBB222_2:
	s_and_b32 s4, s0, exec_lo
	s_cselect_b32 s1, s1, s9
	v_cndmask_b32_e64 v0, s8, v0, s0
	v_dual_mov_b32 v1, s1 :: v_dual_mov_b32 v6, s10
	v_mov_b32_e32 v7, s11
	s_and_not1_b32 vcc_lo, exec_lo, s6
	flat_load_b64 v[4:5], v[0:1]
	s_cbranch_vccnz .LBB222_4
; %bb.3:
	v_dual_mov_b32 v0, s8 :: v_dual_mov_b32 v1, s9
	flat_load_b64 v[6:7], v[0:1] offset:8
.LBB222_4:
	s_waitcnt vmcnt(1) lgkmcnt(1)
	v_cmp_eq_f64_e32 vcc_lo, 0, v[8:9]
	v_cmp_eq_f64_e64 s0, 0, v[10:11]
	s_delay_alu instid0(VALU_DEP_1)
	s_and_b32 s4, vcc_lo, s0
	s_mov_b32 s0, -1
	s_and_saveexec_b32 s1, s4
	s_cbranch_execz .LBB222_6
; %bb.5:
	s_waitcnt vmcnt(0) lgkmcnt(0)
	v_cmp_neq_f64_e32 vcc_lo, 1.0, v[4:5]
	v_cmp_neq_f64_e64 s0, 0, v[6:7]
	s_delay_alu instid0(VALU_DEP_1) | instskip(NEXT) | instid1(SALU_CYCLE_1)
	s_or_b32 s0, vcc_lo, s0
	s_or_not1_b32 s0, s0, exec_lo
.LBB222_6:
	s_or_b32 exec_lo, exec_lo, s1
	s_and_saveexec_b32 s1, s0
	s_cbranch_execz .LBB222_31
; %bb.7:
	s_clause 0x1
	s_load_b32 s0, s[2:3], 0x20
	s_load_b128 s[4:7], s[2:3], 0x10
	s_mov_b32 s1, 0
	v_mov_b32_e32 v2, 0
	v_mov_b32_e32 v3, 0
	s_waitcnt lgkmcnt(0)
	s_lshl_b64 s[8:9], s[0:1], 3
	s_delay_alu instid0(SALU_CYCLE_1)
	s_add_u32 s6, s6, s8
	s_addc_u32 s7, s7, s9
	s_ashr_i32 s15, s14, 31
	s_load_b64 s[6:7], s[6:7], 0x0
	s_waitcnt lgkmcnt(0)
	s_lshl_b64 s[6:7], s[6:7], 3
	s_delay_alu instid0(SALU_CYCLE_1) | instskip(SKIP_2) | instid1(SALU_CYCLE_1)
	s_add_u32 s0, s4, s6
	s_addc_u32 s6, s5, s7
	s_lshl_b64 s[4:5], s[14:15], 3
	s_add_u32 s4, s0, s4
	s_addc_u32 s5, s6, s5
	s_load_b64 s[4:5], s[4:5], 0x0
	s_load_b64 s[6:7], s[2:3], 0x38
	v_sub_co_u32 v0, s0, v18, s12
	s_delay_alu instid0(VALU_DEP_1) | instskip(SKIP_2) | instid1(SALU_CYCLE_1)
	v_sub_co_ci_u32_e64 v1, null, 0, 0, s0
	s_waitcnt lgkmcnt(0)
	s_lshl_b64 s[8:9], s[4:5], 3
	s_add_u32 s6, s6, s8
	s_addc_u32 s7, s7, s9
	s_load_b128 s[8:11], s[6:7], 0x0
	s_load_b64 s[6:7], s[2:3], 0x68
	s_waitcnt lgkmcnt(0)
	v_add_co_u32 v12, vcc_lo, s8, v0
	v_add_co_ci_u32_e32 v13, vcc_lo, s9, v1, vcc_lo
	v_dual_mov_b32 v0, v2 :: v_dual_mov_b32 v1, v3
	s_sub_u32 s8, s10, s12
	s_subb_u32 s9, s11, 0
	s_mov_b32 s10, exec_lo
	v_cmpx_gt_i64_e64 s[8:9], v[12:13]
	s_cbranch_execz .LBB222_11
; %bb.8:
	s_clause 0x2
	s_load_b128 s[16:19], s[2:3], 0x40
	s_load_b32 s0, s[2:3], 0x0
	s_load_b64 s[2:3], s[2:3], 0x50
	v_lshlrev_b64 v[0:1], 3, v[12:13]
	v_mov_b32_e32 v2, 0
	v_mov_b32_e32 v3, 0
	s_waitcnt lgkmcnt(0)
	s_delay_alu instid0(VALU_DEP_3) | instskip(NEXT) | instid1(VALU_DEP_4)
	v_add_co_u32 v16, vcc_lo, v0, s18
	v_add_co_ci_u32_e32 v17, vcc_lo, s19, v1, vcc_lo
	v_add_co_u32 v14, vcc_lo, s16, v0
	v_add_co_ci_u32_e32 v15, vcc_lo, s17, v1, vcc_lo
	s_delay_alu instid0(VALU_DEP_4) | instskip(NEXT) | instid1(VALU_DEP_4)
	v_add_co_u32 v16, vcc_lo, v16, 4
	v_add_co_ci_u32_e32 v17, vcc_lo, 0, v17, vcc_lo
	v_dual_mov_b32 v0, v2 :: v_dual_mov_b32 v1, v3
	s_bitcmp1_b32 s0, 0
	s_cselect_b32 s11, -1, 0
.LBB222_9:                              ; =>This Inner Loop Header: Depth=1
	global_load_b64 v[19:20], v[14:15], off
	global_load_b64 v[23:24], v[16:17], off offset:-4
	v_add_co_u32 v14, s0, 0x800, v14
	s_delay_alu instid0(VALU_DEP_1)
	v_add_co_ci_u32_e64 v15, s0, 0, v15, s0
	s_waitcnt vmcnt(1)
	v_sub_co_u32 v19, vcc_lo, v19, s12
	v_subrev_co_ci_u32_e32 v20, vcc_lo, 0, v20, vcc_lo
	s_waitcnt vmcnt(0)
	v_cndmask_b32_e64 v24, v24, -v24, s11
	v_cvt_f64_f32_e32 v[26:27], v23
	s_delay_alu instid0(VALU_DEP_3) | instskip(NEXT) | instid1(VALU_DEP_3)
	v_lshlrev_b64 v[19:20], 4, v[19:20]
	v_cvt_f64_f32_e32 v[24:25], v24
	s_delay_alu instid0(VALU_DEP_2) | instskip(NEXT) | instid1(VALU_DEP_3)
	v_add_co_u32 v19, vcc_lo, s2, v19
	v_add_co_ci_u32_e32 v20, vcc_lo, s3, v20, vcc_lo
	v_add_co_u32 v12, vcc_lo, 0x100, v12
	v_add_co_ci_u32_e32 v13, vcc_lo, 0, v13, vcc_lo
	global_load_b128 v[19:22], v[19:20], off
	v_add_co_u32 v16, vcc_lo, 0x800, v16
	v_add_co_ci_u32_e32 v17, vcc_lo, 0, v17, vcc_lo
	v_cmp_le_i64_e32 vcc_lo, s[8:9], v[12:13]
	s_or_b32 s1, vcc_lo, s1
	v_mul_f64 v[28:29], -v[10:11], v[24:25]
	v_mul_f64 v[23:24], v[8:9], v[24:25]
	s_delay_alu instid0(VALU_DEP_2) | instskip(NEXT) | instid1(VALU_DEP_2)
	v_fma_f64 v[28:29], v[8:9], v[26:27], v[28:29]
	v_fma_f64 v[23:24], v[10:11], v[26:27], v[23:24]
	s_waitcnt vmcnt(0)
	s_delay_alu instid0(VALU_DEP_2) | instskip(NEXT) | instid1(VALU_DEP_2)
	v_fma_f64 v[0:1], v[28:29], v[19:20], v[0:1]
	v_fma_f64 v[2:3], v[23:24], v[19:20], v[2:3]
	s_delay_alu instid0(VALU_DEP_2) | instskip(NEXT) | instid1(VALU_DEP_2)
	v_fma_f64 v[0:1], -v[23:24], v[21:22], v[0:1]
	v_fma_f64 v[2:3], v[28:29], v[21:22], v[2:3]
	s_and_not1_b32 exec_lo, exec_lo, s1
	s_cbranch_execnz .LBB222_9
; %bb.10:
	s_or_b32 exec_lo, exec_lo, s1
.LBB222_11:
	s_delay_alu instid0(SALU_CYCLE_1)
	s_or_b32 exec_lo, exec_lo, s10
	v_lshlrev_b32_e32 v8, 4, v18
	s_mov_b32 s0, exec_lo
	ds_store_b128 v8, v[0:3]
	s_waitcnt vmcnt(0) lgkmcnt(0)
	s_barrier
	buffer_gl0_inv
	v_cmpx_gt_u32_e32 0x80, v18
	s_cbranch_execz .LBB222_13
; %bb.12:
	ds_load_b128 v[0:3], v8 offset:2048
	ds_load_b128 v[9:12], v8
	s_waitcnt lgkmcnt(0)
	v_add_f64 v[0:1], v[0:1], v[9:10]
	v_add_f64 v[2:3], v[2:3], v[11:12]
	ds_store_b128 v8, v[0:3]
.LBB222_13:
	s_or_b32 exec_lo, exec_lo, s0
	s_delay_alu instid0(SALU_CYCLE_1)
	s_mov_b32 s0, exec_lo
	s_waitcnt lgkmcnt(0)
	s_barrier
	buffer_gl0_inv
	v_cmpx_gt_u32_e32 64, v18
	s_cbranch_execz .LBB222_15
; %bb.14:
	ds_load_b128 v[0:3], v8 offset:1024
	ds_load_b128 v[9:12], v8
	s_waitcnt lgkmcnt(0)
	v_add_f64 v[0:1], v[0:1], v[9:10]
	v_add_f64 v[2:3], v[2:3], v[11:12]
	ds_store_b128 v8, v[0:3]
.LBB222_15:
	s_or_b32 exec_lo, exec_lo, s0
	s_delay_alu instid0(SALU_CYCLE_1)
	s_mov_b32 s0, exec_lo
	s_waitcnt lgkmcnt(0)
	;; [unrolled: 16-line block ×6, first 2 shown]
	s_barrier
	buffer_gl0_inv
	v_cmpx_gt_u32_e32 2, v18
	s_cbranch_execz .LBB222_25
; %bb.24:
	ds_load_b128 v[0:3], v8
	ds_load_b128 v[9:12], v8 offset:32
	s_waitcnt lgkmcnt(0)
	v_add_f64 v[0:1], v[9:10], v[0:1]
	v_add_f64 v[2:3], v[11:12], v[2:3]
	ds_store_b128 v8, v[0:3]
.LBB222_25:
	s_or_b32 exec_lo, exec_lo, s0
	v_cmp_eq_u32_e32 vcc_lo, 0, v18
	s_waitcnt lgkmcnt(0)
	s_barrier
	buffer_gl0_inv
	s_and_saveexec_b32 s0, vcc_lo
	s_cbranch_execz .LBB222_27
; %bb.26:
	v_mov_b32_e32 v12, 0
	ds_load_b128 v[0:3], v12
	ds_load_b128 v[8:11], v12 offset:16
	s_waitcnt lgkmcnt(0)
	v_add_f64 v[0:1], v[8:9], v[0:1]
	v_add_f64 v[2:3], v[10:11], v[2:3]
	ds_store_b128 v12, v[0:3]
.LBB222_27:
	s_or_b32 exec_lo, exec_lo, s0
	s_waitcnt lgkmcnt(0)
	s_barrier
	buffer_gl0_inv
	s_and_b32 exec_lo, exec_lo, vcc_lo
	s_cbranch_execz .LBB222_31
; %bb.28:
	v_cmp_neq_f64_e32 vcc_lo, 0, v[4:5]
	v_cmp_neq_f64_e64 s0, 0, v[6:7]
	v_mov_b32_e32 v8, 0
	ds_load_b128 v[0:3], v8
	s_or_b32 s1, vcc_lo, s0
	s_delay_alu instid0(SALU_CYCLE_1)
	s_and_saveexec_b32 s0, s1
	s_cbranch_execz .LBB222_30
; %bb.29:
	s_lshl_b64 s[2:3], s[4:5], 4
	s_delay_alu instid0(SALU_CYCLE_1)
	s_add_u32 s2, s6, s2
	s_addc_u32 s3, s7, s3
	s_load_b128 s[8:11], s[2:3], 0x0
	s_waitcnt lgkmcnt(0)
	v_fma_f64 v[0:1], v[4:5], s[8:9], v[0:1]
	v_fma_f64 v[2:3], v[6:7], s[8:9], v[2:3]
	s_delay_alu instid0(VALU_DEP_2) | instskip(NEXT) | instid1(VALU_DEP_2)
	v_fma_f64 v[0:1], -v[6:7], s[10:11], v[0:1]
	v_fma_f64 v[2:3], v[4:5], s[10:11], v[2:3]
.LBB222_30:
	s_or_b32 exec_lo, exec_lo, s0
	s_lshl_b64 s[0:1], s[4:5], 4
	s_delay_alu instid0(SALU_CYCLE_1)
	s_add_u32 s0, s6, s0
	s_addc_u32 s1, s7, s1
	s_waitcnt lgkmcnt(0)
	global_store_b128 v8, v[0:3], s[0:1]
.LBB222_31:
	s_nop 0
	s_sendmsg sendmsg(MSG_DEALLOC_VGPRS)
	s_endpgm
	.section	.rodata,"a",@progbits
	.p2align	6, 0x0
	.amdhsa_kernel _ZN9rocsparseL29csrmvn_lrb_medium_rows_kernelILj256Ell21rocsparse_complex_numIfES1_IdES3_S3_EEvbT0_PT1_S6_jNS_24const_host_device_scalarIT5_EEPKS4_PKS5_PKT2_PKT3_S9_PT4_21rocsparse_index_base_b
		.amdhsa_group_segment_fixed_size 8192
		.amdhsa_private_segment_fixed_size 0
		.amdhsa_kernarg_size 120
		.amdhsa_user_sgpr_count 15
		.amdhsa_user_sgpr_dispatch_ptr 1
		.amdhsa_user_sgpr_queue_ptr 0
		.amdhsa_user_sgpr_kernarg_segment_ptr 1
		.amdhsa_user_sgpr_dispatch_id 0
		.amdhsa_user_sgpr_private_segment_size 0
		.amdhsa_wavefront_size32 1
		.amdhsa_uses_dynamic_stack 0
		.amdhsa_enable_private_segment 0
		.amdhsa_system_sgpr_workgroup_id_x 1
		.amdhsa_system_sgpr_workgroup_id_y 0
		.amdhsa_system_sgpr_workgroup_id_z 0
		.amdhsa_system_sgpr_workgroup_info 0
		.amdhsa_system_vgpr_workitem_id 2
		.amdhsa_next_free_vgpr 30
		.amdhsa_next_free_sgpr 20
		.amdhsa_reserve_vcc 1
		.amdhsa_float_round_mode_32 0
		.amdhsa_float_round_mode_16_64 0
		.amdhsa_float_denorm_mode_32 3
		.amdhsa_float_denorm_mode_16_64 3
		.amdhsa_dx10_clamp 1
		.amdhsa_ieee_mode 1
		.amdhsa_fp16_overflow 0
		.amdhsa_workgroup_processor_mode 1
		.amdhsa_memory_ordered 1
		.amdhsa_forward_progress 0
		.amdhsa_shared_vgpr_count 0
		.amdhsa_exception_fp_ieee_invalid_op 0
		.amdhsa_exception_fp_denorm_src 0
		.amdhsa_exception_fp_ieee_div_zero 0
		.amdhsa_exception_fp_ieee_overflow 0
		.amdhsa_exception_fp_ieee_underflow 0
		.amdhsa_exception_fp_ieee_inexact 0
		.amdhsa_exception_int_div_zero 0
	.end_amdhsa_kernel
	.section	.text._ZN9rocsparseL29csrmvn_lrb_medium_rows_kernelILj256Ell21rocsparse_complex_numIfES1_IdES3_S3_EEvbT0_PT1_S6_jNS_24const_host_device_scalarIT5_EEPKS4_PKS5_PKT2_PKT3_S9_PT4_21rocsparse_index_base_b,"axG",@progbits,_ZN9rocsparseL29csrmvn_lrb_medium_rows_kernelILj256Ell21rocsparse_complex_numIfES1_IdES3_S3_EEvbT0_PT1_S6_jNS_24const_host_device_scalarIT5_EEPKS4_PKS5_PKT2_PKT3_S9_PT4_21rocsparse_index_base_b,comdat
.Lfunc_end222:
	.size	_ZN9rocsparseL29csrmvn_lrb_medium_rows_kernelILj256Ell21rocsparse_complex_numIfES1_IdES3_S3_EEvbT0_PT1_S6_jNS_24const_host_device_scalarIT5_EEPKS4_PKS5_PKT2_PKT3_S9_PT4_21rocsparse_index_base_b, .Lfunc_end222-_ZN9rocsparseL29csrmvn_lrb_medium_rows_kernelILj256Ell21rocsparse_complex_numIfES1_IdES3_S3_EEvbT0_PT1_S6_jNS_24const_host_device_scalarIT5_EEPKS4_PKS5_PKT2_PKT3_S9_PT4_21rocsparse_index_base_b
                                        ; -- End function
	.section	.AMDGPU.csdata,"",@progbits
; Kernel info:
; codeLenInByte = 1752
; NumSgprs: 22
; NumVgprs: 30
; ScratchSize: 0
; MemoryBound: 0
; FloatMode: 240
; IeeeMode: 1
; LDSByteSize: 8192 bytes/workgroup (compile time only)
; SGPRBlocks: 2
; VGPRBlocks: 3
; NumSGPRsForWavesPerEU: 22
; NumVGPRsForWavesPerEU: 30
; Occupancy: 16
; WaveLimiterHint : 1
; COMPUTE_PGM_RSRC2:SCRATCH_EN: 0
; COMPUTE_PGM_RSRC2:USER_SGPR: 15
; COMPUTE_PGM_RSRC2:TRAP_HANDLER: 0
; COMPUTE_PGM_RSRC2:TGID_X_EN: 1
; COMPUTE_PGM_RSRC2:TGID_Y_EN: 0
; COMPUTE_PGM_RSRC2:TGID_Z_EN: 0
; COMPUTE_PGM_RSRC2:TIDIG_COMP_CNT: 2
	.section	.text._ZN9rocsparseL27csrmvn_lrb_long_rows_kernelIll21rocsparse_complex_numIfES1_IdES3_S3_EEvbT_PjPT0_S7_jNS_24const_host_device_scalarIT4_EEPKS4_PKS6_PKT1_PKT2_SA_PT3_21rocsparse_index_base_b,"axG",@progbits,_ZN9rocsparseL27csrmvn_lrb_long_rows_kernelIll21rocsparse_complex_numIfES1_IdES3_S3_EEvbT_PjPT0_S7_jNS_24const_host_device_scalarIT4_EEPKS4_PKS6_PKT1_PKT2_SA_PT3_21rocsparse_index_base_b,comdat
	.globl	_ZN9rocsparseL27csrmvn_lrb_long_rows_kernelIll21rocsparse_complex_numIfES1_IdES3_S3_EEvbT_PjPT0_S7_jNS_24const_host_device_scalarIT4_EEPKS4_PKS6_PKT1_PKT2_SA_PT3_21rocsparse_index_base_b ; -- Begin function _ZN9rocsparseL27csrmvn_lrb_long_rows_kernelIll21rocsparse_complex_numIfES1_IdES3_S3_EEvbT_PjPT0_S7_jNS_24const_host_device_scalarIT4_EEPKS4_PKS6_PKT1_PKT2_SA_PT3_21rocsparse_index_base_b
	.p2align	8
	.type	_ZN9rocsparseL27csrmvn_lrb_long_rows_kernelIll21rocsparse_complex_numIfES1_IdES3_S3_EEvbT_PjPT0_S7_jNS_24const_host_device_scalarIT4_EEPKS4_PKS6_PKT1_PKT2_SA_PT3_21rocsparse_index_base_b,@function
_ZN9rocsparseL27csrmvn_lrb_long_rows_kernelIll21rocsparse_complex_numIfES1_IdES3_S3_EEvbT_PjPT0_S7_jNS_24const_host_device_scalarIT4_EEPKS4_PKS6_PKT1_PKT2_SA_PT3_21rocsparse_index_base_b: ; @_ZN9rocsparseL27csrmvn_lrb_long_rows_kernelIll21rocsparse_complex_numIfES1_IdES3_S3_EEvbT_PjPT0_S7_jNS_24const_host_device_scalarIT4_EEPKS4_PKS6_PKT1_PKT2_SA_PT3_21rocsparse_index_base_b
; %bb.0:
	s_mov_b32 s12, s15
	s_clause 0x1
	s_load_b64 s[22:23], s[2:3], 0x78
	s_load_b128 s[4:7], s[2:3], 0x30
	s_load_b64 s[14:15], s[0:1], 0x4
	s_mov_b64 s[0:1], src_shared_base
	v_and_b32_e32 v14, 0x3ff, v0
	s_load_b128 s[8:11], s[2:3], 0x60
	v_bfe_u32 v2, v0, 10, 10
	v_bfe_u32 v0, v0, 20, 10
	s_waitcnt lgkmcnt(0)
	s_bitcmp1_b32 s23, 0
	s_cselect_b32 s0, -1, 0
	s_delay_alu instid0(SALU_CYCLE_1) | instskip(SKIP_4) | instid1(SALU_CYCLE_1)
	s_and_b32 vcc_lo, s0, exec_lo
	s_cselect_b32 s13, s1, s5
	s_lshr_b32 s14, s14, 16
	v_mov_b32_e32 v5, s13
	s_mul_i32 s14, s14, s15
	v_mul_lo_u32 v1, s14, v14
	s_delay_alu instid0(VALU_DEP_1) | instskip(SKIP_1) | instid1(VALU_DEP_2)
	v_mad_u32_u24 v1, v2, s15, v1
	v_dual_mov_b32 v2, s8 :: v_dual_mov_b32 v3, s9
	v_add_lshl_u32 v6, v1, v0, 3
	v_dual_mov_b32 v0, s4 :: v_dual_mov_b32 v1, s5
	s_delay_alu instid0(VALU_DEP_2)
	v_add_nc_u32_e32 v4, 0x1800, v6
	ds_store_2addr_stride64_b64 v6, v[2:3], v[0:1] offset0:8 offset1:12
	v_add_nc_u32_e32 v0, 0x1000, v6
	v_mov_b32_e32 v6, s6
	v_cndmask_b32_e64 v4, s4, v4, s0
	v_mov_b32_e32 v7, s7
	s_xor_b32 s6, s0, -1
	flat_load_b64 v[4:5], v[4:5]
	s_cbranch_vccnz .LBB223_2
; %bb.1:
	v_dual_mov_b32 v1, s4 :: v_dual_mov_b32 v2, s5
	flat_load_b64 v[6:7], v[1:2] offset:8
.LBB223_2:
	s_and_b32 s4, s0, exec_lo
	s_cselect_b32 s1, s1, s9
	v_cndmask_b32_e64 v0, s8, v0, s0
	v_dual_mov_b32 v1, s1 :: v_dual_mov_b32 v8, s10
	v_mov_b32_e32 v9, s11
	s_and_not1_b32 vcc_lo, exec_lo, s6
	flat_load_b64 v[10:11], v[0:1]
	s_cbranch_vccnz .LBB223_4
; %bb.3:
	v_dual_mov_b32 v0, s8 :: v_dual_mov_b32 v1, s9
	flat_load_b64 v[8:9], v[0:1] offset:8
.LBB223_4:
	s_waitcnt vmcnt(1) lgkmcnt(1)
	v_cmp_eq_f64_e32 vcc_lo, 0, v[4:5]
	v_cmp_eq_f64_e64 s0, 0, v[6:7]
	s_delay_alu instid0(VALU_DEP_1)
	s_and_b32 s4, vcc_lo, s0
	s_mov_b32 s0, -1
	s_and_saveexec_b32 s1, s4
	s_cbranch_execz .LBB223_6
; %bb.5:
	s_waitcnt vmcnt(0) lgkmcnt(0)
	v_cmp_neq_f64_e32 vcc_lo, 1.0, v[10:11]
	v_cmp_neq_f64_e64 s0, 0, v[8:9]
	s_delay_alu instid0(VALU_DEP_1) | instskip(NEXT) | instid1(SALU_CYCLE_1)
	s_or_b32 s0, vcc_lo, s0
	s_or_not1_b32 s0, s0, exec_lo
.LBB223_6:
	s_or_b32 exec_lo, exec_lo, s1
	s_and_saveexec_b32 s1, s0
	s_cbranch_execz .LBB223_44
; %bb.7:
	s_clause 0x1
	s_load_b32 s8, s[2:3], 0x28
	s_load_b64 s[0:1], s[2:3], 0x20
	s_mov_b32 s9, 0
	s_load_b64 s[16:17], s[2:3], 0x70
	s_waitcnt lgkmcnt(0)
	s_lshl_b64 s[4:5], s[8:9], 3
	s_delay_alu instid0(SALU_CYCLE_1) | instskip(SKIP_4) | instid1(SALU_CYCLE_1)
	s_add_u32 s0, s0, s4
	s_addc_u32 s1, s1, s5
	s_lshl_b32 s4, -1, s8
	s_load_b64 s[0:1], s[0:1], 0x0
	s_not_b32 s4, s4
	s_mul_hi_u32 s4, s4, 0x2aaaaaab
	s_delay_alu instid0(SALU_CYCLE_1) | instskip(NEXT) | instid1(SALU_CYCLE_1)
	s_lshr_b32 s4, s4, 7
	s_add_i32 s10, s4, 1
	s_not_b32 s4, s4
	v_cvt_f32_u32_e32 v0, s10
	s_delay_alu instid0(VALU_DEP_1) | instskip(SKIP_2) | instid1(VALU_DEP_1)
	v_rcp_iflag_f32_e32 v0, v0
	s_waitcnt_depctr 0xfff
	v_mul_f32_e32 v0, 0x4f7ffffe, v0
	v_cvt_u32_f32_e32 v0, v0
	s_delay_alu instid0(VALU_DEP_1) | instskip(SKIP_2) | instid1(VALU_DEP_3)
	v_readfirstlane_b32 s5, v0
	v_mov_b32_e32 v0, 0
	v_mov_b32_e32 v1, 0
	s_mul_i32 s4, s4, s5
	s_delay_alu instid0(SALU_CYCLE_1) | instskip(NEXT) | instid1(SALU_CYCLE_1)
	s_mul_hi_u32 s4, s5, s4
	s_add_i32 s8, s5, s4
	s_load_b128 s[4:7], s[2:3], 0x10
	s_mul_hi_u32 s8, s12, s8
	s_delay_alu instid0(SALU_CYCLE_1) | instskip(SKIP_2) | instid1(SALU_CYCLE_1)
	s_mul_i32 s11, s8, s10
	s_add_i32 s13, s8, 1
	s_sub_i32 s11, s12, s11
	s_sub_i32 s14, s11, s10
	s_cmp_ge_u32 s11, s10
	s_cselect_b32 s8, s13, s8
	s_cselect_b32 s11, s14, s11
	s_add_i32 s13, s8, 1
	s_cmp_ge_u32 s11, s10
	s_cselect_b32 s8, s13, s8
	s_delay_alu instid0(SALU_CYCLE_1)
	s_mul_i32 s13, s8, s10
	s_waitcnt lgkmcnt(0)
	s_lshl_b64 s[10:11], s[0:1], 3
	s_sub_i32 s1, s12, s13
	s_add_u32 s0, s6, s10
	s_addc_u32 s10, s7, s11
	s_lshl_b64 s[6:7], s[8:9], 3
	v_or_b32_e32 v2, s1, v14
	s_add_u32 s6, s0, s6
	s_addc_u32 s7, s10, s7
	s_load_b64 s[6:7], s[6:7], 0x0
	s_load_b64 s[8:9], s[2:3], 0x40
	v_cmp_eq_u32_e32 vcc_lo, 0, v2
	v_dual_mov_b32 v3, v1 :: v_dual_mov_b32 v2, v0
	s_waitcnt lgkmcnt(0)
	s_lshl_b64 s[10:11], s[6:7], 3
	s_delay_alu instid0(SALU_CYCLE_1)
	s_add_u32 s8, s8, s10
	s_addc_u32 s9, s9, s11
	s_ashr_i32 s13, s12, 31
	s_sub_u32 s20, s12, s1
	s_subb_u32 s21, s13, 0
	s_lshl_b64 s[10:11], s[12:13], 2
	s_delay_alu instid0(SALU_CYCLE_1)
	s_add_u32 s18, s4, s10
	s_addc_u32 s19, s5, s11
	s_load_b128 s[8:11], s[8:9], 0x0
	s_load_b32 s23, s[18:19], 0x0
	s_and_saveexec_b32 s0, vcc_lo
	s_cbranch_execz .LBB223_11
; %bb.8:
	s_waitcnt vmcnt(0)
	v_add_f64 v[0:1], v[10:11], -1.0
	s_lshl_b64 s[12:13], s[6:7], 4
	s_mov_b32 s24, exec_lo
	s_add_u32 s12, s16, s12
	s_addc_u32 s13, s17, s13
	v_mbcnt_lo_u32_b32 v12, s24, 0
	s_load_b128 s[12:15], s[12:13], 0x0
	s_waitcnt vmcnt(0) expcnt(0) lgkmcnt(0)
	v_mul_f64 v[2:3], s[14:15], -v[8:9]
	s_delay_alu instid0(VALU_DEP_3)
	v_mul_f64 v[10:11], v[0:1], s[14:15]
	s_mov_b32 s14, exec_lo
	v_cmpx_eq_u32_e32 0, v12
	s_cbranch_execz .LBB223_10
; %bb.9:
	s_lshl_b64 s[26:27], s[20:21], 2
	s_delay_alu instid0(SALU_CYCLE_1) | instskip(SKIP_2) | instid1(SALU_CYCLE_1)
	s_add_u32 s26, s4, s26
	s_addc_u32 s27, s5, s27
	s_bcnt1_i32_b32 s15, s24
	s_and_b32 s15, s15, 1
	s_delay_alu instid0(SALU_CYCLE_1)
	v_dual_mov_b32 v12, 0 :: v_dual_mov_b32 v13, s15
	global_atomic_xor_b32 v12, v13, s[26:27]
.LBB223_10:
	s_or_b32 exec_lo, exec_lo, s14
	s_delay_alu instid0(VALU_DEP_3) | instskip(NEXT) | instid1(VALU_DEP_3)
	v_fma_f64 v[0:1], v[0:1], s[12:13], v[2:3]
	v_fma_f64 v[2:3], v[8:9], s[12:13], v[10:11]
.LBB223_11:
	s_or_b32 exec_lo, exec_lo, s0
	s_mul_i32 s12, s1, 0x300
	s_waitcnt lgkmcnt(0)
	s_sub_u32 s8, s8, s22
	s_mul_hi_u32 s0, s1, 0x300
	s_subb_u32 s9, s9, 0
	s_add_u32 s12, s8, s12
	s_addc_u32 s0, s9, s0
	s_sub_u32 s8, s10, s22
	s_subb_u32 s9, s11, 0
	s_add_u32 s10, s12, 0x300
	s_addc_u32 s11, s0, 0
	s_waitcnt vmcnt(0)
	v_add_co_u32 v8, s12, s12, v14
	v_cmp_lt_i64_e64 s13, s[10:11], s[8:9]
	v_add_co_ci_u32_e64 v9, null, s0, 0, s12
	s_delay_alu instid0(VALU_DEP_2)
	s_and_b32 s0, s13, exec_lo
	s_cselect_b32 s9, s11, s9
	s_cselect_b32 s8, s10, s8
	s_mov_b32 s10, exec_lo
	v_cmpx_gt_i64_e64 s[8:9], v[8:9]
	s_cbranch_execz .LBB223_15
; %bb.12:
	s_clause 0x1
	s_load_b128 s[12:15], s[2:3], 0x48
	s_load_b32 s0, s[2:3], 0x0
	v_lshlrev_b64 v[12:13], 3, v[8:9]
	s_load_b64 s[2:3], s[2:3], 0x58
	s_waitcnt lgkmcnt(0)
	s_delay_alu instid0(VALU_DEP_1) | instskip(NEXT) | instid1(VALU_DEP_2)
	v_add_co_u32 v10, vcc_lo, v12, s14
	v_add_co_ci_u32_e32 v11, vcc_lo, s15, v13, vcc_lo
	s_bitcmp1_b32 s0, 0
	s_delay_alu instid0(VALU_DEP_2) | instskip(NEXT) | instid1(VALU_DEP_2)
	v_add_co_u32 v10, vcc_lo, v10, 4
	v_add_co_ci_u32_e32 v11, vcc_lo, 0, v11, vcc_lo
	v_add_co_u32 v12, vcc_lo, s12, v12
	v_add_co_ci_u32_e32 v13, vcc_lo, s13, v13, vcc_lo
	s_cselect_b32 s11, -1, 0
	s_mov_b32 s12, 0
.LBB223_13:                             ; =>This Inner Loop Header: Depth=1
	global_load_b64 v[15:16], v[12:13], off
	global_load_b64 v[19:20], v[10:11], off offset:-4
	v_add_co_u32 v12, s0, 0x800, v12
	s_delay_alu instid0(VALU_DEP_1)
	v_add_co_ci_u32_e64 v13, s0, 0, v13, s0
	s_waitcnt vmcnt(1)
	v_sub_co_u32 v15, vcc_lo, v15, s22
	v_subrev_co_ci_u32_e32 v16, vcc_lo, 0, v16, vcc_lo
	s_waitcnt vmcnt(0)
	v_cndmask_b32_e64 v20, v20, -v20, s11
	v_cvt_f64_f32_e32 v[22:23], v19
	s_delay_alu instid0(VALU_DEP_3) | instskip(NEXT) | instid1(VALU_DEP_3)
	v_lshlrev_b64 v[15:16], 4, v[15:16]
	v_cvt_f64_f32_e32 v[20:21], v20
	s_delay_alu instid0(VALU_DEP_2) | instskip(NEXT) | instid1(VALU_DEP_3)
	v_add_co_u32 v15, vcc_lo, s2, v15
	v_add_co_ci_u32_e32 v16, vcc_lo, s3, v16, vcc_lo
	v_add_co_u32 v8, vcc_lo, 0x100, v8
	v_add_co_ci_u32_e32 v9, vcc_lo, 0, v9, vcc_lo
	global_load_b128 v[15:18], v[15:16], off
	v_add_co_u32 v10, vcc_lo, 0x800, v10
	v_add_co_ci_u32_e32 v11, vcc_lo, 0, v11, vcc_lo
	v_cmp_le_i64_e32 vcc_lo, s[8:9], v[8:9]
	s_or_b32 s12, vcc_lo, s12
	v_mul_f64 v[24:25], -v[6:7], v[20:21]
	v_mul_f64 v[19:20], v[4:5], v[20:21]
	s_delay_alu instid0(VALU_DEP_2) | instskip(NEXT) | instid1(VALU_DEP_2)
	v_fma_f64 v[24:25], v[4:5], v[22:23], v[24:25]
	v_fma_f64 v[19:20], v[6:7], v[22:23], v[19:20]
	s_waitcnt vmcnt(0)
	s_delay_alu instid0(VALU_DEP_2) | instskip(NEXT) | instid1(VALU_DEP_2)
	v_fma_f64 v[0:1], v[24:25], v[15:16], v[0:1]
	v_fma_f64 v[2:3], v[19:20], v[15:16], v[2:3]
	s_delay_alu instid0(VALU_DEP_2) | instskip(NEXT) | instid1(VALU_DEP_2)
	v_fma_f64 v[0:1], -v[19:20], v[17:18], v[0:1]
	v_fma_f64 v[2:3], v[24:25], v[17:18], v[2:3]
	s_and_not1_b32 exec_lo, exec_lo, s12
	s_cbranch_execnz .LBB223_13
; %bb.14:
	s_or_b32 exec_lo, exec_lo, s12
.LBB223_15:
	s_delay_alu instid0(SALU_CYCLE_1)
	s_or_b32 exec_lo, exec_lo, s10
	v_lshlrev_b32_e32 v4, 4, v14
	s_mov_b32 s0, exec_lo
	ds_store_b128 v4, v[0:3]
	s_waitcnt lgkmcnt(0)
	s_waitcnt_vscnt null, 0x0
	s_barrier
	buffer_gl0_inv
	v_cmpx_gt_u32_e32 0x80, v14
	s_cbranch_execz .LBB223_17
; %bb.16:
	ds_load_b128 v[0:3], v4 offset:2048
	ds_load_b128 v[5:8], v4
	s_waitcnt lgkmcnt(0)
	v_add_f64 v[0:1], v[0:1], v[5:6]
	v_add_f64 v[2:3], v[2:3], v[7:8]
	ds_store_b128 v4, v[0:3]
.LBB223_17:
	s_or_b32 exec_lo, exec_lo, s0
	s_delay_alu instid0(SALU_CYCLE_1)
	s_mov_b32 s0, exec_lo
	s_waitcnt lgkmcnt(0)
	s_barrier
	buffer_gl0_inv
	v_cmpx_gt_u32_e32 64, v14
	s_cbranch_execz .LBB223_19
; %bb.18:
	ds_load_b128 v[0:3], v4 offset:1024
	ds_load_b128 v[5:8], v4
	s_waitcnt lgkmcnt(0)
	v_add_f64 v[0:1], v[0:1], v[5:6]
	v_add_f64 v[2:3], v[2:3], v[7:8]
	ds_store_b128 v4, v[0:3]
.LBB223_19:
	s_or_b32 exec_lo, exec_lo, s0
	s_delay_alu instid0(SALU_CYCLE_1)
	s_mov_b32 s0, exec_lo
	s_waitcnt lgkmcnt(0)
	;; [unrolled: 16-line block ×6, first 2 shown]
	s_barrier
	buffer_gl0_inv
	v_cmpx_gt_u32_e32 2, v14
	s_cbranch_execz .LBB223_29
; %bb.28:
	ds_load_b128 v[0:3], v4
	ds_load_b128 v[5:8], v4 offset:32
	s_waitcnt lgkmcnt(0)
	v_add_f64 v[0:1], v[5:6], v[0:1]
	v_add_f64 v[2:3], v[7:8], v[2:3]
	ds_store_b128 v4, v[0:3]
.LBB223_29:
	s_or_b32 exec_lo, exec_lo, s0
	v_cmp_eq_u32_e32 vcc_lo, 0, v14
	s_waitcnt lgkmcnt(0)
	s_barrier
	buffer_gl0_inv
	s_and_saveexec_b32 s0, vcc_lo
	s_cbranch_execz .LBB223_31
; %bb.30:
	v_mov_b32_e32 v8, 0
	ds_load_b128 v[0:3], v8
	ds_load_b128 v[4:7], v8 offset:16
	s_waitcnt lgkmcnt(0)
	v_add_f64 v[0:1], v[4:5], v[0:1]
	v_add_f64 v[2:3], v[6:7], v[2:3]
	ds_store_b128 v8, v[0:3]
.LBB223_31:
	s_or_b32 exec_lo, exec_lo, s0
	s_waitcnt lgkmcnt(0)
	s_barrier
	buffer_gl0_inv
	s_and_b32 exec_lo, exec_lo, vcc_lo
	s_cbranch_execz .LBB223_44
; %bb.32:
	s_cmp_eq_u32 s1, 0
	s_cbranch_scc1 .LBB223_38
; %bb.33:
	s_lshl_b64 s[0:1], s[20:21], 2
	v_mov_b32_e32 v0, 0
	s_add_u32 s0, s4, s0
	s_addc_u32 s1, s5, s1
	s_branch .LBB223_35
.LBB223_34:                             ;   in Loop: Header=BB223_35 Depth=1
	s_or_b32 exec_lo, exec_lo, s2
	s_waitcnt vmcnt(0)
	v_readfirstlane_b32 s2, v1
	s_delay_alu instid0(VALU_DEP_1)
	s_cmp_eq_u32 s2, s23
	s_cbranch_scc0 .LBB223_37
.LBB223_35:                             ; =>This Inner Loop Header: Depth=1
	v_mbcnt_lo_u32_b32 v1, exec_lo, 0
	s_delay_alu instid0(VALU_DEP_1)
	v_cmp_eq_u32_e32 vcc_lo, 0, v1
                                        ; implicit-def: $vgpr1
	s_and_saveexec_b32 s2, vcc_lo
	s_cbranch_execz .LBB223_34
; %bb.36:                               ;   in Loop: Header=BB223_35 Depth=1
	global_load_b32 v1, v0, s[0:1] glc
	s_branch .LBB223_34
.LBB223_37:
	v_mov_b32_e32 v0, 0
	global_load_b32 v1, v0, s[18:19]
	s_waitcnt vmcnt(0)
	v_xor_b32_e32 v1, 1, v1
	global_store_b32 v0, v1, s[18:19]
.LBB223_38:
	v_mov_b32_e32 v8, 0
	s_mov_b32 s3, exec_lo
	s_lshl_b64 s[0:1], s[6:7], 4
	v_mbcnt_lo_u32_b32 v4, s3, 0
	s_add_u32 s0, s16, s0
	ds_load_b128 v[0:3], v8
	s_addc_u32 s1, s17, s1
	s_mov_b32 s2, exec_lo
	v_cmpx_eq_u32_e32 0, v4
	s_cbranch_execz .LBB223_41
; %bb.39:
	global_load_b64 v[6:7], v8, s[0:1]
	s_bcnt1_i32_b32 s3, s3
	s_delay_alu instid0(SALU_CYCLE_1) | instskip(SKIP_2) | instid1(VALU_DEP_1)
	v_cvt_f64_u32_e32 v[4:5], s3
	s_mov_b32 s3, 0
	s_waitcnt lgkmcnt(0)
	v_mul_f64 v[0:1], v[0:1], v[4:5]
.LBB223_40:                             ; =>This Inner Loop Header: Depth=1
	s_waitcnt vmcnt(0)
	s_delay_alu instid0(VALU_DEP_1)
	v_add_f64 v[4:5], v[6:7], v[0:1]
	global_atomic_cmpswap_b64 v[4:5], v8, v[4:7], s[0:1] glc
	s_waitcnt vmcnt(0)
	v_cmp_eq_u64_e32 vcc_lo, v[4:5], v[6:7]
	v_dual_mov_b32 v7, v5 :: v_dual_mov_b32 v6, v4
	s_or_b32 s3, vcc_lo, s3
	s_delay_alu instid0(SALU_CYCLE_1)
	s_and_not1_b32 exec_lo, exec_lo, s3
	s_cbranch_execnz .LBB223_40
.LBB223_41:
	s_or_b32 exec_lo, exec_lo, s2
	s_delay_alu instid0(SALU_CYCLE_1) | instskip(SKIP_3) | instid1(VALU_DEP_1)
	s_mov_b32 s3, exec_lo
	s_mov_b32 s2, 0
	s_waitcnt lgkmcnt(0)
	v_mbcnt_lo_u32_b32 v0, s3, 0
	v_cmp_eq_u32_e32 vcc_lo, 0, v0
	s_and_b32 s4, exec_lo, vcc_lo
	s_delay_alu instid0(SALU_CYCLE_1)
	s_mov_b32 exec_lo, s4
	s_cbranch_execz .LBB223_44
; %bb.42:
	v_mov_b32_e32 v6, 0
	s_bcnt1_i32_b32 s3, s3
	s_delay_alu instid0(SALU_CYCLE_1)
	v_cvt_f64_u32_e32 v[0:1], s3
	global_load_b64 v[4:5], v6, s[0:1] offset:8
	v_mul_f64 v[0:1], v[2:3], v[0:1]
.LBB223_43:                             ; =>This Inner Loop Header: Depth=1
	s_waitcnt vmcnt(0)
	s_delay_alu instid0(VALU_DEP_1)
	v_add_f64 v[2:3], v[4:5], v[0:1]
	global_atomic_cmpswap_b64 v[2:3], v6, v[2:5], s[0:1] offset:8 glc
	s_waitcnt vmcnt(0)
	v_cmp_eq_u64_e32 vcc_lo, v[2:3], v[4:5]
	v_dual_mov_b32 v5, v3 :: v_dual_mov_b32 v4, v2
	s_or_b32 s2, vcc_lo, s2
	s_delay_alu instid0(SALU_CYCLE_1)
	s_and_not1_b32 exec_lo, exec_lo, s2
	s_cbranch_execnz .LBB223_43
.LBB223_44:
	s_nop 0
	s_sendmsg sendmsg(MSG_DEALLOC_VGPRS)
	s_endpgm
	.section	.rodata,"a",@progbits
	.p2align	6, 0x0
	.amdhsa_kernel _ZN9rocsparseL27csrmvn_lrb_long_rows_kernelIll21rocsparse_complex_numIfES1_IdES3_S3_EEvbT_PjPT0_S7_jNS_24const_host_device_scalarIT4_EEPKS4_PKS6_PKT1_PKT2_SA_PT3_21rocsparse_index_base_b
		.amdhsa_group_segment_fixed_size 8192
		.amdhsa_private_segment_fixed_size 0
		.amdhsa_kernarg_size 128
		.amdhsa_user_sgpr_count 15
		.amdhsa_user_sgpr_dispatch_ptr 1
		.amdhsa_user_sgpr_queue_ptr 0
		.amdhsa_user_sgpr_kernarg_segment_ptr 1
		.amdhsa_user_sgpr_dispatch_id 0
		.amdhsa_user_sgpr_private_segment_size 0
		.amdhsa_wavefront_size32 1
		.amdhsa_uses_dynamic_stack 0
		.amdhsa_enable_private_segment 0
		.amdhsa_system_sgpr_workgroup_id_x 1
		.amdhsa_system_sgpr_workgroup_id_y 0
		.amdhsa_system_sgpr_workgroup_id_z 0
		.amdhsa_system_sgpr_workgroup_info 0
		.amdhsa_system_vgpr_workitem_id 2
		.amdhsa_next_free_vgpr 26
		.amdhsa_next_free_sgpr 28
		.amdhsa_reserve_vcc 1
		.amdhsa_float_round_mode_32 0
		.amdhsa_float_round_mode_16_64 0
		.amdhsa_float_denorm_mode_32 3
		.amdhsa_float_denorm_mode_16_64 3
		.amdhsa_dx10_clamp 1
		.amdhsa_ieee_mode 1
		.amdhsa_fp16_overflow 0
		.amdhsa_workgroup_processor_mode 1
		.amdhsa_memory_ordered 1
		.amdhsa_forward_progress 0
		.amdhsa_shared_vgpr_count 0
		.amdhsa_exception_fp_ieee_invalid_op 0
		.amdhsa_exception_fp_denorm_src 0
		.amdhsa_exception_fp_ieee_div_zero 0
		.amdhsa_exception_fp_ieee_overflow 0
		.amdhsa_exception_fp_ieee_underflow 0
		.amdhsa_exception_fp_ieee_inexact 0
		.amdhsa_exception_int_div_zero 0
	.end_amdhsa_kernel
	.section	.text._ZN9rocsparseL27csrmvn_lrb_long_rows_kernelIll21rocsparse_complex_numIfES1_IdES3_S3_EEvbT_PjPT0_S7_jNS_24const_host_device_scalarIT4_EEPKS4_PKS6_PKT1_PKT2_SA_PT3_21rocsparse_index_base_b,"axG",@progbits,_ZN9rocsparseL27csrmvn_lrb_long_rows_kernelIll21rocsparse_complex_numIfES1_IdES3_S3_EEvbT_PjPT0_S7_jNS_24const_host_device_scalarIT4_EEPKS4_PKS6_PKT1_PKT2_SA_PT3_21rocsparse_index_base_b,comdat
.Lfunc_end223:
	.size	_ZN9rocsparseL27csrmvn_lrb_long_rows_kernelIll21rocsparse_complex_numIfES1_IdES3_S3_EEvbT_PjPT0_S7_jNS_24const_host_device_scalarIT4_EEPKS4_PKS6_PKT1_PKT2_SA_PT3_21rocsparse_index_base_b, .Lfunc_end223-_ZN9rocsparseL27csrmvn_lrb_long_rows_kernelIll21rocsparse_complex_numIfES1_IdES3_S3_EEvbT_PjPT0_S7_jNS_24const_host_device_scalarIT4_EEPKS4_PKS6_PKT1_PKT2_SA_PT3_21rocsparse_index_base_b
                                        ; -- End function
	.section	.AMDGPU.csdata,"",@progbits
; Kernel info:
; codeLenInByte = 2412
; NumSgprs: 30
; NumVgprs: 26
; ScratchSize: 0
; MemoryBound: 0
; FloatMode: 240
; IeeeMode: 1
; LDSByteSize: 8192 bytes/workgroup (compile time only)
; SGPRBlocks: 3
; VGPRBlocks: 3
; NumSGPRsForWavesPerEU: 30
; NumVGPRsForWavesPerEU: 26
; Occupancy: 16
; WaveLimiterHint : 1
; COMPUTE_PGM_RSRC2:SCRATCH_EN: 0
; COMPUTE_PGM_RSRC2:USER_SGPR: 15
; COMPUTE_PGM_RSRC2:TRAP_HANDLER: 0
; COMPUTE_PGM_RSRC2:TGID_X_EN: 1
; COMPUTE_PGM_RSRC2:TGID_Y_EN: 0
; COMPUTE_PGM_RSRC2:TGID_Z_EN: 0
; COMPUTE_PGM_RSRC2:TIDIG_COMP_CNT: 2
	.text
	.p2alignl 7, 3214868480
	.fill 96, 4, 3214868480
	.type	__hip_cuid_a3e4c2a82dc2b333,@object ; @__hip_cuid_a3e4c2a82dc2b333
	.section	.bss,"aw",@nobits
	.globl	__hip_cuid_a3e4c2a82dc2b333
__hip_cuid_a3e4c2a82dc2b333:
	.byte	0                               ; 0x0
	.size	__hip_cuid_a3e4c2a82dc2b333, 1

	.ident	"AMD clang version 19.0.0git (https://github.com/RadeonOpenCompute/llvm-project roc-6.4.0 25133 c7fe45cf4b819c5991fe208aaa96edf142730f1d)"
	.section	".note.GNU-stack","",@progbits
	.addrsig
	.addrsig_sym __hip_cuid_a3e4c2a82dc2b333
	.amdgpu_metadata
---
amdhsa.kernels:
  - .args:
      - .offset:         0
        .size:           4
        .value_kind:     by_value
      - .address_space:  global
        .offset:         8
        .size:           8
        .value_kind:     global_buffer
      - .address_space:  global
        .offset:         16
        .size:           8
        .value_kind:     global_buffer
      - .address_space:  global
        .offset:         24
        .size:           8
        .value_kind:     global_buffer
      - .offset:         32
        .size:           4
        .value_kind:     hidden_block_count_x
      - .offset:         36
        .size:           4
        .value_kind:     hidden_block_count_y
      - .offset:         40
        .size:           4
        .value_kind:     hidden_block_count_z
      - .offset:         44
        .size:           2
        .value_kind:     hidden_group_size_x
      - .offset:         46
        .size:           2
        .value_kind:     hidden_group_size_y
      - .offset:         48
        .size:           2
        .value_kind:     hidden_group_size_z
      - .offset:         50
        .size:           2
        .value_kind:     hidden_remainder_x
      - .offset:         52
        .size:           2
        .value_kind:     hidden_remainder_y
      - .offset:         54
        .size:           2
        .value_kind:     hidden_remainder_z
      - .offset:         72
        .size:           8
        .value_kind:     hidden_global_offset_x
      - .offset:         80
        .size:           8
        .value_kind:     hidden_global_offset_y
      - .offset:         88
        .size:           8
        .value_kind:     hidden_global_offset_z
      - .offset:         96
        .size:           2
        .value_kind:     hidden_grid_dims
    .group_segment_fixed_size: 0
    .kernarg_segment_align: 8
    .kernarg_segment_size: 288
    .language:       OpenCL C
    .language_version:
      - 2
      - 0
    .max_flat_workgroup_size: 256
    .name:           _ZN9rocsparseL46csrmvn_preprocess_device_32_bins_3phase_phase1ILj256EiiEEvT1_PKT0_PS1_S5_
    .private_segment_fixed_size: 0
    .sgpr_count:     18
    .sgpr_spill_count: 0
    .symbol:         _ZN9rocsparseL46csrmvn_preprocess_device_32_bins_3phase_phase1ILj256EiiEEvT1_PKT0_PS1_S5_.kd
    .uniform_work_group_size: 1
    .uses_dynamic_stack: false
    .vgpr_count:     9
    .vgpr_spill_count: 0
    .wavefront_size: 32
    .workgroup_processor_mode: 1
  - .args:
      - .address_space:  global
        .offset:         0
        .size:           8
        .value_kind:     global_buffer
    .group_segment_fixed_size: 0
    .kernarg_segment_align: 8
    .kernarg_segment_size: 8
    .language:       OpenCL C
    .language_version:
      - 2
      - 0
    .max_flat_workgroup_size: 1
    .name:           _ZN9rocsparseL46csrmvn_preprocess_device_32_bins_3phase_phase2IiEEvPT_
    .private_segment_fixed_size: 0
    .sgpr_count:     34
    .sgpr_spill_count: 0
    .symbol:         _ZN9rocsparseL46csrmvn_preprocess_device_32_bins_3phase_phase2IiEEvPT_.kd
    .uniform_work_group_size: 1
    .uses_dynamic_stack: false
    .vgpr_count:     28
    .vgpr_spill_count: 0
    .wavefront_size: 32
    .workgroup_processor_mode: 1
  - .args:
      - .offset:         0
        .size:           4
        .value_kind:     by_value
      - .address_space:  global
        .offset:         8
        .size:           8
        .value_kind:     global_buffer
      - .address_space:  global
        .offset:         16
        .size:           8
        .value_kind:     global_buffer
      - .address_space:  global
        .offset:         24
        .size:           8
        .value_kind:     global_buffer
      - .address_space:  global
        .offset:         32
        .size:           8
        .value_kind:     global_buffer
      - .offset:         40
        .size:           4
        .value_kind:     hidden_block_count_x
      - .offset:         44
        .size:           4
        .value_kind:     hidden_block_count_y
      - .offset:         48
        .size:           4
        .value_kind:     hidden_block_count_z
      - .offset:         52
        .size:           2
        .value_kind:     hidden_group_size_x
      - .offset:         54
        .size:           2
        .value_kind:     hidden_group_size_y
      - .offset:         56
        .size:           2
        .value_kind:     hidden_group_size_z
      - .offset:         58
        .size:           2
        .value_kind:     hidden_remainder_x
      - .offset:         60
        .size:           2
        .value_kind:     hidden_remainder_y
      - .offset:         62
        .size:           2
        .value_kind:     hidden_remainder_z
      - .offset:         80
        .size:           8
        .value_kind:     hidden_global_offset_x
      - .offset:         88
        .size:           8
        .value_kind:     hidden_global_offset_y
      - .offset:         96
        .size:           8
        .value_kind:     hidden_global_offset_z
      - .offset:         104
        .size:           2
        .value_kind:     hidden_grid_dims
    .group_segment_fixed_size: 0
    .kernarg_segment_align: 8
    .kernarg_segment_size: 296
    .language:       OpenCL C
    .language_version:
      - 2
      - 0
    .max_flat_workgroup_size: 256
    .name:           _ZN9rocsparseL46csrmvn_preprocess_device_32_bins_3phase_phase3ILj256EiiEEvT1_PKT0_PKS1_S6_PS1_
    .private_segment_fixed_size: 0
    .sgpr_count:     18
    .sgpr_spill_count: 0
    .symbol:         _ZN9rocsparseL46csrmvn_preprocess_device_32_bins_3phase_phase3ILj256EiiEEvT1_PKT0_PKS1_S6_PS1_.kd
    .uniform_work_group_size: 1
    .uses_dynamic_stack: false
    .vgpr_count:     8
    .vgpr_spill_count: 0
    .wavefront_size: 32
    .workgroup_processor_mode: 1
  - .args:
      - .offset:         0
        .size:           4
        .value_kind:     by_value
      - .address_space:  global
        .offset:         8
        .size:           8
        .value_kind:     global_buffer
      - .address_space:  global
        .offset:         16
        .size:           8
        .value_kind:     global_buffer
      - .address_space:  global
        .offset:         24
        .size:           8
        .value_kind:     global_buffer
      - .offset:         32
        .size:           4
        .value_kind:     hidden_block_count_x
      - .offset:         36
        .size:           4
        .value_kind:     hidden_block_count_y
      - .offset:         40
        .size:           4
        .value_kind:     hidden_block_count_z
      - .offset:         44
        .size:           2
        .value_kind:     hidden_group_size_x
      - .offset:         46
        .size:           2
        .value_kind:     hidden_group_size_y
      - .offset:         48
        .size:           2
        .value_kind:     hidden_group_size_z
      - .offset:         50
        .size:           2
        .value_kind:     hidden_remainder_x
      - .offset:         52
        .size:           2
        .value_kind:     hidden_remainder_y
      - .offset:         54
        .size:           2
        .value_kind:     hidden_remainder_z
      - .offset:         72
        .size:           8
        .value_kind:     hidden_global_offset_x
      - .offset:         80
        .size:           8
        .value_kind:     hidden_global_offset_y
      - .offset:         88
        .size:           8
        .value_kind:     hidden_global_offset_z
      - .offset:         96
        .size:           2
        .value_kind:     hidden_grid_dims
    .group_segment_fixed_size: 0
    .kernarg_segment_align: 8
    .kernarg_segment_size: 288
    .language:       OpenCL C
    .language_version:
      - 2
      - 0
    .max_flat_workgroup_size: 256
    .name:           _ZN9rocsparseL46csrmvn_preprocess_device_32_bins_3phase_phase1ILj256EliEEvT1_PKT0_PS1_S5_
    .private_segment_fixed_size: 0
    .sgpr_count:     32
    .sgpr_spill_count: 0
    .symbol:         _ZN9rocsparseL46csrmvn_preprocess_device_32_bins_3phase_phase1ILj256EliEEvT1_PKT0_PS1_S5_.kd
    .uniform_work_group_size: 1
    .uses_dynamic_stack: false
    .vgpr_count:     23
    .vgpr_spill_count: 0
    .wavefront_size: 32
    .workgroup_processor_mode: 1
  - .args:
      - .offset:         0
        .size:           4
        .value_kind:     by_value
      - .address_space:  global
        .offset:         8
        .size:           8
        .value_kind:     global_buffer
      - .address_space:  global
        .offset:         16
        .size:           8
        .value_kind:     global_buffer
      - .address_space:  global
        .offset:         24
        .size:           8
        .value_kind:     global_buffer
      - .address_space:  global
        .offset:         32
        .size:           8
        .value_kind:     global_buffer
      - .offset:         40
        .size:           4
        .value_kind:     hidden_block_count_x
      - .offset:         44
        .size:           4
        .value_kind:     hidden_block_count_y
      - .offset:         48
        .size:           4
        .value_kind:     hidden_block_count_z
      - .offset:         52
        .size:           2
        .value_kind:     hidden_group_size_x
      - .offset:         54
        .size:           2
        .value_kind:     hidden_group_size_y
      - .offset:         56
        .size:           2
        .value_kind:     hidden_group_size_z
      - .offset:         58
        .size:           2
        .value_kind:     hidden_remainder_x
      - .offset:         60
        .size:           2
        .value_kind:     hidden_remainder_y
      - .offset:         62
        .size:           2
        .value_kind:     hidden_remainder_z
      - .offset:         80
        .size:           8
        .value_kind:     hidden_global_offset_x
      - .offset:         88
        .size:           8
        .value_kind:     hidden_global_offset_y
      - .offset:         96
        .size:           8
        .value_kind:     hidden_global_offset_z
      - .offset:         104
        .size:           2
        .value_kind:     hidden_grid_dims
    .group_segment_fixed_size: 0
    .kernarg_segment_align: 8
    .kernarg_segment_size: 296
    .language:       OpenCL C
    .language_version:
      - 2
      - 0
    .max_flat_workgroup_size: 256
    .name:           _ZN9rocsparseL46csrmvn_preprocess_device_32_bins_3phase_phase3ILj256EliEEvT1_PKT0_PKS1_S6_PS1_
    .private_segment_fixed_size: 0
    .sgpr_count:     34
    .sgpr_spill_count: 0
    .symbol:         _ZN9rocsparseL46csrmvn_preprocess_device_32_bins_3phase_phase3ILj256EliEEvT1_PKT0_PKS1_S6_PS1_.kd
    .uniform_work_group_size: 1
    .uses_dynamic_stack: false
    .vgpr_count:     22
    .vgpr_spill_count: 0
    .wavefront_size: 32
    .workgroup_processor_mode: 1
  - .args:
      - .offset:         0
        .size:           8
        .value_kind:     by_value
      - .address_space:  global
        .offset:         8
        .size:           8
        .value_kind:     global_buffer
      - .address_space:  global
        .offset:         16
        .size:           8
        .value_kind:     global_buffer
      - .address_space:  global
        .offset:         24
        .size:           8
        .value_kind:     global_buffer
      - .offset:         32
        .size:           4
        .value_kind:     hidden_block_count_x
      - .offset:         36
        .size:           4
        .value_kind:     hidden_block_count_y
      - .offset:         40
        .size:           4
        .value_kind:     hidden_block_count_z
      - .offset:         44
        .size:           2
        .value_kind:     hidden_group_size_x
      - .offset:         46
        .size:           2
        .value_kind:     hidden_group_size_y
      - .offset:         48
        .size:           2
        .value_kind:     hidden_group_size_z
      - .offset:         50
        .size:           2
        .value_kind:     hidden_remainder_x
      - .offset:         52
        .size:           2
        .value_kind:     hidden_remainder_y
      - .offset:         54
        .size:           2
        .value_kind:     hidden_remainder_z
      - .offset:         72
        .size:           8
        .value_kind:     hidden_global_offset_x
      - .offset:         80
        .size:           8
        .value_kind:     hidden_global_offset_y
      - .offset:         88
        .size:           8
        .value_kind:     hidden_global_offset_z
      - .offset:         96
        .size:           2
        .value_kind:     hidden_grid_dims
    .group_segment_fixed_size: 0
    .kernarg_segment_align: 8
    .kernarg_segment_size: 288
    .language:       OpenCL C
    .language_version:
      - 2
      - 0
    .max_flat_workgroup_size: 256
    .name:           _ZN9rocsparseL46csrmvn_preprocess_device_32_bins_3phase_phase1ILj256EllEEvT1_PKT0_PS1_S5_
    .private_segment_fixed_size: 0
    .sgpr_count:     38
    .sgpr_spill_count: 0
    .symbol:         _ZN9rocsparseL46csrmvn_preprocess_device_32_bins_3phase_phase1ILj256EllEEvT1_PKT0_PS1_S5_.kd
    .uniform_work_group_size: 1
    .uses_dynamic_stack: false
    .vgpr_count:     24
    .vgpr_spill_count: 0
    .wavefront_size: 32
    .workgroup_processor_mode: 1
  - .args:
      - .address_space:  global
        .offset:         0
        .size:           8
        .value_kind:     global_buffer
    .group_segment_fixed_size: 0
    .kernarg_segment_align: 8
    .kernarg_segment_size: 8
    .language:       OpenCL C
    .language_version:
      - 2
      - 0
    .max_flat_workgroup_size: 1
    .name:           _ZN9rocsparseL46csrmvn_preprocess_device_32_bins_3phase_phase2IlEEvPT_
    .private_segment_fixed_size: 0
    .sgpr_count:     52
    .sgpr_spill_count: 0
    .symbol:         _ZN9rocsparseL46csrmvn_preprocess_device_32_bins_3phase_phase2IlEEvPT_.kd
    .uniform_work_group_size: 1
    .uses_dynamic_stack: false
    .vgpr_count:     28
    .vgpr_spill_count: 0
    .wavefront_size: 32
    .workgroup_processor_mode: 1
  - .args:
      - .offset:         0
        .size:           8
        .value_kind:     by_value
      - .address_space:  global
        .offset:         8
        .size:           8
        .value_kind:     global_buffer
      - .address_space:  global
        .offset:         16
        .size:           8
        .value_kind:     global_buffer
      - .address_space:  global
        .offset:         24
        .size:           8
        .value_kind:     global_buffer
      - .address_space:  global
        .offset:         32
        .size:           8
        .value_kind:     global_buffer
      - .offset:         40
        .size:           4
        .value_kind:     hidden_block_count_x
      - .offset:         44
        .size:           4
        .value_kind:     hidden_block_count_y
      - .offset:         48
        .size:           4
        .value_kind:     hidden_block_count_z
      - .offset:         52
        .size:           2
        .value_kind:     hidden_group_size_x
      - .offset:         54
        .size:           2
        .value_kind:     hidden_group_size_y
      - .offset:         56
        .size:           2
        .value_kind:     hidden_group_size_z
      - .offset:         58
        .size:           2
        .value_kind:     hidden_remainder_x
      - .offset:         60
        .size:           2
        .value_kind:     hidden_remainder_y
      - .offset:         62
        .size:           2
        .value_kind:     hidden_remainder_z
      - .offset:         80
        .size:           8
        .value_kind:     hidden_global_offset_x
      - .offset:         88
        .size:           8
        .value_kind:     hidden_global_offset_y
      - .offset:         96
        .size:           8
        .value_kind:     hidden_global_offset_z
      - .offset:         104
        .size:           2
        .value_kind:     hidden_grid_dims
    .group_segment_fixed_size: 0
    .kernarg_segment_align: 8
    .kernarg_segment_size: 296
    .language:       OpenCL C
    .language_version:
      - 2
      - 0
    .max_flat_workgroup_size: 256
    .name:           _ZN9rocsparseL46csrmvn_preprocess_device_32_bins_3phase_phase3ILj256EllEEvT1_PKT0_PKS1_S6_PS1_
    .private_segment_fixed_size: 0
    .sgpr_count:     40
    .sgpr_spill_count: 0
    .symbol:         _ZN9rocsparseL46csrmvn_preprocess_device_32_bins_3phase_phase3ILj256EllEEvT1_PKT0_PKS1_S6_PS1_.kd
    .uniform_work_group_size: 1
    .uses_dynamic_stack: false
    .vgpr_count:     24
    .vgpr_spill_count: 0
    .wavefront_size: 32
    .workgroup_processor_mode: 1
  - .args:
      - .offset:         0
        .size:           1
        .value_kind:     by_value
      - .offset:         4
        .size:           4
        .value_kind:     by_value
      - .actual_access:  read_only
        .address_space:  global
        .offset:         8
        .size:           8
        .value_kind:     global_buffer
      - .actual_access:  read_only
        .address_space:  global
        .offset:         16
        .size:           8
        .value_kind:     global_buffer
      - .offset:         24
        .size:           4
        .value_kind:     by_value
      - .offset:         32
        .size:           8
        .value_kind:     by_value
      - .actual_access:  read_only
        .address_space:  global
        .offset:         40
        .size:           8
        .value_kind:     global_buffer
      - .actual_access:  read_only
        .address_space:  global
        .offset:         48
        .size:           8
        .value_kind:     global_buffer
      - .actual_access:  read_only
        .address_space:  global
        .offset:         56
        .size:           8
        .value_kind:     global_buffer
      - .actual_access:  read_only
        .address_space:  global
        .offset:         64
        .size:           8
        .value_kind:     global_buffer
      - .offset:         72
        .size:           8
        .value_kind:     by_value
      - .address_space:  global
        .offset:         80
        .size:           8
        .value_kind:     global_buffer
      - .offset:         88
        .size:           4
        .value_kind:     by_value
      - .offset:         92
        .size:           1
        .value_kind:     by_value
    .group_segment_fixed_size: 0
    .kernarg_segment_align: 8
    .kernarg_segment_size: 96
    .language:       OpenCL C
    .language_version:
      - 2
      - 0
    .max_flat_workgroup_size: 256
    .name:           _ZN9rocsparseL28csrmvn_lrb_short_rows_kernelIiiffffEEvbT_PT0_S3_jNS_24const_host_device_scalarIT4_EEPKS1_PKS2_PKT1_PKT2_S6_PT3_21rocsparse_index_base_b
    .private_segment_fixed_size: 0
    .sgpr_count:     26
    .sgpr_spill_count: 0
    .symbol:         _ZN9rocsparseL28csrmvn_lrb_short_rows_kernelIiiffffEEvbT_PT0_S3_jNS_24const_host_device_scalarIT4_EEPKS1_PKS2_PKT1_PKT2_S6_PT3_21rocsparse_index_base_b.kd
    .uniform_work_group_size: 1
    .uses_dynamic_stack: false
    .vgpr_count:     10
    .vgpr_spill_count: 0
    .wavefront_size: 32
    .workgroup_processor_mode: 1
  - .args:
      - .offset:         0
        .size:           1
        .value_kind:     by_value
      - .offset:         4
        .size:           4
        .value_kind:     by_value
      - .actual_access:  read_only
        .address_space:  global
        .offset:         8
        .size:           8
        .value_kind:     global_buffer
      - .actual_access:  read_only
        .address_space:  global
        .offset:         16
        .size:           8
        .value_kind:     global_buffer
      - .offset:         24
        .size:           4
        .value_kind:     by_value
      - .offset:         32
        .size:           8
        .value_kind:     by_value
      - .actual_access:  read_only
        .address_space:  global
        .offset:         40
        .size:           8
        .value_kind:     global_buffer
      - .actual_access:  read_only
        .address_space:  global
        .offset:         48
        .size:           8
        .value_kind:     global_buffer
      - .actual_access:  read_only
        .address_space:  global
        .offset:         56
        .size:           8
        .value_kind:     global_buffer
      - .actual_access:  read_only
        .address_space:  global
        .offset:         64
        .size:           8
        .value_kind:     global_buffer
      - .offset:         72
        .size:           8
        .value_kind:     by_value
      - .address_space:  global
        .offset:         80
        .size:           8
        .value_kind:     global_buffer
      - .offset:         88
        .size:           4
        .value_kind:     by_value
      - .offset:         92
        .size:           1
        .value_kind:     by_value
    .group_segment_fixed_size: 4096
    .kernarg_segment_align: 8
    .kernarg_segment_size: 96
    .language:       OpenCL C
    .language_version:
      - 2
      - 0
    .max_flat_workgroup_size: 256
    .name:           _ZN9rocsparseL30csrmvn_lrb_short_rows_2_kernelIiiffffEEvbT_PT0_S3_jNS_24const_host_device_scalarIT4_EEPKS1_PKS2_PKT1_PKT2_S6_PT3_21rocsparse_index_base_b
    .private_segment_fixed_size: 0
    .sgpr_count:     24
    .sgpr_spill_count: 0
    .symbol:         _ZN9rocsparseL30csrmvn_lrb_short_rows_2_kernelIiiffffEEvbT_PT0_S3_jNS_24const_host_device_scalarIT4_EEPKS1_PKS2_PKT1_PKT2_S6_PT3_21rocsparse_index_base_b.kd
    .uniform_work_group_size: 1
    .uses_dynamic_stack: false
    .vgpr_count:     8
    .vgpr_spill_count: 0
    .wavefront_size: 32
    .workgroup_processor_mode: 1
  - .args:
      - .offset:         0
        .size:           1
        .value_kind:     by_value
      - .offset:         4
        .size:           4
        .value_kind:     by_value
      - .offset:         8
        .size:           8
        .value_kind:     by_value
      - .actual_access:  read_only
        .address_space:  global
        .offset:         16
        .size:           8
        .value_kind:     global_buffer
      - .actual_access:  read_only
        .address_space:  global
        .offset:         24
        .size:           8
        .value_kind:     global_buffer
      - .offset:         32
        .size:           4
        .value_kind:     by_value
      - .offset:         40
        .size:           8
        .value_kind:     by_value
      - .actual_access:  read_only
        .address_space:  global
        .offset:         48
        .size:           8
        .value_kind:     global_buffer
      - .actual_access:  read_only
        .address_space:  global
        .offset:         56
        .size:           8
        .value_kind:     global_buffer
      - .actual_access:  read_only
        .address_space:  global
        .offset:         64
        .size:           8
        .value_kind:     global_buffer
      - .actual_access:  read_only
        .address_space:  global
        .offset:         72
        .size:           8
        .value_kind:     global_buffer
      - .offset:         80
        .size:           8
        .value_kind:     by_value
      - .address_space:  global
        .offset:         88
        .size:           8
        .value_kind:     global_buffer
      - .offset:         96
        .size:           4
        .value_kind:     by_value
      - .offset:         100
        .size:           1
        .value_kind:     by_value
    .group_segment_fixed_size: 0
    .kernarg_segment_align: 8
    .kernarg_segment_size: 104
    .language:       OpenCL C
    .language_version:
      - 2
      - 0
    .max_flat_workgroup_size: 256
    .name:           _ZN9rocsparseL41csrmvn_lrb_medium_rows_warp_reduce_kernelILj256ELj32EiiffffEEvbT1_lPT2_S3_jNS_24const_host_device_scalarIT6_EEPKS1_PKS2_PKT3_PKT4_S6_PT5_21rocsparse_index_base_b
    .private_segment_fixed_size: 0
    .sgpr_count:     18
    .sgpr_spill_count: 0
    .symbol:         _ZN9rocsparseL41csrmvn_lrb_medium_rows_warp_reduce_kernelILj256ELj32EiiffffEEvbT1_lPT2_S3_jNS_24const_host_device_scalarIT6_EEPKS1_PKS2_PKT3_PKT4_S6_PT5_21rocsparse_index_base_b.kd
    .uniform_work_group_size: 1
    .uses_dynamic_stack: false
    .vgpr_count:     11
    .vgpr_spill_count: 0
    .wavefront_size: 32
    .workgroup_processor_mode: 1
  - .args:
      - .offset:         0
        .size:           1
        .value_kind:     by_value
      - .offset:         4
        .size:           4
        .value_kind:     by_value
      - .offset:         8
        .size:           8
        .value_kind:     by_value
      - .actual_access:  read_only
        .address_space:  global
        .offset:         16
        .size:           8
        .value_kind:     global_buffer
      - .actual_access:  read_only
        .address_space:  global
        .offset:         24
        .size:           8
        .value_kind:     global_buffer
      - .offset:         32
        .size:           4
        .value_kind:     by_value
      - .offset:         40
        .size:           8
        .value_kind:     by_value
      - .actual_access:  read_only
        .address_space:  global
        .offset:         48
        .size:           8
        .value_kind:     global_buffer
      - .actual_access:  read_only
        .address_space:  global
        .offset:         56
        .size:           8
        .value_kind:     global_buffer
      - .actual_access:  read_only
        .address_space:  global
        .offset:         64
        .size:           8
        .value_kind:     global_buffer
      - .actual_access:  read_only
        .address_space:  global
        .offset:         72
        .size:           8
        .value_kind:     global_buffer
      - .offset:         80
        .size:           8
        .value_kind:     by_value
      - .address_space:  global
        .offset:         88
        .size:           8
        .value_kind:     global_buffer
      - .offset:         96
        .size:           4
        .value_kind:     by_value
      - .offset:         100
        .size:           1
        .value_kind:     by_value
    .group_segment_fixed_size: 0
    .kernarg_segment_align: 8
    .kernarg_segment_size: 104
    .language:       OpenCL C
    .language_version:
      - 2
      - 0
    .max_flat_workgroup_size: 256
    .name:           _ZN9rocsparseL41csrmvn_lrb_medium_rows_warp_reduce_kernelILj256ELj64EiiffffEEvbT1_lPT2_S3_jNS_24const_host_device_scalarIT6_EEPKS1_PKS2_PKT3_PKT4_S6_PT5_21rocsparse_index_base_b
    .private_segment_fixed_size: 0
    .sgpr_count:     18
    .sgpr_spill_count: 0
    .symbol:         _ZN9rocsparseL41csrmvn_lrb_medium_rows_warp_reduce_kernelILj256ELj64EiiffffEEvbT1_lPT2_S3_jNS_24const_host_device_scalarIT6_EEPKS1_PKS2_PKT3_PKT4_S6_PT5_21rocsparse_index_base_b.kd
    .uniform_work_group_size: 1
    .uses_dynamic_stack: false
    .vgpr_count:     11
    .vgpr_spill_count: 0
    .wavefront_size: 32
    .workgroup_processor_mode: 1
  - .args:
      - .offset:         0
        .size:           1
        .value_kind:     by_value
      - .offset:         4
        .size:           4
        .value_kind:     by_value
      - .actual_access:  read_only
        .address_space:  global
        .offset:         8
        .size:           8
        .value_kind:     global_buffer
      - .actual_access:  read_only
        .address_space:  global
        .offset:         16
        .size:           8
        .value_kind:     global_buffer
      - .offset:         24
        .size:           4
        .value_kind:     by_value
      - .offset:         32
        .size:           8
        .value_kind:     by_value
      - .actual_access:  read_only
        .address_space:  global
        .offset:         40
        .size:           8
        .value_kind:     global_buffer
      - .actual_access:  read_only
        .address_space:  global
        .offset:         48
        .size:           8
        .value_kind:     global_buffer
      - .actual_access:  read_only
        .address_space:  global
        .offset:         56
        .size:           8
        .value_kind:     global_buffer
      - .actual_access:  read_only
        .address_space:  global
        .offset:         64
        .size:           8
        .value_kind:     global_buffer
      - .offset:         72
        .size:           8
        .value_kind:     by_value
      - .address_space:  global
        .offset:         80
        .size:           8
        .value_kind:     global_buffer
      - .offset:         88
        .size:           4
        .value_kind:     by_value
      - .offset:         92
        .size:           1
        .value_kind:     by_value
    .group_segment_fixed_size: 1024
    .kernarg_segment_align: 8
    .kernarg_segment_size: 96
    .language:       OpenCL C
    .language_version:
      - 2
      - 0
    .max_flat_workgroup_size: 256
    .name:           _ZN9rocsparseL29csrmvn_lrb_medium_rows_kernelILj256EiiffffEEvbT0_PT1_S3_jNS_24const_host_device_scalarIT5_EEPKS1_PKS2_PKT2_PKT3_S6_PT4_21rocsparse_index_base_b
    .private_segment_fixed_size: 0
    .sgpr_count:     20
    .sgpr_spill_count: 0
    .symbol:         _ZN9rocsparseL29csrmvn_lrb_medium_rows_kernelILj256EiiffffEEvbT0_PT1_S3_jNS_24const_host_device_scalarIT5_EEPKS1_PKS2_PKT2_PKT3_S6_PT4_21rocsparse_index_base_b.kd
    .uniform_work_group_size: 1
    .uses_dynamic_stack: false
    .vgpr_count:     8
    .vgpr_spill_count: 0
    .wavefront_size: 32
    .workgroup_processor_mode: 1
  - .args:
      - .offset:         0
        .size:           1
        .value_kind:     by_value
      - .offset:         4
        .size:           4
        .value_kind:     by_value
      - .address_space:  global
        .offset:         8
        .size:           8
        .value_kind:     global_buffer
      - .actual_access:  read_only
        .address_space:  global
        .offset:         16
        .size:           8
        .value_kind:     global_buffer
      - .actual_access:  read_only
        .address_space:  global
        .offset:         24
        .size:           8
        .value_kind:     global_buffer
      - .offset:         32
        .size:           4
        .value_kind:     by_value
      - .offset:         40
        .size:           8
        .value_kind:     by_value
      - .actual_access:  read_only
        .address_space:  global
        .offset:         48
        .size:           8
        .value_kind:     global_buffer
      - .actual_access:  read_only
        .address_space:  global
        .offset:         56
        .size:           8
        .value_kind:     global_buffer
      - .actual_access:  read_only
        .address_space:  global
        .offset:         64
        .size:           8
        .value_kind:     global_buffer
      - .actual_access:  read_only
        .address_space:  global
        .offset:         72
        .size:           8
        .value_kind:     global_buffer
      - .offset:         80
        .size:           8
        .value_kind:     by_value
      - .address_space:  global
        .offset:         88
        .size:           8
        .value_kind:     global_buffer
      - .offset:         96
        .size:           4
        .value_kind:     by_value
      - .offset:         100
        .size:           1
        .value_kind:     by_value
    .group_segment_fixed_size: 1024
    .kernarg_segment_align: 8
    .kernarg_segment_size: 104
    .language:       OpenCL C
    .language_version:
      - 2
      - 0
    .max_flat_workgroup_size: 256
    .name:           _ZN9rocsparseL27csrmvn_lrb_long_rows_kernelIiiffffEEvbT_PjPT0_S4_jNS_24const_host_device_scalarIT4_EEPKS1_PKS3_PKT1_PKT2_S7_PT3_21rocsparse_index_base_b
    .private_segment_fixed_size: 0
    .sgpr_count:     26
    .sgpr_spill_count: 0
    .symbol:         _ZN9rocsparseL27csrmvn_lrb_long_rows_kernelIiiffffEEvbT_PjPT0_S4_jNS_24const_host_device_scalarIT4_EEPKS1_PKS3_PKT1_PKT2_S7_PT3_21rocsparse_index_base_b.kd
    .uniform_work_group_size: 1
    .uses_dynamic_stack: false
    .vgpr_count:     8
    .vgpr_spill_count: 0
    .wavefront_size: 32
    .workgroup_processor_mode: 1
  - .args:
      - .offset:         0
        .size:           1
        .value_kind:     by_value
      - .offset:         8
        .size:           8
        .value_kind:     by_value
      - .actual_access:  read_only
        .address_space:  global
        .offset:         16
        .size:           8
        .value_kind:     global_buffer
      - .actual_access:  read_only
        .address_space:  global
        .offset:         24
        .size:           8
        .value_kind:     global_buffer
      - .offset:         32
        .size:           4
        .value_kind:     by_value
      - .offset:         40
        .size:           8
        .value_kind:     by_value
      - .actual_access:  read_only
        .address_space:  global
        .offset:         48
        .size:           8
        .value_kind:     global_buffer
      - .actual_access:  read_only
        .address_space:  global
        .offset:         56
        .size:           8
        .value_kind:     global_buffer
      - .actual_access:  read_only
        .address_space:  global
        .offset:         64
        .size:           8
        .value_kind:     global_buffer
      - .actual_access:  read_only
        .address_space:  global
        .offset:         72
        .size:           8
        .value_kind:     global_buffer
      - .offset:         80
        .size:           8
        .value_kind:     by_value
      - .address_space:  global
        .offset:         88
        .size:           8
        .value_kind:     global_buffer
      - .offset:         96
        .size:           4
        .value_kind:     by_value
      - .offset:         100
        .size:           1
        .value_kind:     by_value
    .group_segment_fixed_size: 0
    .kernarg_segment_align: 8
    .kernarg_segment_size: 104
    .language:       OpenCL C
    .language_version:
      - 2
      - 0
    .max_flat_workgroup_size: 256
    .name:           _ZN9rocsparseL28csrmvn_lrb_short_rows_kernelIliffffEEvbT_PT0_S3_jNS_24const_host_device_scalarIT4_EEPKS1_PKS2_PKT1_PKT2_S6_PT3_21rocsparse_index_base_b
    .private_segment_fixed_size: 0
    .sgpr_count:     26
    .sgpr_spill_count: 0
    .symbol:         _ZN9rocsparseL28csrmvn_lrb_short_rows_kernelIliffffEEvbT_PT0_S3_jNS_24const_host_device_scalarIT4_EEPKS1_PKS2_PKT1_PKT2_S6_PT3_21rocsparse_index_base_b.kd
    .uniform_work_group_size: 1
    .uses_dynamic_stack: false
    .vgpr_count:     10
    .vgpr_spill_count: 0
    .wavefront_size: 32
    .workgroup_processor_mode: 1
  - .args:
      - .offset:         0
        .size:           1
        .value_kind:     by_value
      - .offset:         8
        .size:           8
        .value_kind:     by_value
      - .actual_access:  read_only
        .address_space:  global
        .offset:         16
        .size:           8
        .value_kind:     global_buffer
      - .actual_access:  read_only
        .address_space:  global
        .offset:         24
        .size:           8
        .value_kind:     global_buffer
      - .offset:         32
        .size:           4
        .value_kind:     by_value
      - .offset:         40
        .size:           8
        .value_kind:     by_value
      - .actual_access:  read_only
        .address_space:  global
        .offset:         48
        .size:           8
        .value_kind:     global_buffer
      - .actual_access:  read_only
        .address_space:  global
        .offset:         56
        .size:           8
        .value_kind:     global_buffer
      - .actual_access:  read_only
        .address_space:  global
        .offset:         64
        .size:           8
        .value_kind:     global_buffer
      - .actual_access:  read_only
        .address_space:  global
        .offset:         72
        .size:           8
        .value_kind:     global_buffer
      - .offset:         80
        .size:           8
        .value_kind:     by_value
      - .address_space:  global
        .offset:         88
        .size:           8
        .value_kind:     global_buffer
      - .offset:         96
        .size:           4
        .value_kind:     by_value
      - .offset:         100
        .size:           1
        .value_kind:     by_value
    .group_segment_fixed_size: 4096
    .kernarg_segment_align: 8
    .kernarg_segment_size: 104
    .language:       OpenCL C
    .language_version:
      - 2
      - 0
    .max_flat_workgroup_size: 256
    .name:           _ZN9rocsparseL30csrmvn_lrb_short_rows_2_kernelIliffffEEvbT_PT0_S3_jNS_24const_host_device_scalarIT4_EEPKS1_PKS2_PKT1_PKT2_S6_PT3_21rocsparse_index_base_b
    .private_segment_fixed_size: 0
    .sgpr_count:     24
    .sgpr_spill_count: 0
    .symbol:         _ZN9rocsparseL30csrmvn_lrb_short_rows_2_kernelIliffffEEvbT_PT0_S3_jNS_24const_host_device_scalarIT4_EEPKS1_PKS2_PKT1_PKT2_S6_PT3_21rocsparse_index_base_b.kd
    .uniform_work_group_size: 1
    .uses_dynamic_stack: false
    .vgpr_count:     9
    .vgpr_spill_count: 0
    .wavefront_size: 32
    .workgroup_processor_mode: 1
  - .args:
      - .offset:         0
        .size:           1
        .value_kind:     by_value
      - .offset:         8
        .size:           8
        .value_kind:     by_value
      - .offset:         16
        .size:           8
        .value_kind:     by_value
      - .actual_access:  read_only
        .address_space:  global
        .offset:         24
        .size:           8
        .value_kind:     global_buffer
      - .actual_access:  read_only
        .address_space:  global
        .offset:         32
        .size:           8
        .value_kind:     global_buffer
      - .offset:         40
        .size:           4
        .value_kind:     by_value
      - .offset:         48
        .size:           8
        .value_kind:     by_value
      - .actual_access:  read_only
        .address_space:  global
        .offset:         56
        .size:           8
        .value_kind:     global_buffer
      - .actual_access:  read_only
        .address_space:  global
        .offset:         64
        .size:           8
        .value_kind:     global_buffer
      - .actual_access:  read_only
        .address_space:  global
        .offset:         72
        .size:           8
        .value_kind:     global_buffer
      - .actual_access:  read_only
        .address_space:  global
        .offset:         80
        .size:           8
        .value_kind:     global_buffer
      - .offset:         88
        .size:           8
        .value_kind:     by_value
      - .address_space:  global
        .offset:         96
        .size:           8
        .value_kind:     global_buffer
      - .offset:         104
        .size:           4
        .value_kind:     by_value
      - .offset:         108
        .size:           1
        .value_kind:     by_value
    .group_segment_fixed_size: 0
    .kernarg_segment_align: 8
    .kernarg_segment_size: 112
    .language:       OpenCL C
    .language_version:
      - 2
      - 0
    .max_flat_workgroup_size: 256
    .name:           _ZN9rocsparseL41csrmvn_lrb_medium_rows_warp_reduce_kernelILj256ELj32EliffffEEvbT1_lPT2_S3_jNS_24const_host_device_scalarIT6_EEPKS1_PKS2_PKT3_PKT4_S6_PT5_21rocsparse_index_base_b
    .private_segment_fixed_size: 0
    .sgpr_count:     22
    .sgpr_spill_count: 0
    .symbol:         _ZN9rocsparseL41csrmvn_lrb_medium_rows_warp_reduce_kernelILj256ELj32EliffffEEvbT1_lPT2_S3_jNS_24const_host_device_scalarIT6_EEPKS1_PKS2_PKT3_PKT4_S6_PT5_21rocsparse_index_base_b.kd
    .uniform_work_group_size: 1
    .uses_dynamic_stack: false
    .vgpr_count:     15
    .vgpr_spill_count: 0
    .wavefront_size: 32
    .workgroup_processor_mode: 1
  - .args:
      - .offset:         0
        .size:           1
        .value_kind:     by_value
      - .offset:         8
        .size:           8
        .value_kind:     by_value
      - .offset:         16
        .size:           8
        .value_kind:     by_value
      - .actual_access:  read_only
        .address_space:  global
        .offset:         24
        .size:           8
        .value_kind:     global_buffer
      - .actual_access:  read_only
        .address_space:  global
        .offset:         32
        .size:           8
        .value_kind:     global_buffer
      - .offset:         40
        .size:           4
        .value_kind:     by_value
      - .offset:         48
        .size:           8
        .value_kind:     by_value
      - .actual_access:  read_only
        .address_space:  global
        .offset:         56
        .size:           8
        .value_kind:     global_buffer
      - .actual_access:  read_only
        .address_space:  global
        .offset:         64
        .size:           8
        .value_kind:     global_buffer
      - .actual_access:  read_only
        .address_space:  global
        .offset:         72
        .size:           8
        .value_kind:     global_buffer
      - .actual_access:  read_only
        .address_space:  global
        .offset:         80
        .size:           8
        .value_kind:     global_buffer
      - .offset:         88
        .size:           8
        .value_kind:     by_value
      - .address_space:  global
        .offset:         96
        .size:           8
        .value_kind:     global_buffer
      - .offset:         104
        .size:           4
        .value_kind:     by_value
      - .offset:         108
        .size:           1
        .value_kind:     by_value
    .group_segment_fixed_size: 0
    .kernarg_segment_align: 8
    .kernarg_segment_size: 112
    .language:       OpenCL C
    .language_version:
      - 2
      - 0
    .max_flat_workgroup_size: 256
    .name:           _ZN9rocsparseL41csrmvn_lrb_medium_rows_warp_reduce_kernelILj256ELj64EliffffEEvbT1_lPT2_S3_jNS_24const_host_device_scalarIT6_EEPKS1_PKS2_PKT3_PKT4_S6_PT5_21rocsparse_index_base_b
    .private_segment_fixed_size: 0
    .sgpr_count:     22
    .sgpr_spill_count: 0
    .symbol:         _ZN9rocsparseL41csrmvn_lrb_medium_rows_warp_reduce_kernelILj256ELj64EliffffEEvbT1_lPT2_S3_jNS_24const_host_device_scalarIT6_EEPKS1_PKS2_PKT3_PKT4_S6_PT5_21rocsparse_index_base_b.kd
    .uniform_work_group_size: 1
    .uses_dynamic_stack: false
    .vgpr_count:     15
    .vgpr_spill_count: 0
    .wavefront_size: 32
    .workgroup_processor_mode: 1
  - .args:
      - .offset:         0
        .size:           1
        .value_kind:     by_value
      - .offset:         8
        .size:           8
        .value_kind:     by_value
      - .actual_access:  read_only
        .address_space:  global
        .offset:         16
        .size:           8
        .value_kind:     global_buffer
      - .actual_access:  read_only
        .address_space:  global
        .offset:         24
        .size:           8
        .value_kind:     global_buffer
      - .offset:         32
        .size:           4
        .value_kind:     by_value
      - .offset:         40
        .size:           8
        .value_kind:     by_value
      - .actual_access:  read_only
        .address_space:  global
        .offset:         48
        .size:           8
        .value_kind:     global_buffer
      - .actual_access:  read_only
        .address_space:  global
        .offset:         56
        .size:           8
        .value_kind:     global_buffer
      - .actual_access:  read_only
        .address_space:  global
        .offset:         64
        .size:           8
        .value_kind:     global_buffer
      - .actual_access:  read_only
        .address_space:  global
        .offset:         72
        .size:           8
        .value_kind:     global_buffer
      - .offset:         80
        .size:           8
        .value_kind:     by_value
      - .address_space:  global
        .offset:         88
        .size:           8
        .value_kind:     global_buffer
      - .offset:         96
        .size:           4
        .value_kind:     by_value
      - .offset:         100
        .size:           1
        .value_kind:     by_value
    .group_segment_fixed_size: 1024
    .kernarg_segment_align: 8
    .kernarg_segment_size: 104
    .language:       OpenCL C
    .language_version:
      - 2
      - 0
    .max_flat_workgroup_size: 256
    .name:           _ZN9rocsparseL29csrmvn_lrb_medium_rows_kernelILj256EliffffEEvbT0_PT1_S3_jNS_24const_host_device_scalarIT5_EEPKS1_PKS2_PKT2_PKT3_S6_PT4_21rocsparse_index_base_b
    .private_segment_fixed_size: 0
    .sgpr_count:     22
    .sgpr_spill_count: 0
    .symbol:         _ZN9rocsparseL29csrmvn_lrb_medium_rows_kernelILj256EliffffEEvbT0_PT1_S3_jNS_24const_host_device_scalarIT5_EEPKS1_PKS2_PKT2_PKT3_S6_PT4_21rocsparse_index_base_b.kd
    .uniform_work_group_size: 1
    .uses_dynamic_stack: false
    .vgpr_count:     11
    .vgpr_spill_count: 0
    .wavefront_size: 32
    .workgroup_processor_mode: 1
  - .args:
      - .offset:         0
        .size:           1
        .value_kind:     by_value
      - .offset:         8
        .size:           8
        .value_kind:     by_value
      - .address_space:  global
        .offset:         16
        .size:           8
        .value_kind:     global_buffer
      - .actual_access:  read_only
        .address_space:  global
        .offset:         24
        .size:           8
        .value_kind:     global_buffer
      - .actual_access:  read_only
        .address_space:  global
        .offset:         32
        .size:           8
        .value_kind:     global_buffer
      - .offset:         40
        .size:           4
        .value_kind:     by_value
      - .offset:         48
        .size:           8
        .value_kind:     by_value
      - .actual_access:  read_only
        .address_space:  global
        .offset:         56
        .size:           8
        .value_kind:     global_buffer
      - .actual_access:  read_only
        .address_space:  global
        .offset:         64
        .size:           8
        .value_kind:     global_buffer
      - .actual_access:  read_only
        .address_space:  global
        .offset:         72
        .size:           8
        .value_kind:     global_buffer
      - .actual_access:  read_only
        .address_space:  global
        .offset:         80
        .size:           8
        .value_kind:     global_buffer
      - .offset:         88
        .size:           8
        .value_kind:     by_value
      - .address_space:  global
        .offset:         96
        .size:           8
        .value_kind:     global_buffer
      - .offset:         104
        .size:           4
        .value_kind:     by_value
      - .offset:         108
        .size:           1
        .value_kind:     by_value
    .group_segment_fixed_size: 1024
    .kernarg_segment_align: 8
    .kernarg_segment_size: 112
    .language:       OpenCL C
    .language_version:
      - 2
      - 0
    .max_flat_workgroup_size: 256
    .name:           _ZN9rocsparseL27csrmvn_lrb_long_rows_kernelIliffffEEvbT_PjPT0_S4_jNS_24const_host_device_scalarIT4_EEPKS1_PKS3_PKT1_PKT2_S7_PT3_21rocsparse_index_base_b
    .private_segment_fixed_size: 0
    .sgpr_count:     30
    .sgpr_spill_count: 0
    .symbol:         _ZN9rocsparseL27csrmvn_lrb_long_rows_kernelIliffffEEvbT_PjPT0_S4_jNS_24const_host_device_scalarIT4_EEPKS1_PKS3_PKT1_PKT2_S7_PT3_21rocsparse_index_base_b.kd
    .uniform_work_group_size: 1
    .uses_dynamic_stack: false
    .vgpr_count:     11
    .vgpr_spill_count: 0
    .wavefront_size: 32
    .workgroup_processor_mode: 1
  - .args:
      - .offset:         0
        .size:           1
        .value_kind:     by_value
      - .offset:         8
        .size:           8
        .value_kind:     by_value
      - .actual_access:  read_only
        .address_space:  global
        .offset:         16
        .size:           8
        .value_kind:     global_buffer
      - .actual_access:  read_only
        .address_space:  global
        .offset:         24
        .size:           8
        .value_kind:     global_buffer
      - .offset:         32
        .size:           4
        .value_kind:     by_value
      - .offset:         40
        .size:           8
        .value_kind:     by_value
      - .actual_access:  read_only
        .address_space:  global
        .offset:         48
        .size:           8
        .value_kind:     global_buffer
      - .actual_access:  read_only
        .address_space:  global
        .offset:         56
        .size:           8
        .value_kind:     global_buffer
      - .actual_access:  read_only
        .address_space:  global
        .offset:         64
        .size:           8
        .value_kind:     global_buffer
      - .actual_access:  read_only
        .address_space:  global
        .offset:         72
        .size:           8
        .value_kind:     global_buffer
      - .offset:         80
        .size:           8
        .value_kind:     by_value
      - .address_space:  global
        .offset:         88
        .size:           8
        .value_kind:     global_buffer
      - .offset:         96
        .size:           4
        .value_kind:     by_value
      - .offset:         100
        .size:           1
        .value_kind:     by_value
    .group_segment_fixed_size: 0
    .kernarg_segment_align: 8
    .kernarg_segment_size: 104
    .language:       OpenCL C
    .language_version:
      - 2
      - 0
    .max_flat_workgroup_size: 256
    .name:           _ZN9rocsparseL28csrmvn_lrb_short_rows_kernelIllffffEEvbT_PT0_S3_jNS_24const_host_device_scalarIT4_EEPKS1_PKS2_PKT1_PKT2_S6_PT3_21rocsparse_index_base_b
    .private_segment_fixed_size: 0
    .sgpr_count:     28
    .sgpr_spill_count: 0
    .symbol:         _ZN9rocsparseL28csrmvn_lrb_short_rows_kernelIllffffEEvbT_PT0_S3_jNS_24const_host_device_scalarIT4_EEPKS1_PKS2_PKT1_PKT2_S6_PT3_21rocsparse_index_base_b.kd
    .uniform_work_group_size: 1
    .uses_dynamic_stack: false
    .vgpr_count:     10
    .vgpr_spill_count: 0
    .wavefront_size: 32
    .workgroup_processor_mode: 1
  - .args:
      - .offset:         0
        .size:           1
        .value_kind:     by_value
      - .offset:         8
        .size:           8
        .value_kind:     by_value
      - .actual_access:  read_only
        .address_space:  global
        .offset:         16
        .size:           8
        .value_kind:     global_buffer
      - .actual_access:  read_only
        .address_space:  global
        .offset:         24
        .size:           8
        .value_kind:     global_buffer
      - .offset:         32
        .size:           4
        .value_kind:     by_value
      - .offset:         40
        .size:           8
        .value_kind:     by_value
      - .actual_access:  read_only
        .address_space:  global
        .offset:         48
        .size:           8
        .value_kind:     global_buffer
      - .actual_access:  read_only
        .address_space:  global
        .offset:         56
        .size:           8
        .value_kind:     global_buffer
      - .actual_access:  read_only
        .address_space:  global
        .offset:         64
        .size:           8
        .value_kind:     global_buffer
      - .actual_access:  read_only
        .address_space:  global
        .offset:         72
        .size:           8
        .value_kind:     global_buffer
      - .offset:         80
        .size:           8
        .value_kind:     by_value
      - .address_space:  global
        .offset:         88
        .size:           8
        .value_kind:     global_buffer
      - .offset:         96
        .size:           4
        .value_kind:     by_value
      - .offset:         100
        .size:           1
        .value_kind:     by_value
    .group_segment_fixed_size: 4096
    .kernarg_segment_align: 8
    .kernarg_segment_size: 104
    .language:       OpenCL C
    .language_version:
      - 2
      - 0
    .max_flat_workgroup_size: 256
    .name:           _ZN9rocsparseL30csrmvn_lrb_short_rows_2_kernelIllffffEEvbT_PT0_S3_jNS_24const_host_device_scalarIT4_EEPKS1_PKS2_PKT1_PKT2_S6_PT3_21rocsparse_index_base_b
    .private_segment_fixed_size: 0
    .sgpr_count:     26
    .sgpr_spill_count: 0
    .symbol:         _ZN9rocsparseL30csrmvn_lrb_short_rows_2_kernelIllffffEEvbT_PT0_S3_jNS_24const_host_device_scalarIT4_EEPKS1_PKS2_PKT1_PKT2_S6_PT3_21rocsparse_index_base_b.kd
    .uniform_work_group_size: 1
    .uses_dynamic_stack: false
    .vgpr_count:     9
    .vgpr_spill_count: 0
    .wavefront_size: 32
    .workgroup_processor_mode: 1
  - .args:
      - .offset:         0
        .size:           1
        .value_kind:     by_value
      - .offset:         8
        .size:           8
        .value_kind:     by_value
      - .offset:         16
        .size:           8
        .value_kind:     by_value
      - .actual_access:  read_only
        .address_space:  global
        .offset:         24
        .size:           8
        .value_kind:     global_buffer
      - .actual_access:  read_only
        .address_space:  global
        .offset:         32
        .size:           8
        .value_kind:     global_buffer
      - .offset:         40
        .size:           4
        .value_kind:     by_value
      - .offset:         48
        .size:           8
        .value_kind:     by_value
      - .actual_access:  read_only
        .address_space:  global
        .offset:         56
        .size:           8
        .value_kind:     global_buffer
      - .actual_access:  read_only
        .address_space:  global
        .offset:         64
        .size:           8
        .value_kind:     global_buffer
      - .actual_access:  read_only
        .address_space:  global
        .offset:         72
        .size:           8
        .value_kind:     global_buffer
      - .actual_access:  read_only
        .address_space:  global
        .offset:         80
        .size:           8
        .value_kind:     global_buffer
      - .offset:         88
        .size:           8
        .value_kind:     by_value
      - .address_space:  global
        .offset:         96
        .size:           8
        .value_kind:     global_buffer
      - .offset:         104
        .size:           4
        .value_kind:     by_value
      - .offset:         108
        .size:           1
        .value_kind:     by_value
    .group_segment_fixed_size: 0
    .kernarg_segment_align: 8
    .kernarg_segment_size: 112
    .language:       OpenCL C
    .language_version:
      - 2
      - 0
    .max_flat_workgroup_size: 256
    .name:           _ZN9rocsparseL41csrmvn_lrb_medium_rows_warp_reduce_kernelILj256ELj32EllffffEEvbT1_lPT2_S3_jNS_24const_host_device_scalarIT6_EEPKS1_PKS2_PKT3_PKT4_S6_PT5_21rocsparse_index_base_b
    .private_segment_fixed_size: 0
    .sgpr_count:     22
    .sgpr_spill_count: 0
    .symbol:         _ZN9rocsparseL41csrmvn_lrb_medium_rows_warp_reduce_kernelILj256ELj32EllffffEEvbT1_lPT2_S3_jNS_24const_host_device_scalarIT6_EEPKS1_PKS2_PKT3_PKT4_S6_PT5_21rocsparse_index_base_b.kd
    .uniform_work_group_size: 1
    .uses_dynamic_stack: false
    .vgpr_count:     15
    .vgpr_spill_count: 0
    .wavefront_size: 32
    .workgroup_processor_mode: 1
  - .args:
      - .offset:         0
        .size:           1
        .value_kind:     by_value
      - .offset:         8
        .size:           8
        .value_kind:     by_value
      - .offset:         16
        .size:           8
        .value_kind:     by_value
      - .actual_access:  read_only
        .address_space:  global
        .offset:         24
        .size:           8
        .value_kind:     global_buffer
      - .actual_access:  read_only
        .address_space:  global
        .offset:         32
        .size:           8
        .value_kind:     global_buffer
      - .offset:         40
        .size:           4
        .value_kind:     by_value
      - .offset:         48
        .size:           8
        .value_kind:     by_value
      - .actual_access:  read_only
        .address_space:  global
        .offset:         56
        .size:           8
        .value_kind:     global_buffer
      - .actual_access:  read_only
        .address_space:  global
        .offset:         64
        .size:           8
        .value_kind:     global_buffer
      - .actual_access:  read_only
        .address_space:  global
        .offset:         72
        .size:           8
        .value_kind:     global_buffer
      - .actual_access:  read_only
        .address_space:  global
        .offset:         80
        .size:           8
        .value_kind:     global_buffer
      - .offset:         88
        .size:           8
        .value_kind:     by_value
      - .address_space:  global
        .offset:         96
        .size:           8
        .value_kind:     global_buffer
      - .offset:         104
        .size:           4
        .value_kind:     by_value
      - .offset:         108
        .size:           1
        .value_kind:     by_value
    .group_segment_fixed_size: 0
    .kernarg_segment_align: 8
    .kernarg_segment_size: 112
    .language:       OpenCL C
    .language_version:
      - 2
      - 0
    .max_flat_workgroup_size: 256
    .name:           _ZN9rocsparseL41csrmvn_lrb_medium_rows_warp_reduce_kernelILj256ELj64EllffffEEvbT1_lPT2_S3_jNS_24const_host_device_scalarIT6_EEPKS1_PKS2_PKT3_PKT4_S6_PT5_21rocsparse_index_base_b
    .private_segment_fixed_size: 0
    .sgpr_count:     22
    .sgpr_spill_count: 0
    .symbol:         _ZN9rocsparseL41csrmvn_lrb_medium_rows_warp_reduce_kernelILj256ELj64EllffffEEvbT1_lPT2_S3_jNS_24const_host_device_scalarIT6_EEPKS1_PKS2_PKT3_PKT4_S6_PT5_21rocsparse_index_base_b.kd
    .uniform_work_group_size: 1
    .uses_dynamic_stack: false
    .vgpr_count:     15
    .vgpr_spill_count: 0
    .wavefront_size: 32
    .workgroup_processor_mode: 1
  - .args:
      - .offset:         0
        .size:           1
        .value_kind:     by_value
      - .offset:         8
        .size:           8
        .value_kind:     by_value
      - .actual_access:  read_only
        .address_space:  global
        .offset:         16
        .size:           8
        .value_kind:     global_buffer
      - .actual_access:  read_only
        .address_space:  global
        .offset:         24
        .size:           8
        .value_kind:     global_buffer
      - .offset:         32
        .size:           4
        .value_kind:     by_value
      - .offset:         40
        .size:           8
        .value_kind:     by_value
      - .actual_access:  read_only
        .address_space:  global
        .offset:         48
        .size:           8
        .value_kind:     global_buffer
      - .actual_access:  read_only
        .address_space:  global
        .offset:         56
        .size:           8
        .value_kind:     global_buffer
      - .actual_access:  read_only
        .address_space:  global
        .offset:         64
        .size:           8
        .value_kind:     global_buffer
      - .actual_access:  read_only
        .address_space:  global
        .offset:         72
        .size:           8
        .value_kind:     global_buffer
      - .offset:         80
        .size:           8
        .value_kind:     by_value
      - .address_space:  global
        .offset:         88
        .size:           8
        .value_kind:     global_buffer
      - .offset:         96
        .size:           4
        .value_kind:     by_value
      - .offset:         100
        .size:           1
        .value_kind:     by_value
    .group_segment_fixed_size: 1024
    .kernarg_segment_align: 8
    .kernarg_segment_size: 104
    .language:       OpenCL C
    .language_version:
      - 2
      - 0
    .max_flat_workgroup_size: 256
    .name:           _ZN9rocsparseL29csrmvn_lrb_medium_rows_kernelILj256EllffffEEvbT0_PT1_S3_jNS_24const_host_device_scalarIT5_EEPKS1_PKS2_PKT2_PKT3_S6_PT4_21rocsparse_index_base_b
    .private_segment_fixed_size: 0
    .sgpr_count:     22
    .sgpr_spill_count: 0
    .symbol:         _ZN9rocsparseL29csrmvn_lrb_medium_rows_kernelILj256EllffffEEvbT0_PT1_S3_jNS_24const_host_device_scalarIT5_EEPKS1_PKS2_PKT2_PKT3_S6_PT4_21rocsparse_index_base_b.kd
    .uniform_work_group_size: 1
    .uses_dynamic_stack: false
    .vgpr_count:     11
    .vgpr_spill_count: 0
    .wavefront_size: 32
    .workgroup_processor_mode: 1
  - .args:
      - .offset:         0
        .size:           1
        .value_kind:     by_value
      - .offset:         8
        .size:           8
        .value_kind:     by_value
      - .address_space:  global
        .offset:         16
        .size:           8
        .value_kind:     global_buffer
      - .actual_access:  read_only
        .address_space:  global
        .offset:         24
        .size:           8
        .value_kind:     global_buffer
      - .actual_access:  read_only
        .address_space:  global
        .offset:         32
        .size:           8
        .value_kind:     global_buffer
      - .offset:         40
        .size:           4
        .value_kind:     by_value
      - .offset:         48
        .size:           8
        .value_kind:     by_value
      - .actual_access:  read_only
        .address_space:  global
        .offset:         56
        .size:           8
        .value_kind:     global_buffer
      - .actual_access:  read_only
        .address_space:  global
        .offset:         64
        .size:           8
        .value_kind:     global_buffer
      - .actual_access:  read_only
        .address_space:  global
        .offset:         72
        .size:           8
        .value_kind:     global_buffer
      - .actual_access:  read_only
        .address_space:  global
        .offset:         80
        .size:           8
        .value_kind:     global_buffer
      - .offset:         88
        .size:           8
        .value_kind:     by_value
      - .address_space:  global
        .offset:         96
        .size:           8
        .value_kind:     global_buffer
      - .offset:         104
        .size:           4
        .value_kind:     by_value
      - .offset:         108
        .size:           1
        .value_kind:     by_value
    .group_segment_fixed_size: 1024
    .kernarg_segment_align: 8
    .kernarg_segment_size: 112
    .language:       OpenCL C
    .language_version:
      - 2
      - 0
    .max_flat_workgroup_size: 256
    .name:           _ZN9rocsparseL27csrmvn_lrb_long_rows_kernelIllffffEEvbT_PjPT0_S4_jNS_24const_host_device_scalarIT4_EEPKS1_PKS3_PKT1_PKT2_S7_PT3_21rocsparse_index_base_b
    .private_segment_fixed_size: 0
    .sgpr_count:     30
    .sgpr_spill_count: 0
    .symbol:         _ZN9rocsparseL27csrmvn_lrb_long_rows_kernelIllffffEEvbT_PjPT0_S4_jNS_24const_host_device_scalarIT4_EEPKS1_PKS3_PKT1_PKT2_S7_PT3_21rocsparse_index_base_b.kd
    .uniform_work_group_size: 1
    .uses_dynamic_stack: false
    .vgpr_count:     11
    .vgpr_spill_count: 0
    .wavefront_size: 32
    .workgroup_processor_mode: 1
  - .args:
      - .offset:         0
        .size:           1
        .value_kind:     by_value
      - .offset:         4
        .size:           4
        .value_kind:     by_value
      - .actual_access:  read_only
        .address_space:  global
        .offset:         8
        .size:           8
        .value_kind:     global_buffer
      - .actual_access:  read_only
        .address_space:  global
        .offset:         16
        .size:           8
        .value_kind:     global_buffer
      - .offset:         24
        .size:           4
        .value_kind:     by_value
      - .offset:         32
        .size:           8
        .value_kind:     by_value
      - .actual_access:  read_only
        .address_space:  global
        .offset:         40
        .size:           8
        .value_kind:     global_buffer
      - .actual_access:  read_only
        .address_space:  global
        .offset:         48
        .size:           8
        .value_kind:     global_buffer
      - .actual_access:  read_only
        .address_space:  global
        .offset:         56
        .size:           8
        .value_kind:     global_buffer
      - .actual_access:  read_only
        .address_space:  global
        .offset:         64
        .size:           8
        .value_kind:     global_buffer
      - .offset:         72
        .size:           8
        .value_kind:     by_value
      - .address_space:  global
        .offset:         80
        .size:           8
        .value_kind:     global_buffer
      - .offset:         88
        .size:           4
        .value_kind:     by_value
      - .offset:         92
        .size:           1
        .value_kind:     by_value
    .group_segment_fixed_size: 0
    .kernarg_segment_align: 8
    .kernarg_segment_size: 96
    .language:       OpenCL C
    .language_version:
      - 2
      - 0
    .max_flat_workgroup_size: 256
    .name:           _ZN9rocsparseL28csrmvn_lrb_short_rows_kernelIiiddddEEvbT_PT0_S3_jNS_24const_host_device_scalarIT4_EEPKS1_PKS2_PKT1_PKT2_S6_PT3_21rocsparse_index_base_b
    .private_segment_fixed_size: 0
    .sgpr_count:     23
    .sgpr_spill_count: 0
    .symbol:         _ZN9rocsparseL28csrmvn_lrb_short_rows_kernelIiiddddEEvbT_PT0_S3_jNS_24const_host_device_scalarIT4_EEPKS1_PKS2_PKT1_PKT2_S6_PT3_21rocsparse_index_base_b.kd
    .uniform_work_group_size: 1
    .uses_dynamic_stack: false
    .vgpr_count:     14
    .vgpr_spill_count: 0
    .wavefront_size: 32
    .workgroup_processor_mode: 1
  - .args:
      - .offset:         0
        .size:           1
        .value_kind:     by_value
      - .offset:         4
        .size:           4
        .value_kind:     by_value
      - .actual_access:  read_only
        .address_space:  global
        .offset:         8
        .size:           8
        .value_kind:     global_buffer
      - .actual_access:  read_only
        .address_space:  global
        .offset:         16
        .size:           8
        .value_kind:     global_buffer
      - .offset:         24
        .size:           4
        .value_kind:     by_value
      - .offset:         32
        .size:           8
        .value_kind:     by_value
      - .actual_access:  read_only
        .address_space:  global
        .offset:         40
        .size:           8
        .value_kind:     global_buffer
      - .actual_access:  read_only
        .address_space:  global
        .offset:         48
        .size:           8
        .value_kind:     global_buffer
      - .actual_access:  read_only
        .address_space:  global
        .offset:         56
        .size:           8
        .value_kind:     global_buffer
      - .actual_access:  read_only
        .address_space:  global
        .offset:         64
        .size:           8
        .value_kind:     global_buffer
      - .offset:         72
        .size:           8
        .value_kind:     by_value
      - .address_space:  global
        .offset:         80
        .size:           8
        .value_kind:     global_buffer
      - .offset:         88
        .size:           4
        .value_kind:     by_value
      - .offset:         92
        .size:           1
        .value_kind:     by_value
    .group_segment_fixed_size: 8192
    .kernarg_segment_align: 8
    .kernarg_segment_size: 96
    .language:       OpenCL C
    .language_version:
      - 2
      - 0
    .max_flat_workgroup_size: 256
    .name:           _ZN9rocsparseL30csrmvn_lrb_short_rows_2_kernelIiiddddEEvbT_PT0_S3_jNS_24const_host_device_scalarIT4_EEPKS1_PKS2_PKT1_PKT2_S6_PT3_21rocsparse_index_base_b
    .private_segment_fixed_size: 0
    .sgpr_count:     22
    .sgpr_spill_count: 0
    .symbol:         _ZN9rocsparseL30csrmvn_lrb_short_rows_2_kernelIiiddddEEvbT_PT0_S3_jNS_24const_host_device_scalarIT4_EEPKS1_PKS2_PKT1_PKT2_S6_PT3_21rocsparse_index_base_b.kd
    .uniform_work_group_size: 1
    .uses_dynamic_stack: false
    .vgpr_count:     13
    .vgpr_spill_count: 0
    .wavefront_size: 32
    .workgroup_processor_mode: 1
  - .args:
      - .offset:         0
        .size:           1
        .value_kind:     by_value
      - .offset:         4
        .size:           4
        .value_kind:     by_value
      - .offset:         8
        .size:           8
        .value_kind:     by_value
      - .actual_access:  read_only
        .address_space:  global
        .offset:         16
        .size:           8
        .value_kind:     global_buffer
      - .actual_access:  read_only
        .address_space:  global
        .offset:         24
        .size:           8
        .value_kind:     global_buffer
      - .offset:         32
        .size:           4
        .value_kind:     by_value
      - .offset:         40
        .size:           8
        .value_kind:     by_value
      - .actual_access:  read_only
        .address_space:  global
        .offset:         48
        .size:           8
        .value_kind:     global_buffer
      - .actual_access:  read_only
        .address_space:  global
        .offset:         56
        .size:           8
        .value_kind:     global_buffer
      - .actual_access:  read_only
        .address_space:  global
        .offset:         64
        .size:           8
        .value_kind:     global_buffer
      - .actual_access:  read_only
        .address_space:  global
        .offset:         72
        .size:           8
        .value_kind:     global_buffer
      - .offset:         80
        .size:           8
        .value_kind:     by_value
      - .address_space:  global
        .offset:         88
        .size:           8
        .value_kind:     global_buffer
      - .offset:         96
        .size:           4
        .value_kind:     by_value
      - .offset:         100
        .size:           1
        .value_kind:     by_value
    .group_segment_fixed_size: 0
    .kernarg_segment_align: 8
    .kernarg_segment_size: 104
    .language:       OpenCL C
    .language_version:
      - 2
      - 0
    .max_flat_workgroup_size: 256
    .name:           _ZN9rocsparseL41csrmvn_lrb_medium_rows_warp_reduce_kernelILj256ELj32EiiddddEEvbT1_lPT2_S3_jNS_24const_host_device_scalarIT6_EEPKS1_PKS2_PKT3_PKT4_S6_PT5_21rocsparse_index_base_b
    .private_segment_fixed_size: 0
    .sgpr_count:     18
    .sgpr_spill_count: 0
    .symbol:         _ZN9rocsparseL41csrmvn_lrb_medium_rows_warp_reduce_kernelILj256ELj32EiiddddEEvbT1_lPT2_S3_jNS_24const_host_device_scalarIT6_EEPKS1_PKS2_PKT3_PKT4_S6_PT5_21rocsparse_index_base_b.kd
    .uniform_work_group_size: 1
    .uses_dynamic_stack: false
    .vgpr_count:     16
    .vgpr_spill_count: 0
    .wavefront_size: 32
    .workgroup_processor_mode: 1
  - .args:
      - .offset:         0
        .size:           1
        .value_kind:     by_value
      - .offset:         4
        .size:           4
        .value_kind:     by_value
      - .offset:         8
        .size:           8
        .value_kind:     by_value
      - .actual_access:  read_only
        .address_space:  global
        .offset:         16
        .size:           8
        .value_kind:     global_buffer
      - .actual_access:  read_only
        .address_space:  global
        .offset:         24
        .size:           8
        .value_kind:     global_buffer
      - .offset:         32
        .size:           4
        .value_kind:     by_value
      - .offset:         40
        .size:           8
        .value_kind:     by_value
      - .actual_access:  read_only
        .address_space:  global
        .offset:         48
        .size:           8
        .value_kind:     global_buffer
      - .actual_access:  read_only
        .address_space:  global
        .offset:         56
        .size:           8
        .value_kind:     global_buffer
      - .actual_access:  read_only
        .address_space:  global
        .offset:         64
        .size:           8
        .value_kind:     global_buffer
      - .actual_access:  read_only
        .address_space:  global
        .offset:         72
        .size:           8
        .value_kind:     global_buffer
      - .offset:         80
        .size:           8
        .value_kind:     by_value
      - .address_space:  global
        .offset:         88
        .size:           8
        .value_kind:     global_buffer
      - .offset:         96
        .size:           4
        .value_kind:     by_value
      - .offset:         100
        .size:           1
        .value_kind:     by_value
    .group_segment_fixed_size: 0
    .kernarg_segment_align: 8
    .kernarg_segment_size: 104
    .language:       OpenCL C
    .language_version:
      - 2
      - 0
    .max_flat_workgroup_size: 256
    .name:           _ZN9rocsparseL41csrmvn_lrb_medium_rows_warp_reduce_kernelILj256ELj64EiiddddEEvbT1_lPT2_S3_jNS_24const_host_device_scalarIT6_EEPKS1_PKS2_PKT3_PKT4_S6_PT5_21rocsparse_index_base_b
    .private_segment_fixed_size: 0
    .sgpr_count:     18
    .sgpr_spill_count: 0
    .symbol:         _ZN9rocsparseL41csrmvn_lrb_medium_rows_warp_reduce_kernelILj256ELj64EiiddddEEvbT1_lPT2_S3_jNS_24const_host_device_scalarIT6_EEPKS1_PKS2_PKT3_PKT4_S6_PT5_21rocsparse_index_base_b.kd
    .uniform_work_group_size: 1
    .uses_dynamic_stack: false
    .vgpr_count:     16
    .vgpr_spill_count: 0
    .wavefront_size: 32
    .workgroup_processor_mode: 1
  - .args:
      - .offset:         0
        .size:           1
        .value_kind:     by_value
      - .offset:         4
        .size:           4
        .value_kind:     by_value
      - .actual_access:  read_only
        .address_space:  global
        .offset:         8
        .size:           8
        .value_kind:     global_buffer
      - .actual_access:  read_only
        .address_space:  global
        .offset:         16
        .size:           8
        .value_kind:     global_buffer
      - .offset:         24
        .size:           4
        .value_kind:     by_value
      - .offset:         32
        .size:           8
        .value_kind:     by_value
      - .actual_access:  read_only
        .address_space:  global
        .offset:         40
        .size:           8
        .value_kind:     global_buffer
      - .actual_access:  read_only
        .address_space:  global
        .offset:         48
        .size:           8
        .value_kind:     global_buffer
      - .actual_access:  read_only
        .address_space:  global
        .offset:         56
        .size:           8
        .value_kind:     global_buffer
      - .actual_access:  read_only
        .address_space:  global
        .offset:         64
        .size:           8
        .value_kind:     global_buffer
      - .offset:         72
        .size:           8
        .value_kind:     by_value
      - .address_space:  global
        .offset:         80
        .size:           8
        .value_kind:     global_buffer
      - .offset:         88
        .size:           4
        .value_kind:     by_value
      - .offset:         92
        .size:           1
        .value_kind:     by_value
    .group_segment_fixed_size: 2048
    .kernarg_segment_align: 8
    .kernarg_segment_size: 96
    .language:       OpenCL C
    .language_version:
      - 2
      - 0
    .max_flat_workgroup_size: 256
    .name:           _ZN9rocsparseL29csrmvn_lrb_medium_rows_kernelILj256EiiddddEEvbT0_PT1_S3_jNS_24const_host_device_scalarIT5_EEPKS1_PKS2_PKT2_PKT3_S6_PT4_21rocsparse_index_base_b
    .private_segment_fixed_size: 0
    .sgpr_count:     18
    .sgpr_spill_count: 0
    .symbol:         _ZN9rocsparseL29csrmvn_lrb_medium_rows_kernelILj256EiiddddEEvbT0_PT1_S3_jNS_24const_host_device_scalarIT5_EEPKS1_PKS2_PKT2_PKT3_S6_PT4_21rocsparse_index_base_b.kd
    .uniform_work_group_size: 1
    .uses_dynamic_stack: false
    .vgpr_count:     12
    .vgpr_spill_count: 0
    .wavefront_size: 32
    .workgroup_processor_mode: 1
  - .args:
      - .offset:         0
        .size:           1
        .value_kind:     by_value
      - .offset:         4
        .size:           4
        .value_kind:     by_value
      - .address_space:  global
        .offset:         8
        .size:           8
        .value_kind:     global_buffer
      - .actual_access:  read_only
        .address_space:  global
        .offset:         16
        .size:           8
        .value_kind:     global_buffer
      - .actual_access:  read_only
        .address_space:  global
        .offset:         24
        .size:           8
        .value_kind:     global_buffer
      - .offset:         32
        .size:           4
        .value_kind:     by_value
      - .offset:         40
        .size:           8
        .value_kind:     by_value
      - .actual_access:  read_only
        .address_space:  global
        .offset:         48
        .size:           8
        .value_kind:     global_buffer
      - .actual_access:  read_only
        .address_space:  global
        .offset:         56
        .size:           8
        .value_kind:     global_buffer
      - .actual_access:  read_only
        .address_space:  global
        .offset:         64
        .size:           8
        .value_kind:     global_buffer
      - .actual_access:  read_only
        .address_space:  global
        .offset:         72
        .size:           8
        .value_kind:     global_buffer
      - .offset:         80
        .size:           8
        .value_kind:     by_value
      - .address_space:  global
        .offset:         88
        .size:           8
        .value_kind:     global_buffer
      - .offset:         96
        .size:           4
        .value_kind:     by_value
      - .offset:         100
        .size:           1
        .value_kind:     by_value
    .group_segment_fixed_size: 2048
    .kernarg_segment_align: 8
    .kernarg_segment_size: 104
    .language:       OpenCL C
    .language_version:
      - 2
      - 0
    .max_flat_workgroup_size: 256
    .name:           _ZN9rocsparseL27csrmvn_lrb_long_rows_kernelIiiddddEEvbT_PjPT0_S4_jNS_24const_host_device_scalarIT4_EEPKS1_PKS3_PKT1_PKT2_S7_PT3_21rocsparse_index_base_b
    .private_segment_fixed_size: 0
    .sgpr_count:     26
    .sgpr_spill_count: 0
    .symbol:         _ZN9rocsparseL27csrmvn_lrb_long_rows_kernelIiiddddEEvbT_PjPT0_S4_jNS_24const_host_device_scalarIT4_EEPKS1_PKS3_PKT1_PKT2_S7_PT3_21rocsparse_index_base_b.kd
    .uniform_work_group_size: 1
    .uses_dynamic_stack: false
    .vgpr_count:     11
    .vgpr_spill_count: 0
    .wavefront_size: 32
    .workgroup_processor_mode: 1
  - .args:
      - .offset:         0
        .size:           1
        .value_kind:     by_value
      - .offset:         8
        .size:           8
        .value_kind:     by_value
      - .actual_access:  read_only
        .address_space:  global
        .offset:         16
        .size:           8
        .value_kind:     global_buffer
      - .actual_access:  read_only
        .address_space:  global
        .offset:         24
        .size:           8
        .value_kind:     global_buffer
      - .offset:         32
        .size:           4
        .value_kind:     by_value
      - .offset:         40
        .size:           8
        .value_kind:     by_value
      - .actual_access:  read_only
        .address_space:  global
        .offset:         48
        .size:           8
        .value_kind:     global_buffer
      - .actual_access:  read_only
        .address_space:  global
        .offset:         56
        .size:           8
        .value_kind:     global_buffer
      - .actual_access:  read_only
        .address_space:  global
        .offset:         64
        .size:           8
        .value_kind:     global_buffer
      - .actual_access:  read_only
        .address_space:  global
        .offset:         72
        .size:           8
        .value_kind:     global_buffer
      - .offset:         80
        .size:           8
        .value_kind:     by_value
      - .address_space:  global
        .offset:         88
        .size:           8
        .value_kind:     global_buffer
      - .offset:         96
        .size:           4
        .value_kind:     by_value
      - .offset:         100
        .size:           1
        .value_kind:     by_value
    .group_segment_fixed_size: 0
    .kernarg_segment_align: 8
    .kernarg_segment_size: 104
    .language:       OpenCL C
    .language_version:
      - 2
      - 0
    .max_flat_workgroup_size: 256
    .name:           _ZN9rocsparseL28csrmvn_lrb_short_rows_kernelIliddddEEvbT_PT0_S3_jNS_24const_host_device_scalarIT4_EEPKS1_PKS2_PKT1_PKT2_S6_PT3_21rocsparse_index_base_b
    .private_segment_fixed_size: 0
    .sgpr_count:     23
    .sgpr_spill_count: 0
    .symbol:         _ZN9rocsparseL28csrmvn_lrb_short_rows_kernelIliddddEEvbT_PT0_S3_jNS_24const_host_device_scalarIT4_EEPKS1_PKS2_PKT1_PKT2_S6_PT3_21rocsparse_index_base_b.kd
    .uniform_work_group_size: 1
    .uses_dynamic_stack: false
    .vgpr_count:     14
    .vgpr_spill_count: 0
    .wavefront_size: 32
    .workgroup_processor_mode: 1
  - .args:
      - .offset:         0
        .size:           1
        .value_kind:     by_value
      - .offset:         8
        .size:           8
        .value_kind:     by_value
      - .actual_access:  read_only
        .address_space:  global
        .offset:         16
        .size:           8
        .value_kind:     global_buffer
      - .actual_access:  read_only
        .address_space:  global
        .offset:         24
        .size:           8
        .value_kind:     global_buffer
      - .offset:         32
        .size:           4
        .value_kind:     by_value
      - .offset:         40
        .size:           8
        .value_kind:     by_value
      - .actual_access:  read_only
        .address_space:  global
        .offset:         48
        .size:           8
        .value_kind:     global_buffer
      - .actual_access:  read_only
        .address_space:  global
        .offset:         56
        .size:           8
        .value_kind:     global_buffer
      - .actual_access:  read_only
        .address_space:  global
        .offset:         64
        .size:           8
        .value_kind:     global_buffer
      - .actual_access:  read_only
        .address_space:  global
        .offset:         72
        .size:           8
        .value_kind:     global_buffer
      - .offset:         80
        .size:           8
        .value_kind:     by_value
      - .address_space:  global
        .offset:         88
        .size:           8
        .value_kind:     global_buffer
      - .offset:         96
        .size:           4
        .value_kind:     by_value
      - .offset:         100
        .size:           1
        .value_kind:     by_value
    .group_segment_fixed_size: 8192
    .kernarg_segment_align: 8
    .kernarg_segment_size: 104
    .language:       OpenCL C
    .language_version:
      - 2
      - 0
    .max_flat_workgroup_size: 256
    .name:           _ZN9rocsparseL30csrmvn_lrb_short_rows_2_kernelIliddddEEvbT_PT0_S3_jNS_24const_host_device_scalarIT4_EEPKS1_PKS2_PKT1_PKT2_S6_PT3_21rocsparse_index_base_b
    .private_segment_fixed_size: 0
    .sgpr_count:     22
    .sgpr_spill_count: 0
    .symbol:         _ZN9rocsparseL30csrmvn_lrb_short_rows_2_kernelIliddddEEvbT_PT0_S3_jNS_24const_host_device_scalarIT4_EEPKS1_PKS2_PKT1_PKT2_S6_PT3_21rocsparse_index_base_b.kd
    .uniform_work_group_size: 1
    .uses_dynamic_stack: false
    .vgpr_count:     11
    .vgpr_spill_count: 0
    .wavefront_size: 32
    .workgroup_processor_mode: 1
  - .args:
      - .offset:         0
        .size:           1
        .value_kind:     by_value
      - .offset:         8
        .size:           8
        .value_kind:     by_value
      - .offset:         16
        .size:           8
        .value_kind:     by_value
      - .actual_access:  read_only
        .address_space:  global
        .offset:         24
        .size:           8
        .value_kind:     global_buffer
      - .actual_access:  read_only
        .address_space:  global
        .offset:         32
        .size:           8
        .value_kind:     global_buffer
      - .offset:         40
        .size:           4
        .value_kind:     by_value
      - .offset:         48
        .size:           8
        .value_kind:     by_value
      - .actual_access:  read_only
        .address_space:  global
        .offset:         56
        .size:           8
        .value_kind:     global_buffer
      - .actual_access:  read_only
        .address_space:  global
        .offset:         64
        .size:           8
        .value_kind:     global_buffer
      - .actual_access:  read_only
        .address_space:  global
        .offset:         72
        .size:           8
        .value_kind:     global_buffer
      - .actual_access:  read_only
        .address_space:  global
        .offset:         80
        .size:           8
        .value_kind:     global_buffer
      - .offset:         88
        .size:           8
        .value_kind:     by_value
      - .address_space:  global
        .offset:         96
        .size:           8
        .value_kind:     global_buffer
      - .offset:         104
        .size:           4
        .value_kind:     by_value
      - .offset:         108
        .size:           1
        .value_kind:     by_value
    .group_segment_fixed_size: 0
    .kernarg_segment_align: 8
    .kernarg_segment_size: 112
    .language:       OpenCL C
    .language_version:
      - 2
      - 0
    .max_flat_workgroup_size: 256
    .name:           _ZN9rocsparseL41csrmvn_lrb_medium_rows_warp_reduce_kernelILj256ELj32EliddddEEvbT1_lPT2_S3_jNS_24const_host_device_scalarIT6_EEPKS1_PKS2_PKT3_PKT4_S6_PT5_21rocsparse_index_base_b
    .private_segment_fixed_size: 0
    .sgpr_count:     18
    .sgpr_spill_count: 0
    .symbol:         _ZN9rocsparseL41csrmvn_lrb_medium_rows_warp_reduce_kernelILj256ELj32EliddddEEvbT1_lPT2_S3_jNS_24const_host_device_scalarIT6_EEPKS1_PKS2_PKT3_PKT4_S6_PT5_21rocsparse_index_base_b.kd
    .uniform_work_group_size: 1
    .uses_dynamic_stack: false
    .vgpr_count:     21
    .vgpr_spill_count: 0
    .wavefront_size: 32
    .workgroup_processor_mode: 1
  - .args:
      - .offset:         0
        .size:           1
        .value_kind:     by_value
      - .offset:         8
        .size:           8
        .value_kind:     by_value
      - .offset:         16
        .size:           8
        .value_kind:     by_value
      - .actual_access:  read_only
        .address_space:  global
        .offset:         24
        .size:           8
        .value_kind:     global_buffer
      - .actual_access:  read_only
        .address_space:  global
        .offset:         32
        .size:           8
        .value_kind:     global_buffer
      - .offset:         40
        .size:           4
        .value_kind:     by_value
      - .offset:         48
        .size:           8
        .value_kind:     by_value
      - .actual_access:  read_only
        .address_space:  global
        .offset:         56
        .size:           8
        .value_kind:     global_buffer
      - .actual_access:  read_only
        .address_space:  global
        .offset:         64
        .size:           8
        .value_kind:     global_buffer
      - .actual_access:  read_only
        .address_space:  global
        .offset:         72
        .size:           8
        .value_kind:     global_buffer
      - .actual_access:  read_only
        .address_space:  global
        .offset:         80
        .size:           8
        .value_kind:     global_buffer
      - .offset:         88
        .size:           8
        .value_kind:     by_value
      - .address_space:  global
        .offset:         96
        .size:           8
        .value_kind:     global_buffer
      - .offset:         104
        .size:           4
        .value_kind:     by_value
      - .offset:         108
        .size:           1
        .value_kind:     by_value
    .group_segment_fixed_size: 0
    .kernarg_segment_align: 8
    .kernarg_segment_size: 112
    .language:       OpenCL C
    .language_version:
      - 2
      - 0
    .max_flat_workgroup_size: 256
    .name:           _ZN9rocsparseL41csrmvn_lrb_medium_rows_warp_reduce_kernelILj256ELj64EliddddEEvbT1_lPT2_S3_jNS_24const_host_device_scalarIT6_EEPKS1_PKS2_PKT3_PKT4_S6_PT5_21rocsparse_index_base_b
    .private_segment_fixed_size: 0
    .sgpr_count:     18
    .sgpr_spill_count: 0
    .symbol:         _ZN9rocsparseL41csrmvn_lrb_medium_rows_warp_reduce_kernelILj256ELj64EliddddEEvbT1_lPT2_S3_jNS_24const_host_device_scalarIT6_EEPKS1_PKS2_PKT3_PKT4_S6_PT5_21rocsparse_index_base_b.kd
    .uniform_work_group_size: 1
    .uses_dynamic_stack: false
    .vgpr_count:     21
    .vgpr_spill_count: 0
    .wavefront_size: 32
    .workgroup_processor_mode: 1
  - .args:
      - .offset:         0
        .size:           1
        .value_kind:     by_value
      - .offset:         8
        .size:           8
        .value_kind:     by_value
      - .actual_access:  read_only
        .address_space:  global
        .offset:         16
        .size:           8
        .value_kind:     global_buffer
      - .actual_access:  read_only
        .address_space:  global
        .offset:         24
        .size:           8
        .value_kind:     global_buffer
      - .offset:         32
        .size:           4
        .value_kind:     by_value
      - .offset:         40
        .size:           8
        .value_kind:     by_value
      - .actual_access:  read_only
        .address_space:  global
        .offset:         48
        .size:           8
        .value_kind:     global_buffer
      - .actual_access:  read_only
        .address_space:  global
        .offset:         56
        .size:           8
        .value_kind:     global_buffer
      - .actual_access:  read_only
        .address_space:  global
        .offset:         64
        .size:           8
        .value_kind:     global_buffer
      - .actual_access:  read_only
        .address_space:  global
        .offset:         72
        .size:           8
        .value_kind:     global_buffer
      - .offset:         80
        .size:           8
        .value_kind:     by_value
      - .address_space:  global
        .offset:         88
        .size:           8
        .value_kind:     global_buffer
      - .offset:         96
        .size:           4
        .value_kind:     by_value
      - .offset:         100
        .size:           1
        .value_kind:     by_value
    .group_segment_fixed_size: 2048
    .kernarg_segment_align: 8
    .kernarg_segment_size: 104
    .language:       OpenCL C
    .language_version:
      - 2
      - 0
    .max_flat_workgroup_size: 256
    .name:           _ZN9rocsparseL29csrmvn_lrb_medium_rows_kernelILj256EliddddEEvbT0_PT1_S3_jNS_24const_host_device_scalarIT5_EEPKS1_PKS2_PKT2_PKT3_S6_PT4_21rocsparse_index_base_b
    .private_segment_fixed_size: 0
    .sgpr_count:     22
    .sgpr_spill_count: 0
    .symbol:         _ZN9rocsparseL29csrmvn_lrb_medium_rows_kernelILj256EliddddEEvbT0_PT1_S3_jNS_24const_host_device_scalarIT5_EEPKS1_PKS2_PKT2_PKT3_S6_PT4_21rocsparse_index_base_b.kd
    .uniform_work_group_size: 1
    .uses_dynamic_stack: false
    .vgpr_count:     17
    .vgpr_spill_count: 0
    .wavefront_size: 32
    .workgroup_processor_mode: 1
  - .args:
      - .offset:         0
        .size:           1
        .value_kind:     by_value
      - .offset:         8
        .size:           8
        .value_kind:     by_value
      - .address_space:  global
        .offset:         16
        .size:           8
        .value_kind:     global_buffer
      - .actual_access:  read_only
        .address_space:  global
        .offset:         24
        .size:           8
        .value_kind:     global_buffer
      - .actual_access:  read_only
        .address_space:  global
        .offset:         32
        .size:           8
        .value_kind:     global_buffer
      - .offset:         40
        .size:           4
        .value_kind:     by_value
      - .offset:         48
        .size:           8
        .value_kind:     by_value
      - .actual_access:  read_only
        .address_space:  global
        .offset:         56
        .size:           8
        .value_kind:     global_buffer
      - .actual_access:  read_only
        .address_space:  global
        .offset:         64
        .size:           8
        .value_kind:     global_buffer
      - .actual_access:  read_only
        .address_space:  global
        .offset:         72
        .size:           8
        .value_kind:     global_buffer
      - .actual_access:  read_only
        .address_space:  global
        .offset:         80
        .size:           8
        .value_kind:     global_buffer
      - .offset:         88
        .size:           8
        .value_kind:     by_value
      - .address_space:  global
        .offset:         96
        .size:           8
        .value_kind:     global_buffer
      - .offset:         104
        .size:           4
        .value_kind:     by_value
      - .offset:         108
        .size:           1
        .value_kind:     by_value
    .group_segment_fixed_size: 2048
    .kernarg_segment_align: 8
    .kernarg_segment_size: 112
    .language:       OpenCL C
    .language_version:
      - 2
      - 0
    .max_flat_workgroup_size: 256
    .name:           _ZN9rocsparseL27csrmvn_lrb_long_rows_kernelIliddddEEvbT_PjPT0_S4_jNS_24const_host_device_scalarIT4_EEPKS1_PKS3_PKT1_PKT2_S7_PT3_21rocsparse_index_base_b
    .private_segment_fixed_size: 0
    .sgpr_count:     30
    .sgpr_spill_count: 0
    .symbol:         _ZN9rocsparseL27csrmvn_lrb_long_rows_kernelIliddddEEvbT_PjPT0_S4_jNS_24const_host_device_scalarIT4_EEPKS1_PKS3_PKT1_PKT2_S7_PT3_21rocsparse_index_base_b.kd
    .uniform_work_group_size: 1
    .uses_dynamic_stack: false
    .vgpr_count:     15
    .vgpr_spill_count: 0
    .wavefront_size: 32
    .workgroup_processor_mode: 1
  - .args:
      - .offset:         0
        .size:           1
        .value_kind:     by_value
      - .offset:         8
        .size:           8
        .value_kind:     by_value
      - .actual_access:  read_only
        .address_space:  global
        .offset:         16
        .size:           8
        .value_kind:     global_buffer
      - .actual_access:  read_only
        .address_space:  global
        .offset:         24
        .size:           8
        .value_kind:     global_buffer
      - .offset:         32
        .size:           4
        .value_kind:     by_value
      - .offset:         40
        .size:           8
        .value_kind:     by_value
      - .actual_access:  read_only
        .address_space:  global
        .offset:         48
        .size:           8
        .value_kind:     global_buffer
      - .actual_access:  read_only
        .address_space:  global
        .offset:         56
        .size:           8
        .value_kind:     global_buffer
      - .actual_access:  read_only
        .address_space:  global
        .offset:         64
        .size:           8
        .value_kind:     global_buffer
      - .actual_access:  read_only
        .address_space:  global
        .offset:         72
        .size:           8
        .value_kind:     global_buffer
      - .offset:         80
        .size:           8
        .value_kind:     by_value
      - .address_space:  global
        .offset:         88
        .size:           8
        .value_kind:     global_buffer
      - .offset:         96
        .size:           4
        .value_kind:     by_value
      - .offset:         100
        .size:           1
        .value_kind:     by_value
    .group_segment_fixed_size: 0
    .kernarg_segment_align: 8
    .kernarg_segment_size: 104
    .language:       OpenCL C
    .language_version:
      - 2
      - 0
    .max_flat_workgroup_size: 256
    .name:           _ZN9rocsparseL28csrmvn_lrb_short_rows_kernelIllddddEEvbT_PT0_S3_jNS_24const_host_device_scalarIT4_EEPKS1_PKS2_PKT1_PKT2_S6_PT3_21rocsparse_index_base_b
    .private_segment_fixed_size: 0
    .sgpr_count:     26
    .sgpr_spill_count: 0
    .symbol:         _ZN9rocsparseL28csrmvn_lrb_short_rows_kernelIllddddEEvbT_PT0_S3_jNS_24const_host_device_scalarIT4_EEPKS1_PKS2_PKT1_PKT2_S6_PT3_21rocsparse_index_base_b.kd
    .uniform_work_group_size: 1
    .uses_dynamic_stack: false
    .vgpr_count:     14
    .vgpr_spill_count: 0
    .wavefront_size: 32
    .workgroup_processor_mode: 1
  - .args:
      - .offset:         0
        .size:           1
        .value_kind:     by_value
      - .offset:         8
        .size:           8
        .value_kind:     by_value
      - .actual_access:  read_only
        .address_space:  global
        .offset:         16
        .size:           8
        .value_kind:     global_buffer
      - .actual_access:  read_only
        .address_space:  global
        .offset:         24
        .size:           8
        .value_kind:     global_buffer
      - .offset:         32
        .size:           4
        .value_kind:     by_value
      - .offset:         40
        .size:           8
        .value_kind:     by_value
      - .actual_access:  read_only
        .address_space:  global
        .offset:         48
        .size:           8
        .value_kind:     global_buffer
      - .actual_access:  read_only
        .address_space:  global
        .offset:         56
        .size:           8
        .value_kind:     global_buffer
      - .actual_access:  read_only
        .address_space:  global
        .offset:         64
        .size:           8
        .value_kind:     global_buffer
      - .actual_access:  read_only
        .address_space:  global
        .offset:         72
        .size:           8
        .value_kind:     global_buffer
      - .offset:         80
        .size:           8
        .value_kind:     by_value
      - .address_space:  global
        .offset:         88
        .size:           8
        .value_kind:     global_buffer
      - .offset:         96
        .size:           4
        .value_kind:     by_value
      - .offset:         100
        .size:           1
        .value_kind:     by_value
    .group_segment_fixed_size: 8192
    .kernarg_segment_align: 8
    .kernarg_segment_size: 104
    .language:       OpenCL C
    .language_version:
      - 2
      - 0
    .max_flat_workgroup_size: 256
    .name:           _ZN9rocsparseL30csrmvn_lrb_short_rows_2_kernelIllddddEEvbT_PT0_S3_jNS_24const_host_device_scalarIT4_EEPKS1_PKS2_PKT1_PKT2_S6_PT3_21rocsparse_index_base_b
    .private_segment_fixed_size: 0
    .sgpr_count:     26
    .sgpr_spill_count: 0
    .symbol:         _ZN9rocsparseL30csrmvn_lrb_short_rows_2_kernelIllddddEEvbT_PT0_S3_jNS_24const_host_device_scalarIT4_EEPKS1_PKS2_PKT1_PKT2_S6_PT3_21rocsparse_index_base_b.kd
    .uniform_work_group_size: 1
    .uses_dynamic_stack: false
    .vgpr_count:     11
    .vgpr_spill_count: 0
    .wavefront_size: 32
    .workgroup_processor_mode: 1
  - .args:
      - .offset:         0
        .size:           1
        .value_kind:     by_value
      - .offset:         8
        .size:           8
        .value_kind:     by_value
      - .offset:         16
        .size:           8
        .value_kind:     by_value
      - .actual_access:  read_only
        .address_space:  global
        .offset:         24
        .size:           8
        .value_kind:     global_buffer
      - .actual_access:  read_only
        .address_space:  global
        .offset:         32
        .size:           8
        .value_kind:     global_buffer
      - .offset:         40
        .size:           4
        .value_kind:     by_value
      - .offset:         48
        .size:           8
        .value_kind:     by_value
      - .actual_access:  read_only
        .address_space:  global
        .offset:         56
        .size:           8
        .value_kind:     global_buffer
      - .actual_access:  read_only
        .address_space:  global
        .offset:         64
        .size:           8
        .value_kind:     global_buffer
      - .actual_access:  read_only
        .address_space:  global
        .offset:         72
        .size:           8
        .value_kind:     global_buffer
      - .actual_access:  read_only
        .address_space:  global
        .offset:         80
        .size:           8
        .value_kind:     global_buffer
      - .offset:         88
        .size:           8
        .value_kind:     by_value
      - .address_space:  global
        .offset:         96
        .size:           8
        .value_kind:     global_buffer
      - .offset:         104
        .size:           4
        .value_kind:     by_value
      - .offset:         108
        .size:           1
        .value_kind:     by_value
    .group_segment_fixed_size: 0
    .kernarg_segment_align: 8
    .kernarg_segment_size: 112
    .language:       OpenCL C
    .language_version:
      - 2
      - 0
    .max_flat_workgroup_size: 256
    .name:           _ZN9rocsparseL41csrmvn_lrb_medium_rows_warp_reduce_kernelILj256ELj32EllddddEEvbT1_lPT2_S3_jNS_24const_host_device_scalarIT6_EEPKS1_PKS2_PKT3_PKT4_S6_PT5_21rocsparse_index_base_b
    .private_segment_fixed_size: 0
    .sgpr_count:     18
    .sgpr_spill_count: 0
    .symbol:         _ZN9rocsparseL41csrmvn_lrb_medium_rows_warp_reduce_kernelILj256ELj32EllddddEEvbT1_lPT2_S3_jNS_24const_host_device_scalarIT6_EEPKS1_PKS2_PKT3_PKT4_S6_PT5_21rocsparse_index_base_b.kd
    .uniform_work_group_size: 1
    .uses_dynamic_stack: false
    .vgpr_count:     21
    .vgpr_spill_count: 0
    .wavefront_size: 32
    .workgroup_processor_mode: 1
  - .args:
      - .offset:         0
        .size:           1
        .value_kind:     by_value
      - .offset:         8
        .size:           8
        .value_kind:     by_value
      - .offset:         16
        .size:           8
        .value_kind:     by_value
      - .actual_access:  read_only
        .address_space:  global
        .offset:         24
        .size:           8
        .value_kind:     global_buffer
      - .actual_access:  read_only
        .address_space:  global
        .offset:         32
        .size:           8
        .value_kind:     global_buffer
      - .offset:         40
        .size:           4
        .value_kind:     by_value
      - .offset:         48
        .size:           8
        .value_kind:     by_value
      - .actual_access:  read_only
        .address_space:  global
        .offset:         56
        .size:           8
        .value_kind:     global_buffer
      - .actual_access:  read_only
        .address_space:  global
        .offset:         64
        .size:           8
        .value_kind:     global_buffer
      - .actual_access:  read_only
        .address_space:  global
        .offset:         72
        .size:           8
        .value_kind:     global_buffer
      - .actual_access:  read_only
        .address_space:  global
        .offset:         80
        .size:           8
        .value_kind:     global_buffer
      - .offset:         88
        .size:           8
        .value_kind:     by_value
      - .address_space:  global
        .offset:         96
        .size:           8
        .value_kind:     global_buffer
      - .offset:         104
        .size:           4
        .value_kind:     by_value
      - .offset:         108
        .size:           1
        .value_kind:     by_value
    .group_segment_fixed_size: 0
    .kernarg_segment_align: 8
    .kernarg_segment_size: 112
    .language:       OpenCL C
    .language_version:
      - 2
      - 0
    .max_flat_workgroup_size: 256
    .name:           _ZN9rocsparseL41csrmvn_lrb_medium_rows_warp_reduce_kernelILj256ELj64EllddddEEvbT1_lPT2_S3_jNS_24const_host_device_scalarIT6_EEPKS1_PKS2_PKT3_PKT4_S6_PT5_21rocsparse_index_base_b
    .private_segment_fixed_size: 0
    .sgpr_count:     18
    .sgpr_spill_count: 0
    .symbol:         _ZN9rocsparseL41csrmvn_lrb_medium_rows_warp_reduce_kernelILj256ELj64EllddddEEvbT1_lPT2_S3_jNS_24const_host_device_scalarIT6_EEPKS1_PKS2_PKT3_PKT4_S6_PT5_21rocsparse_index_base_b.kd
    .uniform_work_group_size: 1
    .uses_dynamic_stack: false
    .vgpr_count:     21
    .vgpr_spill_count: 0
    .wavefront_size: 32
    .workgroup_processor_mode: 1
  - .args:
      - .offset:         0
        .size:           1
        .value_kind:     by_value
      - .offset:         8
        .size:           8
        .value_kind:     by_value
      - .actual_access:  read_only
        .address_space:  global
        .offset:         16
        .size:           8
        .value_kind:     global_buffer
      - .actual_access:  read_only
        .address_space:  global
        .offset:         24
        .size:           8
        .value_kind:     global_buffer
      - .offset:         32
        .size:           4
        .value_kind:     by_value
      - .offset:         40
        .size:           8
        .value_kind:     by_value
      - .actual_access:  read_only
        .address_space:  global
        .offset:         48
        .size:           8
        .value_kind:     global_buffer
      - .actual_access:  read_only
        .address_space:  global
        .offset:         56
        .size:           8
        .value_kind:     global_buffer
      - .actual_access:  read_only
        .address_space:  global
        .offset:         64
        .size:           8
        .value_kind:     global_buffer
      - .actual_access:  read_only
        .address_space:  global
        .offset:         72
        .size:           8
        .value_kind:     global_buffer
      - .offset:         80
        .size:           8
        .value_kind:     by_value
      - .address_space:  global
        .offset:         88
        .size:           8
        .value_kind:     global_buffer
      - .offset:         96
        .size:           4
        .value_kind:     by_value
      - .offset:         100
        .size:           1
        .value_kind:     by_value
    .group_segment_fixed_size: 2048
    .kernarg_segment_align: 8
    .kernarg_segment_size: 104
    .language:       OpenCL C
    .language_version:
      - 2
      - 0
    .max_flat_workgroup_size: 256
    .name:           _ZN9rocsparseL29csrmvn_lrb_medium_rows_kernelILj256EllddddEEvbT0_PT1_S3_jNS_24const_host_device_scalarIT5_EEPKS1_PKS2_PKT2_PKT3_S6_PT4_21rocsparse_index_base_b
    .private_segment_fixed_size: 0
    .sgpr_count:     22
    .sgpr_spill_count: 0
    .symbol:         _ZN9rocsparseL29csrmvn_lrb_medium_rows_kernelILj256EllddddEEvbT0_PT1_S3_jNS_24const_host_device_scalarIT5_EEPKS1_PKS2_PKT2_PKT3_S6_PT4_21rocsparse_index_base_b.kd
    .uniform_work_group_size: 1
    .uses_dynamic_stack: false
    .vgpr_count:     17
    .vgpr_spill_count: 0
    .wavefront_size: 32
    .workgroup_processor_mode: 1
  - .args:
      - .offset:         0
        .size:           1
        .value_kind:     by_value
      - .offset:         8
        .size:           8
        .value_kind:     by_value
      - .address_space:  global
        .offset:         16
        .size:           8
        .value_kind:     global_buffer
      - .actual_access:  read_only
        .address_space:  global
        .offset:         24
        .size:           8
        .value_kind:     global_buffer
      - .actual_access:  read_only
        .address_space:  global
        .offset:         32
        .size:           8
        .value_kind:     global_buffer
      - .offset:         40
        .size:           4
        .value_kind:     by_value
      - .offset:         48
        .size:           8
        .value_kind:     by_value
      - .actual_access:  read_only
        .address_space:  global
        .offset:         56
        .size:           8
        .value_kind:     global_buffer
      - .actual_access:  read_only
        .address_space:  global
        .offset:         64
        .size:           8
        .value_kind:     global_buffer
      - .actual_access:  read_only
        .address_space:  global
        .offset:         72
        .size:           8
        .value_kind:     global_buffer
      - .actual_access:  read_only
        .address_space:  global
        .offset:         80
        .size:           8
        .value_kind:     global_buffer
      - .offset:         88
        .size:           8
        .value_kind:     by_value
      - .address_space:  global
        .offset:         96
        .size:           8
        .value_kind:     global_buffer
      - .offset:         104
        .size:           4
        .value_kind:     by_value
      - .offset:         108
        .size:           1
        .value_kind:     by_value
    .group_segment_fixed_size: 2048
    .kernarg_segment_align: 8
    .kernarg_segment_size: 112
    .language:       OpenCL C
    .language_version:
      - 2
      - 0
    .max_flat_workgroup_size: 256
    .name:           _ZN9rocsparseL27csrmvn_lrb_long_rows_kernelIllddddEEvbT_PjPT0_S4_jNS_24const_host_device_scalarIT4_EEPKS1_PKS3_PKT1_PKT2_S7_PT3_21rocsparse_index_base_b
    .private_segment_fixed_size: 0
    .sgpr_count:     30
    .sgpr_spill_count: 0
    .symbol:         _ZN9rocsparseL27csrmvn_lrb_long_rows_kernelIllddddEEvbT_PjPT0_S4_jNS_24const_host_device_scalarIT4_EEPKS1_PKS3_PKT1_PKT2_S7_PT3_21rocsparse_index_base_b.kd
    .uniform_work_group_size: 1
    .uses_dynamic_stack: false
    .vgpr_count:     15
    .vgpr_spill_count: 0
    .wavefront_size: 32
    .workgroup_processor_mode: 1
  - .args:
      - .offset:         0
        .size:           1
        .value_kind:     by_value
      - .offset:         4
        .size:           4
        .value_kind:     by_value
      - .actual_access:  read_only
        .address_space:  global
        .offset:         8
        .size:           8
        .value_kind:     global_buffer
      - .actual_access:  read_only
        .address_space:  global
        .offset:         16
        .size:           8
        .value_kind:     global_buffer
      - .offset:         24
        .size:           4
        .value_kind:     by_value
      - .offset:         32
        .size:           8
        .value_kind:     by_value
      - .actual_access:  read_only
        .address_space:  global
        .offset:         40
        .size:           8
        .value_kind:     global_buffer
      - .actual_access:  read_only
        .address_space:  global
        .offset:         48
        .size:           8
        .value_kind:     global_buffer
      - .actual_access:  read_only
        .address_space:  global
        .offset:         56
        .size:           8
        .value_kind:     global_buffer
      - .actual_access:  read_only
        .address_space:  global
        .offset:         64
        .size:           8
        .value_kind:     global_buffer
      - .offset:         72
        .size:           8
        .value_kind:     by_value
      - .address_space:  global
        .offset:         80
        .size:           8
        .value_kind:     global_buffer
      - .offset:         88
        .size:           4
        .value_kind:     by_value
      - .offset:         92
        .size:           1
        .value_kind:     by_value
    .group_segment_fixed_size: 0
    .kernarg_segment_align: 8
    .kernarg_segment_size: 96
    .language:       OpenCL C
    .language_version:
      - 2
      - 0
    .max_flat_workgroup_size: 256
    .name:           _ZN9rocsparseL28csrmvn_lrb_short_rows_kernelIii21rocsparse_complex_numIfES2_S2_S2_EEvbT_PT0_S5_jNS_24const_host_device_scalarIT4_EEPKS3_PKS4_PKT1_PKT2_S8_PT3_21rocsparse_index_base_b
    .private_segment_fixed_size: 0
    .sgpr_count:     24
    .sgpr_spill_count: 0
    .symbol:         _ZN9rocsparseL28csrmvn_lrb_short_rows_kernelIii21rocsparse_complex_numIfES2_S2_S2_EEvbT_PT0_S5_jNS_24const_host_device_scalarIT4_EEPKS3_PKS4_PKT1_PKT2_S8_PT3_21rocsparse_index_base_b.kd
    .uniform_work_group_size: 1
    .uses_dynamic_stack: false
    .vgpr_count:     14
    .vgpr_spill_count: 0
    .wavefront_size: 32
    .workgroup_processor_mode: 1
  - .args:
      - .offset:         0
        .size:           1
        .value_kind:     by_value
      - .offset:         4
        .size:           4
        .value_kind:     by_value
      - .actual_access:  read_only
        .address_space:  global
        .offset:         8
        .size:           8
        .value_kind:     global_buffer
      - .actual_access:  read_only
        .address_space:  global
        .offset:         16
        .size:           8
        .value_kind:     global_buffer
      - .offset:         24
        .size:           4
        .value_kind:     by_value
      - .offset:         32
        .size:           8
        .value_kind:     by_value
      - .actual_access:  read_only
        .address_space:  global
        .offset:         40
        .size:           8
        .value_kind:     global_buffer
      - .actual_access:  read_only
        .address_space:  global
        .offset:         48
        .size:           8
        .value_kind:     global_buffer
      - .actual_access:  read_only
        .address_space:  global
        .offset:         56
        .size:           8
        .value_kind:     global_buffer
      - .actual_access:  read_only
        .address_space:  global
        .offset:         64
        .size:           8
        .value_kind:     global_buffer
      - .offset:         72
        .size:           8
        .value_kind:     by_value
      - .address_space:  global
        .offset:         80
        .size:           8
        .value_kind:     global_buffer
      - .offset:         88
        .size:           4
        .value_kind:     by_value
      - .offset:         92
        .size:           1
        .value_kind:     by_value
    .group_segment_fixed_size: 8192
    .kernarg_segment_align: 8
    .kernarg_segment_size: 96
    .language:       OpenCL C
    .language_version:
      - 2
      - 0
    .max_flat_workgroup_size: 256
    .name:           _ZN9rocsparseL30csrmvn_lrb_short_rows_2_kernelIii21rocsparse_complex_numIfES2_S2_S2_EEvbT_PT0_S5_jNS_24const_host_device_scalarIT4_EEPKS3_PKS4_PKT1_PKT2_S8_PT3_21rocsparse_index_base_b
    .private_segment_fixed_size: 0
    .sgpr_count:     23
    .sgpr_spill_count: 0
    .symbol:         _ZN9rocsparseL30csrmvn_lrb_short_rows_2_kernelIii21rocsparse_complex_numIfES2_S2_S2_EEvbT_PT0_S5_jNS_24const_host_device_scalarIT4_EEPKS3_PKS4_PKT1_PKT2_S8_PT3_21rocsparse_index_base_b.kd
    .uniform_work_group_size: 1
    .uses_dynamic_stack: false
    .vgpr_count:     13
    .vgpr_spill_count: 0
    .wavefront_size: 32
    .workgroup_processor_mode: 1
  - .args:
      - .offset:         0
        .size:           1
        .value_kind:     by_value
      - .offset:         4
        .size:           4
        .value_kind:     by_value
      - .offset:         8
        .size:           8
        .value_kind:     by_value
      - .actual_access:  read_only
        .address_space:  global
        .offset:         16
        .size:           8
        .value_kind:     global_buffer
      - .actual_access:  read_only
        .address_space:  global
        .offset:         24
        .size:           8
        .value_kind:     global_buffer
      - .offset:         32
        .size:           4
        .value_kind:     by_value
      - .offset:         40
        .size:           8
        .value_kind:     by_value
      - .actual_access:  read_only
        .address_space:  global
        .offset:         48
        .size:           8
        .value_kind:     global_buffer
      - .actual_access:  read_only
        .address_space:  global
        .offset:         56
        .size:           8
        .value_kind:     global_buffer
      - .actual_access:  read_only
        .address_space:  global
        .offset:         64
        .size:           8
        .value_kind:     global_buffer
      - .actual_access:  read_only
        .address_space:  global
        .offset:         72
        .size:           8
        .value_kind:     global_buffer
      - .offset:         80
        .size:           8
        .value_kind:     by_value
      - .address_space:  global
        .offset:         88
        .size:           8
        .value_kind:     global_buffer
      - .offset:         96
        .size:           4
        .value_kind:     by_value
      - .offset:         100
        .size:           1
        .value_kind:     by_value
    .group_segment_fixed_size: 0
    .kernarg_segment_align: 8
    .kernarg_segment_size: 104
    .language:       OpenCL C
    .language_version:
      - 2
      - 0
    .max_flat_workgroup_size: 256
    .name:           _ZN9rocsparseL41csrmvn_lrb_medium_rows_warp_reduce_kernelILj256ELj32Eii21rocsparse_complex_numIfES2_S2_S2_EEvbT1_lPT2_S5_jNS_24const_host_device_scalarIT6_EEPKS3_PKS4_PKT3_PKT4_S8_PT5_21rocsparse_index_base_b
    .private_segment_fixed_size: 0
    .sgpr_count:     18
    .sgpr_spill_count: 0
    .symbol:         _ZN9rocsparseL41csrmvn_lrb_medium_rows_warp_reduce_kernelILj256ELj32Eii21rocsparse_complex_numIfES2_S2_S2_EEvbT1_lPT2_S5_jNS_24const_host_device_scalarIT6_EEPKS3_PKS4_PKT3_PKT4_S8_PT5_21rocsparse_index_base_b.kd
    .uniform_work_group_size: 1
    .uses_dynamic_stack: false
    .vgpr_count:     16
    .vgpr_spill_count: 0
    .wavefront_size: 32
    .workgroup_processor_mode: 1
  - .args:
      - .offset:         0
        .size:           1
        .value_kind:     by_value
      - .offset:         4
        .size:           4
        .value_kind:     by_value
      - .offset:         8
        .size:           8
        .value_kind:     by_value
      - .actual_access:  read_only
        .address_space:  global
        .offset:         16
        .size:           8
        .value_kind:     global_buffer
      - .actual_access:  read_only
        .address_space:  global
        .offset:         24
        .size:           8
        .value_kind:     global_buffer
      - .offset:         32
        .size:           4
        .value_kind:     by_value
      - .offset:         40
        .size:           8
        .value_kind:     by_value
      - .actual_access:  read_only
        .address_space:  global
        .offset:         48
        .size:           8
        .value_kind:     global_buffer
      - .actual_access:  read_only
        .address_space:  global
        .offset:         56
        .size:           8
        .value_kind:     global_buffer
      - .actual_access:  read_only
        .address_space:  global
        .offset:         64
        .size:           8
        .value_kind:     global_buffer
      - .actual_access:  read_only
        .address_space:  global
        .offset:         72
        .size:           8
        .value_kind:     global_buffer
      - .offset:         80
        .size:           8
        .value_kind:     by_value
      - .address_space:  global
        .offset:         88
        .size:           8
        .value_kind:     global_buffer
      - .offset:         96
        .size:           4
        .value_kind:     by_value
      - .offset:         100
        .size:           1
        .value_kind:     by_value
    .group_segment_fixed_size: 0
    .kernarg_segment_align: 8
    .kernarg_segment_size: 104
    .language:       OpenCL C
    .language_version:
      - 2
      - 0
    .max_flat_workgroup_size: 256
    .name:           _ZN9rocsparseL41csrmvn_lrb_medium_rows_warp_reduce_kernelILj256ELj64Eii21rocsparse_complex_numIfES2_S2_S2_EEvbT1_lPT2_S5_jNS_24const_host_device_scalarIT6_EEPKS3_PKS4_PKT3_PKT4_S8_PT5_21rocsparse_index_base_b
    .private_segment_fixed_size: 0
    .sgpr_count:     18
    .sgpr_spill_count: 0
    .symbol:         _ZN9rocsparseL41csrmvn_lrb_medium_rows_warp_reduce_kernelILj256ELj64Eii21rocsparse_complex_numIfES2_S2_S2_EEvbT1_lPT2_S5_jNS_24const_host_device_scalarIT6_EEPKS3_PKS4_PKT3_PKT4_S8_PT5_21rocsparse_index_base_b.kd
    .uniform_work_group_size: 1
    .uses_dynamic_stack: false
    .vgpr_count:     16
    .vgpr_spill_count: 0
    .wavefront_size: 32
    .workgroup_processor_mode: 1
  - .args:
      - .offset:         0
        .size:           1
        .value_kind:     by_value
      - .offset:         4
        .size:           4
        .value_kind:     by_value
      - .actual_access:  read_only
        .address_space:  global
        .offset:         8
        .size:           8
        .value_kind:     global_buffer
      - .actual_access:  read_only
        .address_space:  global
        .offset:         16
        .size:           8
        .value_kind:     global_buffer
      - .offset:         24
        .size:           4
        .value_kind:     by_value
      - .offset:         32
        .size:           8
        .value_kind:     by_value
      - .actual_access:  read_only
        .address_space:  global
        .offset:         40
        .size:           8
        .value_kind:     global_buffer
      - .actual_access:  read_only
        .address_space:  global
        .offset:         48
        .size:           8
        .value_kind:     global_buffer
      - .actual_access:  read_only
        .address_space:  global
        .offset:         56
        .size:           8
        .value_kind:     global_buffer
      - .actual_access:  read_only
        .address_space:  global
        .offset:         64
        .size:           8
        .value_kind:     global_buffer
      - .offset:         72
        .size:           8
        .value_kind:     by_value
      - .address_space:  global
        .offset:         80
        .size:           8
        .value_kind:     global_buffer
      - .offset:         88
        .size:           4
        .value_kind:     by_value
      - .offset:         92
        .size:           1
        .value_kind:     by_value
    .group_segment_fixed_size: 2048
    .kernarg_segment_align: 8
    .kernarg_segment_size: 96
    .language:       OpenCL C
    .language_version:
      - 2
      - 0
    .max_flat_workgroup_size: 256
    .name:           _ZN9rocsparseL29csrmvn_lrb_medium_rows_kernelILj256Eii21rocsparse_complex_numIfES2_S2_S2_EEvbT0_PT1_S5_jNS_24const_host_device_scalarIT5_EEPKS3_PKS4_PKT2_PKT3_S8_PT4_21rocsparse_index_base_b
    .private_segment_fixed_size: 0
    .sgpr_count:     18
    .sgpr_spill_count: 0
    .symbol:         _ZN9rocsparseL29csrmvn_lrb_medium_rows_kernelILj256Eii21rocsparse_complex_numIfES2_S2_S2_EEvbT0_PT1_S5_jNS_24const_host_device_scalarIT5_EEPKS3_PKS4_PKT2_PKT3_S8_PT4_21rocsparse_index_base_b.kd
    .uniform_work_group_size: 1
    .uses_dynamic_stack: false
    .vgpr_count:     13
    .vgpr_spill_count: 0
    .wavefront_size: 32
    .workgroup_processor_mode: 1
  - .args:
      - .offset:         0
        .size:           1
        .value_kind:     by_value
      - .offset:         4
        .size:           4
        .value_kind:     by_value
      - .address_space:  global
        .offset:         8
        .size:           8
        .value_kind:     global_buffer
      - .actual_access:  read_only
        .address_space:  global
        .offset:         16
        .size:           8
        .value_kind:     global_buffer
      - .actual_access:  read_only
        .address_space:  global
        .offset:         24
        .size:           8
        .value_kind:     global_buffer
      - .offset:         32
        .size:           4
        .value_kind:     by_value
      - .offset:         40
        .size:           8
        .value_kind:     by_value
      - .actual_access:  read_only
        .address_space:  global
        .offset:         48
        .size:           8
        .value_kind:     global_buffer
      - .actual_access:  read_only
        .address_space:  global
        .offset:         56
        .size:           8
        .value_kind:     global_buffer
      - .actual_access:  read_only
        .address_space:  global
        .offset:         64
        .size:           8
        .value_kind:     global_buffer
      - .actual_access:  read_only
        .address_space:  global
        .offset:         72
        .size:           8
        .value_kind:     global_buffer
      - .offset:         80
        .size:           8
        .value_kind:     by_value
      - .address_space:  global
        .offset:         88
        .size:           8
        .value_kind:     global_buffer
      - .offset:         96
        .size:           4
        .value_kind:     by_value
      - .offset:         100
        .size:           1
        .value_kind:     by_value
    .group_segment_fixed_size: 2048
    .kernarg_segment_align: 8
    .kernarg_segment_size: 104
    .language:       OpenCL C
    .language_version:
      - 2
      - 0
    .max_flat_workgroup_size: 256
    .name:           _ZN9rocsparseL27csrmvn_lrb_long_rows_kernelIii21rocsparse_complex_numIfES2_S2_S2_EEvbT_PjPT0_S6_jNS_24const_host_device_scalarIT4_EEPKS3_PKS5_PKT1_PKT2_S9_PT3_21rocsparse_index_base_b
    .private_segment_fixed_size: 0
    .sgpr_count:     26
    .sgpr_spill_count: 0
    .symbol:         _ZN9rocsparseL27csrmvn_lrb_long_rows_kernelIii21rocsparse_complex_numIfES2_S2_S2_EEvbT_PjPT0_S6_jNS_24const_host_device_scalarIT4_EEPKS3_PKS5_PKT1_PKT2_S9_PT3_21rocsparse_index_base_b.kd
    .uniform_work_group_size: 1
    .uses_dynamic_stack: false
    .vgpr_count:     11
    .vgpr_spill_count: 0
    .wavefront_size: 32
    .workgroup_processor_mode: 1
  - .args:
      - .offset:         0
        .size:           1
        .value_kind:     by_value
      - .offset:         8
        .size:           8
        .value_kind:     by_value
      - .actual_access:  read_only
        .address_space:  global
        .offset:         16
        .size:           8
        .value_kind:     global_buffer
      - .actual_access:  read_only
        .address_space:  global
        .offset:         24
        .size:           8
        .value_kind:     global_buffer
      - .offset:         32
        .size:           4
        .value_kind:     by_value
      - .offset:         40
        .size:           8
        .value_kind:     by_value
      - .actual_access:  read_only
        .address_space:  global
        .offset:         48
        .size:           8
        .value_kind:     global_buffer
      - .actual_access:  read_only
        .address_space:  global
        .offset:         56
        .size:           8
        .value_kind:     global_buffer
      - .actual_access:  read_only
        .address_space:  global
        .offset:         64
        .size:           8
        .value_kind:     global_buffer
      - .actual_access:  read_only
        .address_space:  global
        .offset:         72
        .size:           8
        .value_kind:     global_buffer
      - .offset:         80
        .size:           8
        .value_kind:     by_value
      - .address_space:  global
        .offset:         88
        .size:           8
        .value_kind:     global_buffer
      - .offset:         96
        .size:           4
        .value_kind:     by_value
      - .offset:         100
        .size:           1
        .value_kind:     by_value
    .group_segment_fixed_size: 0
    .kernarg_segment_align: 8
    .kernarg_segment_size: 104
    .language:       OpenCL C
    .language_version:
      - 2
      - 0
    .max_flat_workgroup_size: 256
    .name:           _ZN9rocsparseL28csrmvn_lrb_short_rows_kernelIli21rocsparse_complex_numIfES2_S2_S2_EEvbT_PT0_S5_jNS_24const_host_device_scalarIT4_EEPKS3_PKS4_PKT1_PKT2_S8_PT3_21rocsparse_index_base_b
    .private_segment_fixed_size: 0
    .sgpr_count:     24
    .sgpr_spill_count: 0
    .symbol:         _ZN9rocsparseL28csrmvn_lrb_short_rows_kernelIli21rocsparse_complex_numIfES2_S2_S2_EEvbT_PT0_S5_jNS_24const_host_device_scalarIT4_EEPKS3_PKS4_PKT1_PKT2_S8_PT3_21rocsparse_index_base_b.kd
    .uniform_work_group_size: 1
    .uses_dynamic_stack: false
    .vgpr_count:     14
    .vgpr_spill_count: 0
    .wavefront_size: 32
    .workgroup_processor_mode: 1
  - .args:
      - .offset:         0
        .size:           1
        .value_kind:     by_value
      - .offset:         8
        .size:           8
        .value_kind:     by_value
      - .actual_access:  read_only
        .address_space:  global
        .offset:         16
        .size:           8
        .value_kind:     global_buffer
      - .actual_access:  read_only
        .address_space:  global
        .offset:         24
        .size:           8
        .value_kind:     global_buffer
      - .offset:         32
        .size:           4
        .value_kind:     by_value
      - .offset:         40
        .size:           8
        .value_kind:     by_value
      - .actual_access:  read_only
        .address_space:  global
        .offset:         48
        .size:           8
        .value_kind:     global_buffer
      - .actual_access:  read_only
        .address_space:  global
        .offset:         56
        .size:           8
        .value_kind:     global_buffer
      - .actual_access:  read_only
        .address_space:  global
        .offset:         64
        .size:           8
        .value_kind:     global_buffer
      - .actual_access:  read_only
        .address_space:  global
        .offset:         72
        .size:           8
        .value_kind:     global_buffer
      - .offset:         80
        .size:           8
        .value_kind:     by_value
      - .address_space:  global
        .offset:         88
        .size:           8
        .value_kind:     global_buffer
      - .offset:         96
        .size:           4
        .value_kind:     by_value
      - .offset:         100
        .size:           1
        .value_kind:     by_value
    .group_segment_fixed_size: 8192
    .kernarg_segment_align: 8
    .kernarg_segment_size: 104
    .language:       OpenCL C
    .language_version:
      - 2
      - 0
    .max_flat_workgroup_size: 256
    .name:           _ZN9rocsparseL30csrmvn_lrb_short_rows_2_kernelIli21rocsparse_complex_numIfES2_S2_S2_EEvbT_PT0_S5_jNS_24const_host_device_scalarIT4_EEPKS3_PKS4_PKT1_PKT2_S8_PT3_21rocsparse_index_base_b
    .private_segment_fixed_size: 0
    .sgpr_count:     23
    .sgpr_spill_count: 0
    .symbol:         _ZN9rocsparseL30csrmvn_lrb_short_rows_2_kernelIli21rocsparse_complex_numIfES2_S2_S2_EEvbT_PT0_S5_jNS_24const_host_device_scalarIT4_EEPKS3_PKS4_PKT1_PKT2_S8_PT3_21rocsparse_index_base_b.kd
    .uniform_work_group_size: 1
    .uses_dynamic_stack: false
    .vgpr_count:     13
    .vgpr_spill_count: 0
    .wavefront_size: 32
    .workgroup_processor_mode: 1
  - .args:
      - .offset:         0
        .size:           1
        .value_kind:     by_value
      - .offset:         8
        .size:           8
        .value_kind:     by_value
      - .offset:         16
        .size:           8
        .value_kind:     by_value
      - .actual_access:  read_only
        .address_space:  global
        .offset:         24
        .size:           8
        .value_kind:     global_buffer
      - .actual_access:  read_only
        .address_space:  global
        .offset:         32
        .size:           8
        .value_kind:     global_buffer
      - .offset:         40
        .size:           4
        .value_kind:     by_value
      - .offset:         48
        .size:           8
        .value_kind:     by_value
      - .actual_access:  read_only
        .address_space:  global
        .offset:         56
        .size:           8
        .value_kind:     global_buffer
      - .actual_access:  read_only
        .address_space:  global
        .offset:         64
        .size:           8
        .value_kind:     global_buffer
      - .actual_access:  read_only
        .address_space:  global
        .offset:         72
        .size:           8
        .value_kind:     global_buffer
      - .actual_access:  read_only
        .address_space:  global
        .offset:         80
        .size:           8
        .value_kind:     global_buffer
      - .offset:         88
        .size:           8
        .value_kind:     by_value
      - .address_space:  global
        .offset:         96
        .size:           8
        .value_kind:     global_buffer
      - .offset:         104
        .size:           4
        .value_kind:     by_value
      - .offset:         108
        .size:           1
        .value_kind:     by_value
    .group_segment_fixed_size: 0
    .kernarg_segment_align: 8
    .kernarg_segment_size: 112
    .language:       OpenCL C
    .language_version:
      - 2
      - 0
    .max_flat_workgroup_size: 256
    .name:           _ZN9rocsparseL41csrmvn_lrb_medium_rows_warp_reduce_kernelILj256ELj32Eli21rocsparse_complex_numIfES2_S2_S2_EEvbT1_lPT2_S5_jNS_24const_host_device_scalarIT6_EEPKS3_PKS4_PKT3_PKT4_S8_PT5_21rocsparse_index_base_b
    .private_segment_fixed_size: 0
    .sgpr_count:     18
    .sgpr_spill_count: 0
    .symbol:         _ZN9rocsparseL41csrmvn_lrb_medium_rows_warp_reduce_kernelILj256ELj32Eli21rocsparse_complex_numIfES2_S2_S2_EEvbT1_lPT2_S5_jNS_24const_host_device_scalarIT6_EEPKS3_PKS4_PKT3_PKT4_S8_PT5_21rocsparse_index_base_b.kd
    .uniform_work_group_size: 1
    .uses_dynamic_stack: false
    .vgpr_count:     22
    .vgpr_spill_count: 0
    .wavefront_size: 32
    .workgroup_processor_mode: 1
  - .args:
      - .offset:         0
        .size:           1
        .value_kind:     by_value
      - .offset:         8
        .size:           8
        .value_kind:     by_value
      - .offset:         16
        .size:           8
        .value_kind:     by_value
      - .actual_access:  read_only
        .address_space:  global
        .offset:         24
        .size:           8
        .value_kind:     global_buffer
      - .actual_access:  read_only
        .address_space:  global
        .offset:         32
        .size:           8
        .value_kind:     global_buffer
      - .offset:         40
        .size:           4
        .value_kind:     by_value
      - .offset:         48
        .size:           8
        .value_kind:     by_value
      - .actual_access:  read_only
        .address_space:  global
        .offset:         56
        .size:           8
        .value_kind:     global_buffer
      - .actual_access:  read_only
        .address_space:  global
        .offset:         64
        .size:           8
        .value_kind:     global_buffer
      - .actual_access:  read_only
        .address_space:  global
        .offset:         72
        .size:           8
        .value_kind:     global_buffer
      - .actual_access:  read_only
        .address_space:  global
        .offset:         80
        .size:           8
        .value_kind:     global_buffer
      - .offset:         88
        .size:           8
        .value_kind:     by_value
      - .address_space:  global
        .offset:         96
        .size:           8
        .value_kind:     global_buffer
      - .offset:         104
        .size:           4
        .value_kind:     by_value
      - .offset:         108
        .size:           1
        .value_kind:     by_value
    .group_segment_fixed_size: 0
    .kernarg_segment_align: 8
    .kernarg_segment_size: 112
    .language:       OpenCL C
    .language_version:
      - 2
      - 0
    .max_flat_workgroup_size: 256
    .name:           _ZN9rocsparseL41csrmvn_lrb_medium_rows_warp_reduce_kernelILj256ELj64Eli21rocsparse_complex_numIfES2_S2_S2_EEvbT1_lPT2_S5_jNS_24const_host_device_scalarIT6_EEPKS3_PKS4_PKT3_PKT4_S8_PT5_21rocsparse_index_base_b
    .private_segment_fixed_size: 0
    .sgpr_count:     18
    .sgpr_spill_count: 0
    .symbol:         _ZN9rocsparseL41csrmvn_lrb_medium_rows_warp_reduce_kernelILj256ELj64Eli21rocsparse_complex_numIfES2_S2_S2_EEvbT1_lPT2_S5_jNS_24const_host_device_scalarIT6_EEPKS3_PKS4_PKT3_PKT4_S8_PT5_21rocsparse_index_base_b.kd
    .uniform_work_group_size: 1
    .uses_dynamic_stack: false
    .vgpr_count:     22
    .vgpr_spill_count: 0
    .wavefront_size: 32
    .workgroup_processor_mode: 1
  - .args:
      - .offset:         0
        .size:           1
        .value_kind:     by_value
      - .offset:         8
        .size:           8
        .value_kind:     by_value
      - .actual_access:  read_only
        .address_space:  global
        .offset:         16
        .size:           8
        .value_kind:     global_buffer
      - .actual_access:  read_only
        .address_space:  global
        .offset:         24
        .size:           8
        .value_kind:     global_buffer
      - .offset:         32
        .size:           4
        .value_kind:     by_value
      - .offset:         40
        .size:           8
        .value_kind:     by_value
      - .actual_access:  read_only
        .address_space:  global
        .offset:         48
        .size:           8
        .value_kind:     global_buffer
      - .actual_access:  read_only
        .address_space:  global
        .offset:         56
        .size:           8
        .value_kind:     global_buffer
      - .actual_access:  read_only
        .address_space:  global
        .offset:         64
        .size:           8
        .value_kind:     global_buffer
      - .actual_access:  read_only
        .address_space:  global
        .offset:         72
        .size:           8
        .value_kind:     global_buffer
      - .offset:         80
        .size:           8
        .value_kind:     by_value
      - .address_space:  global
        .offset:         88
        .size:           8
        .value_kind:     global_buffer
      - .offset:         96
        .size:           4
        .value_kind:     by_value
      - .offset:         100
        .size:           1
        .value_kind:     by_value
    .group_segment_fixed_size: 2048
    .kernarg_segment_align: 8
    .kernarg_segment_size: 104
    .language:       OpenCL C
    .language_version:
      - 2
      - 0
    .max_flat_workgroup_size: 256
    .name:           _ZN9rocsparseL29csrmvn_lrb_medium_rows_kernelILj256Eli21rocsparse_complex_numIfES2_S2_S2_EEvbT0_PT1_S5_jNS_24const_host_device_scalarIT5_EEPKS3_PKS4_PKT2_PKT3_S8_PT4_21rocsparse_index_base_b
    .private_segment_fixed_size: 0
    .sgpr_count:     22
    .sgpr_spill_count: 0
    .symbol:         _ZN9rocsparseL29csrmvn_lrb_medium_rows_kernelILj256Eli21rocsparse_complex_numIfES2_S2_S2_EEvbT0_PT1_S5_jNS_24const_host_device_scalarIT5_EEPKS3_PKS4_PKT2_PKT3_S8_PT4_21rocsparse_index_base_b.kd
    .uniform_work_group_size: 1
    .uses_dynamic_stack: false
    .vgpr_count:     18
    .vgpr_spill_count: 0
    .wavefront_size: 32
    .workgroup_processor_mode: 1
  - .args:
      - .offset:         0
        .size:           1
        .value_kind:     by_value
      - .offset:         8
        .size:           8
        .value_kind:     by_value
      - .address_space:  global
        .offset:         16
        .size:           8
        .value_kind:     global_buffer
      - .actual_access:  read_only
        .address_space:  global
        .offset:         24
        .size:           8
        .value_kind:     global_buffer
      - .actual_access:  read_only
        .address_space:  global
        .offset:         32
        .size:           8
        .value_kind:     global_buffer
      - .offset:         40
        .size:           4
        .value_kind:     by_value
      - .offset:         48
        .size:           8
        .value_kind:     by_value
      - .actual_access:  read_only
        .address_space:  global
        .offset:         56
        .size:           8
        .value_kind:     global_buffer
      - .actual_access:  read_only
        .address_space:  global
        .offset:         64
        .size:           8
        .value_kind:     global_buffer
      - .actual_access:  read_only
        .address_space:  global
        .offset:         72
        .size:           8
        .value_kind:     global_buffer
      - .actual_access:  read_only
        .address_space:  global
        .offset:         80
        .size:           8
        .value_kind:     global_buffer
      - .offset:         88
        .size:           8
        .value_kind:     by_value
      - .address_space:  global
        .offset:         96
        .size:           8
        .value_kind:     global_buffer
      - .offset:         104
        .size:           4
        .value_kind:     by_value
      - .offset:         108
        .size:           1
        .value_kind:     by_value
    .group_segment_fixed_size: 2048
    .kernarg_segment_align: 8
    .kernarg_segment_size: 112
    .language:       OpenCL C
    .language_version:
      - 2
      - 0
    .max_flat_workgroup_size: 256
    .name:           _ZN9rocsparseL27csrmvn_lrb_long_rows_kernelIli21rocsparse_complex_numIfES2_S2_S2_EEvbT_PjPT0_S6_jNS_24const_host_device_scalarIT4_EEPKS3_PKS5_PKT1_PKT2_S9_PT3_21rocsparse_index_base_b
    .private_segment_fixed_size: 0
    .sgpr_count:     30
    .sgpr_spill_count: 0
    .symbol:         _ZN9rocsparseL27csrmvn_lrb_long_rows_kernelIli21rocsparse_complex_numIfES2_S2_S2_EEvbT_PjPT0_S6_jNS_24const_host_device_scalarIT4_EEPKS3_PKS5_PKT1_PKT2_S9_PT3_21rocsparse_index_base_b.kd
    .uniform_work_group_size: 1
    .uses_dynamic_stack: false
    .vgpr_count:     16
    .vgpr_spill_count: 0
    .wavefront_size: 32
    .workgroup_processor_mode: 1
  - .args:
      - .offset:         0
        .size:           1
        .value_kind:     by_value
      - .offset:         8
        .size:           8
        .value_kind:     by_value
      - .actual_access:  read_only
        .address_space:  global
        .offset:         16
        .size:           8
        .value_kind:     global_buffer
      - .actual_access:  read_only
        .address_space:  global
        .offset:         24
        .size:           8
        .value_kind:     global_buffer
      - .offset:         32
        .size:           4
        .value_kind:     by_value
      - .offset:         40
        .size:           8
        .value_kind:     by_value
      - .actual_access:  read_only
        .address_space:  global
        .offset:         48
        .size:           8
        .value_kind:     global_buffer
      - .actual_access:  read_only
        .address_space:  global
        .offset:         56
        .size:           8
        .value_kind:     global_buffer
      - .actual_access:  read_only
        .address_space:  global
        .offset:         64
        .size:           8
        .value_kind:     global_buffer
      - .actual_access:  read_only
        .address_space:  global
        .offset:         72
        .size:           8
        .value_kind:     global_buffer
      - .offset:         80
        .size:           8
        .value_kind:     by_value
      - .address_space:  global
        .offset:         88
        .size:           8
        .value_kind:     global_buffer
      - .offset:         96
        .size:           4
        .value_kind:     by_value
      - .offset:         100
        .size:           1
        .value_kind:     by_value
    .group_segment_fixed_size: 0
    .kernarg_segment_align: 8
    .kernarg_segment_size: 104
    .language:       OpenCL C
    .language_version:
      - 2
      - 0
    .max_flat_workgroup_size: 256
    .name:           _ZN9rocsparseL28csrmvn_lrb_short_rows_kernelIll21rocsparse_complex_numIfES2_S2_S2_EEvbT_PT0_S5_jNS_24const_host_device_scalarIT4_EEPKS3_PKS4_PKT1_PKT2_S8_PT3_21rocsparse_index_base_b
    .private_segment_fixed_size: 0
    .sgpr_count:     27
    .sgpr_spill_count: 0
    .symbol:         _ZN9rocsparseL28csrmvn_lrb_short_rows_kernelIll21rocsparse_complex_numIfES2_S2_S2_EEvbT_PT0_S5_jNS_24const_host_device_scalarIT4_EEPKS3_PKS4_PKT1_PKT2_S8_PT3_21rocsparse_index_base_b.kd
    .uniform_work_group_size: 1
    .uses_dynamic_stack: false
    .vgpr_count:     14
    .vgpr_spill_count: 0
    .wavefront_size: 32
    .workgroup_processor_mode: 1
  - .args:
      - .offset:         0
        .size:           1
        .value_kind:     by_value
      - .offset:         8
        .size:           8
        .value_kind:     by_value
      - .actual_access:  read_only
        .address_space:  global
        .offset:         16
        .size:           8
        .value_kind:     global_buffer
      - .actual_access:  read_only
        .address_space:  global
        .offset:         24
        .size:           8
        .value_kind:     global_buffer
      - .offset:         32
        .size:           4
        .value_kind:     by_value
      - .offset:         40
        .size:           8
        .value_kind:     by_value
      - .actual_access:  read_only
        .address_space:  global
        .offset:         48
        .size:           8
        .value_kind:     global_buffer
      - .actual_access:  read_only
        .address_space:  global
        .offset:         56
        .size:           8
        .value_kind:     global_buffer
      - .actual_access:  read_only
        .address_space:  global
        .offset:         64
        .size:           8
        .value_kind:     global_buffer
      - .actual_access:  read_only
        .address_space:  global
        .offset:         72
        .size:           8
        .value_kind:     global_buffer
      - .offset:         80
        .size:           8
        .value_kind:     by_value
      - .address_space:  global
        .offset:         88
        .size:           8
        .value_kind:     global_buffer
      - .offset:         96
        .size:           4
        .value_kind:     by_value
      - .offset:         100
        .size:           1
        .value_kind:     by_value
    .group_segment_fixed_size: 8192
    .kernarg_segment_align: 8
    .kernarg_segment_size: 104
    .language:       OpenCL C
    .language_version:
      - 2
      - 0
    .max_flat_workgroup_size: 256
    .name:           _ZN9rocsparseL30csrmvn_lrb_short_rows_2_kernelIll21rocsparse_complex_numIfES2_S2_S2_EEvbT_PT0_S5_jNS_24const_host_device_scalarIT4_EEPKS3_PKS4_PKT1_PKT2_S8_PT3_21rocsparse_index_base_b
    .private_segment_fixed_size: 0
    .sgpr_count:     25
    .sgpr_spill_count: 0
    .symbol:         _ZN9rocsparseL30csrmvn_lrb_short_rows_2_kernelIll21rocsparse_complex_numIfES2_S2_S2_EEvbT_PT0_S5_jNS_24const_host_device_scalarIT4_EEPKS3_PKS4_PKT1_PKT2_S8_PT3_21rocsparse_index_base_b.kd
    .uniform_work_group_size: 1
    .uses_dynamic_stack: false
    .vgpr_count:     13
    .vgpr_spill_count: 0
    .wavefront_size: 32
    .workgroup_processor_mode: 1
  - .args:
      - .offset:         0
        .size:           1
        .value_kind:     by_value
      - .offset:         8
        .size:           8
        .value_kind:     by_value
      - .offset:         16
        .size:           8
        .value_kind:     by_value
      - .actual_access:  read_only
        .address_space:  global
        .offset:         24
        .size:           8
        .value_kind:     global_buffer
      - .actual_access:  read_only
        .address_space:  global
        .offset:         32
        .size:           8
        .value_kind:     global_buffer
      - .offset:         40
        .size:           4
        .value_kind:     by_value
      - .offset:         48
        .size:           8
        .value_kind:     by_value
      - .actual_access:  read_only
        .address_space:  global
        .offset:         56
        .size:           8
        .value_kind:     global_buffer
      - .actual_access:  read_only
        .address_space:  global
        .offset:         64
        .size:           8
        .value_kind:     global_buffer
      - .actual_access:  read_only
        .address_space:  global
        .offset:         72
        .size:           8
        .value_kind:     global_buffer
      - .actual_access:  read_only
        .address_space:  global
        .offset:         80
        .size:           8
        .value_kind:     global_buffer
      - .offset:         88
        .size:           8
        .value_kind:     by_value
      - .address_space:  global
        .offset:         96
        .size:           8
        .value_kind:     global_buffer
      - .offset:         104
        .size:           4
        .value_kind:     by_value
      - .offset:         108
        .size:           1
        .value_kind:     by_value
    .group_segment_fixed_size: 0
    .kernarg_segment_align: 8
    .kernarg_segment_size: 112
    .language:       OpenCL C
    .language_version:
      - 2
      - 0
    .max_flat_workgroup_size: 256
    .name:           _ZN9rocsparseL41csrmvn_lrb_medium_rows_warp_reduce_kernelILj256ELj32Ell21rocsparse_complex_numIfES2_S2_S2_EEvbT1_lPT2_S5_jNS_24const_host_device_scalarIT6_EEPKS3_PKS4_PKT3_PKT4_S8_PT5_21rocsparse_index_base_b
    .private_segment_fixed_size: 0
    .sgpr_count:     18
    .sgpr_spill_count: 0
    .symbol:         _ZN9rocsparseL41csrmvn_lrb_medium_rows_warp_reduce_kernelILj256ELj32Ell21rocsparse_complex_numIfES2_S2_S2_EEvbT1_lPT2_S5_jNS_24const_host_device_scalarIT6_EEPKS3_PKS4_PKT3_PKT4_S8_PT5_21rocsparse_index_base_b.kd
    .uniform_work_group_size: 1
    .uses_dynamic_stack: false
    .vgpr_count:     22
    .vgpr_spill_count: 0
    .wavefront_size: 32
    .workgroup_processor_mode: 1
  - .args:
      - .offset:         0
        .size:           1
        .value_kind:     by_value
      - .offset:         8
        .size:           8
        .value_kind:     by_value
      - .offset:         16
        .size:           8
        .value_kind:     by_value
      - .actual_access:  read_only
        .address_space:  global
        .offset:         24
        .size:           8
        .value_kind:     global_buffer
      - .actual_access:  read_only
        .address_space:  global
        .offset:         32
        .size:           8
        .value_kind:     global_buffer
      - .offset:         40
        .size:           4
        .value_kind:     by_value
      - .offset:         48
        .size:           8
        .value_kind:     by_value
      - .actual_access:  read_only
        .address_space:  global
        .offset:         56
        .size:           8
        .value_kind:     global_buffer
      - .actual_access:  read_only
        .address_space:  global
        .offset:         64
        .size:           8
        .value_kind:     global_buffer
      - .actual_access:  read_only
        .address_space:  global
        .offset:         72
        .size:           8
        .value_kind:     global_buffer
      - .actual_access:  read_only
        .address_space:  global
        .offset:         80
        .size:           8
        .value_kind:     global_buffer
      - .offset:         88
        .size:           8
        .value_kind:     by_value
      - .address_space:  global
        .offset:         96
        .size:           8
        .value_kind:     global_buffer
      - .offset:         104
        .size:           4
        .value_kind:     by_value
      - .offset:         108
        .size:           1
        .value_kind:     by_value
    .group_segment_fixed_size: 0
    .kernarg_segment_align: 8
    .kernarg_segment_size: 112
    .language:       OpenCL C
    .language_version:
      - 2
      - 0
    .max_flat_workgroup_size: 256
    .name:           _ZN9rocsparseL41csrmvn_lrb_medium_rows_warp_reduce_kernelILj256ELj64Ell21rocsparse_complex_numIfES2_S2_S2_EEvbT1_lPT2_S5_jNS_24const_host_device_scalarIT6_EEPKS3_PKS4_PKT3_PKT4_S8_PT5_21rocsparse_index_base_b
    .private_segment_fixed_size: 0
    .sgpr_count:     18
    .sgpr_spill_count: 0
    .symbol:         _ZN9rocsparseL41csrmvn_lrb_medium_rows_warp_reduce_kernelILj256ELj64Ell21rocsparse_complex_numIfES2_S2_S2_EEvbT1_lPT2_S5_jNS_24const_host_device_scalarIT6_EEPKS3_PKS4_PKT3_PKT4_S8_PT5_21rocsparse_index_base_b.kd
    .uniform_work_group_size: 1
    .uses_dynamic_stack: false
    .vgpr_count:     22
    .vgpr_spill_count: 0
    .wavefront_size: 32
    .workgroup_processor_mode: 1
  - .args:
      - .offset:         0
        .size:           1
        .value_kind:     by_value
      - .offset:         8
        .size:           8
        .value_kind:     by_value
      - .actual_access:  read_only
        .address_space:  global
        .offset:         16
        .size:           8
        .value_kind:     global_buffer
      - .actual_access:  read_only
        .address_space:  global
        .offset:         24
        .size:           8
        .value_kind:     global_buffer
      - .offset:         32
        .size:           4
        .value_kind:     by_value
      - .offset:         40
        .size:           8
        .value_kind:     by_value
      - .actual_access:  read_only
        .address_space:  global
        .offset:         48
        .size:           8
        .value_kind:     global_buffer
      - .actual_access:  read_only
        .address_space:  global
        .offset:         56
        .size:           8
        .value_kind:     global_buffer
      - .actual_access:  read_only
        .address_space:  global
        .offset:         64
        .size:           8
        .value_kind:     global_buffer
      - .actual_access:  read_only
        .address_space:  global
        .offset:         72
        .size:           8
        .value_kind:     global_buffer
      - .offset:         80
        .size:           8
        .value_kind:     by_value
      - .address_space:  global
        .offset:         88
        .size:           8
        .value_kind:     global_buffer
      - .offset:         96
        .size:           4
        .value_kind:     by_value
      - .offset:         100
        .size:           1
        .value_kind:     by_value
    .group_segment_fixed_size: 2048
    .kernarg_segment_align: 8
    .kernarg_segment_size: 104
    .language:       OpenCL C
    .language_version:
      - 2
      - 0
    .max_flat_workgroup_size: 256
    .name:           _ZN9rocsparseL29csrmvn_lrb_medium_rows_kernelILj256Ell21rocsparse_complex_numIfES2_S2_S2_EEvbT0_PT1_S5_jNS_24const_host_device_scalarIT5_EEPKS3_PKS4_PKT2_PKT3_S8_PT4_21rocsparse_index_base_b
    .private_segment_fixed_size: 0
    .sgpr_count:     22
    .sgpr_spill_count: 0
    .symbol:         _ZN9rocsparseL29csrmvn_lrb_medium_rows_kernelILj256Ell21rocsparse_complex_numIfES2_S2_S2_EEvbT0_PT1_S5_jNS_24const_host_device_scalarIT5_EEPKS3_PKS4_PKT2_PKT3_S8_PT4_21rocsparse_index_base_b.kd
    .uniform_work_group_size: 1
    .uses_dynamic_stack: false
    .vgpr_count:     18
    .vgpr_spill_count: 0
    .wavefront_size: 32
    .workgroup_processor_mode: 1
  - .args:
      - .offset:         0
        .size:           1
        .value_kind:     by_value
      - .offset:         8
        .size:           8
        .value_kind:     by_value
      - .address_space:  global
        .offset:         16
        .size:           8
        .value_kind:     global_buffer
      - .actual_access:  read_only
        .address_space:  global
        .offset:         24
        .size:           8
        .value_kind:     global_buffer
      - .actual_access:  read_only
        .address_space:  global
        .offset:         32
        .size:           8
        .value_kind:     global_buffer
      - .offset:         40
        .size:           4
        .value_kind:     by_value
      - .offset:         48
        .size:           8
        .value_kind:     by_value
      - .actual_access:  read_only
        .address_space:  global
        .offset:         56
        .size:           8
        .value_kind:     global_buffer
      - .actual_access:  read_only
        .address_space:  global
        .offset:         64
        .size:           8
        .value_kind:     global_buffer
      - .actual_access:  read_only
        .address_space:  global
        .offset:         72
        .size:           8
        .value_kind:     global_buffer
      - .actual_access:  read_only
        .address_space:  global
        .offset:         80
        .size:           8
        .value_kind:     global_buffer
      - .offset:         88
        .size:           8
        .value_kind:     by_value
      - .address_space:  global
        .offset:         96
        .size:           8
        .value_kind:     global_buffer
      - .offset:         104
        .size:           4
        .value_kind:     by_value
      - .offset:         108
        .size:           1
        .value_kind:     by_value
    .group_segment_fixed_size: 2048
    .kernarg_segment_align: 8
    .kernarg_segment_size: 112
    .language:       OpenCL C
    .language_version:
      - 2
      - 0
    .max_flat_workgroup_size: 256
    .name:           _ZN9rocsparseL27csrmvn_lrb_long_rows_kernelIll21rocsparse_complex_numIfES2_S2_S2_EEvbT_PjPT0_S6_jNS_24const_host_device_scalarIT4_EEPKS3_PKS5_PKT1_PKT2_S9_PT3_21rocsparse_index_base_b
    .private_segment_fixed_size: 0
    .sgpr_count:     30
    .sgpr_spill_count: 0
    .symbol:         _ZN9rocsparseL27csrmvn_lrb_long_rows_kernelIll21rocsparse_complex_numIfES2_S2_S2_EEvbT_PjPT0_S6_jNS_24const_host_device_scalarIT4_EEPKS3_PKS5_PKT1_PKT2_S9_PT3_21rocsparse_index_base_b.kd
    .uniform_work_group_size: 1
    .uses_dynamic_stack: false
    .vgpr_count:     16
    .vgpr_spill_count: 0
    .wavefront_size: 32
    .workgroup_processor_mode: 1
  - .args:
      - .offset:         0
        .size:           1
        .value_kind:     by_value
      - .offset:         4
        .size:           4
        .value_kind:     by_value
      - .actual_access:  read_only
        .address_space:  global
        .offset:         8
        .size:           8
        .value_kind:     global_buffer
      - .actual_access:  read_only
        .address_space:  global
        .offset:         16
        .size:           8
        .value_kind:     global_buffer
      - .offset:         24
        .size:           4
        .value_kind:     by_value
      - .offset:         32
        .size:           16
        .value_kind:     by_value
      - .actual_access:  read_only
        .address_space:  global
        .offset:         48
        .size:           8
        .value_kind:     global_buffer
      - .actual_access:  read_only
        .address_space:  global
        .offset:         56
        .size:           8
        .value_kind:     global_buffer
      - .actual_access:  read_only
        .address_space:  global
        .offset:         64
        .size:           8
        .value_kind:     global_buffer
      - .actual_access:  read_only
        .address_space:  global
        .offset:         72
        .size:           8
        .value_kind:     global_buffer
      - .offset:         80
        .size:           16
        .value_kind:     by_value
      - .address_space:  global
        .offset:         96
        .size:           8
        .value_kind:     global_buffer
      - .offset:         104
        .size:           4
        .value_kind:     by_value
      - .offset:         108
        .size:           1
        .value_kind:     by_value
    .group_segment_fixed_size: 0
    .kernarg_segment_align: 8
    .kernarg_segment_size: 112
    .language:       OpenCL C
    .language_version:
      - 2
      - 0
    .max_flat_workgroup_size: 256
    .name:           _ZN9rocsparseL28csrmvn_lrb_short_rows_kernelIii21rocsparse_complex_numIdES2_S2_S2_EEvbT_PT0_S5_jNS_24const_host_device_scalarIT4_EEPKS3_PKS4_PKT1_PKT2_S8_PT3_21rocsparse_index_base_b
    .private_segment_fixed_size: 24
    .sgpr_count:     24
    .sgpr_spill_count: 0
    .symbol:         _ZN9rocsparseL28csrmvn_lrb_short_rows_kernelIii21rocsparse_complex_numIdES2_S2_S2_EEvbT_PT0_S5_jNS_24const_host_device_scalarIT4_EEPKS3_PKS4_PKT1_PKT2_S8_PT3_21rocsparse_index_base_b.kd
    .uniform_work_group_size: 1
    .uses_dynamic_stack: false
    .vgpr_count:     24
    .vgpr_spill_count: 0
    .wavefront_size: 32
    .workgroup_processor_mode: 1
  - .args:
      - .offset:         0
        .size:           1
        .value_kind:     by_value
      - .offset:         4
        .size:           4
        .value_kind:     by_value
      - .actual_access:  read_only
        .address_space:  global
        .offset:         8
        .size:           8
        .value_kind:     global_buffer
      - .actual_access:  read_only
        .address_space:  global
        .offset:         16
        .size:           8
        .value_kind:     global_buffer
      - .offset:         24
        .size:           4
        .value_kind:     by_value
      - .offset:         32
        .size:           16
        .value_kind:     by_value
      - .actual_access:  read_only
        .address_space:  global
        .offset:         48
        .size:           8
        .value_kind:     global_buffer
      - .actual_access:  read_only
        .address_space:  global
        .offset:         56
        .size:           8
        .value_kind:     global_buffer
      - .actual_access:  read_only
        .address_space:  global
        .offset:         64
        .size:           8
        .value_kind:     global_buffer
      - .actual_access:  read_only
        .address_space:  global
        .offset:         72
        .size:           8
        .value_kind:     global_buffer
      - .offset:         80
        .size:           16
        .value_kind:     by_value
      - .address_space:  global
        .offset:         96
        .size:           8
        .value_kind:     global_buffer
      - .offset:         104
        .size:           4
        .value_kind:     by_value
      - .offset:         108
        .size:           1
        .value_kind:     by_value
    .group_segment_fixed_size: 16384
    .kernarg_segment_align: 8
    .kernarg_segment_size: 112
    .language:       OpenCL C
    .language_version:
      - 2
      - 0
    .max_flat_workgroup_size: 256
    .name:           _ZN9rocsparseL30csrmvn_lrb_short_rows_2_kernelIii21rocsparse_complex_numIdES2_S2_S2_EEvbT_PT0_S5_jNS_24const_host_device_scalarIT4_EEPKS3_PKS4_PKT1_PKT2_S8_PT3_21rocsparse_index_base_b
    .private_segment_fixed_size: 24
    .sgpr_count:     24
    .sgpr_spill_count: 0
    .symbol:         _ZN9rocsparseL30csrmvn_lrb_short_rows_2_kernelIii21rocsparse_complex_numIdES2_S2_S2_EEvbT_PT0_S5_jNS_24const_host_device_scalarIT4_EEPKS3_PKS4_PKT1_PKT2_S8_PT3_21rocsparse_index_base_b.kd
    .uniform_work_group_size: 1
    .uses_dynamic_stack: false
    .vgpr_count:     21
    .vgpr_spill_count: 0
    .wavefront_size: 32
    .workgroup_processor_mode: 1
  - .args:
      - .offset:         0
        .size:           1
        .value_kind:     by_value
      - .offset:         4
        .size:           4
        .value_kind:     by_value
      - .offset:         8
        .size:           8
        .value_kind:     by_value
      - .actual_access:  read_only
        .address_space:  global
        .offset:         16
        .size:           8
        .value_kind:     global_buffer
      - .actual_access:  read_only
        .address_space:  global
        .offset:         24
        .size:           8
        .value_kind:     global_buffer
      - .offset:         32
        .size:           4
        .value_kind:     by_value
      - .offset:         40
        .size:           16
        .value_kind:     by_value
      - .actual_access:  read_only
        .address_space:  global
        .offset:         56
        .size:           8
        .value_kind:     global_buffer
      - .actual_access:  read_only
        .address_space:  global
        .offset:         64
        .size:           8
        .value_kind:     global_buffer
      - .actual_access:  read_only
        .address_space:  global
        .offset:         72
        .size:           8
        .value_kind:     global_buffer
      - .actual_access:  read_only
        .address_space:  global
        .offset:         80
        .size:           8
        .value_kind:     global_buffer
      - .offset:         88
        .size:           16
        .value_kind:     by_value
      - .address_space:  global
        .offset:         104
        .size:           8
        .value_kind:     global_buffer
      - .offset:         112
        .size:           4
        .value_kind:     by_value
      - .offset:         116
        .size:           1
        .value_kind:     by_value
    .group_segment_fixed_size: 4096
    .kernarg_segment_align: 8
    .kernarg_segment_size: 120
    .language:       OpenCL C
    .language_version:
      - 2
      - 0
    .max_flat_workgroup_size: 256
    .name:           _ZN9rocsparseL41csrmvn_lrb_medium_rows_warp_reduce_kernelILj256ELj32Eii21rocsparse_complex_numIdES2_S2_S2_EEvbT1_lPT2_S5_jNS_24const_host_device_scalarIT6_EEPKS3_PKS4_PKT3_PKT4_S8_PT5_21rocsparse_index_base_b
    .private_segment_fixed_size: 0
    .sgpr_count:     20
    .sgpr_spill_count: 0
    .symbol:         _ZN9rocsparseL41csrmvn_lrb_medium_rows_warp_reduce_kernelILj256ELj32Eii21rocsparse_complex_numIdES2_S2_S2_EEvbT1_lPT2_S5_jNS_24const_host_device_scalarIT6_EEPKS3_PKS4_PKT3_PKT4_S8_PT5_21rocsparse_index_base_b.kd
    .uniform_work_group_size: 1
    .uses_dynamic_stack: false
    .vgpr_count:     28
    .vgpr_spill_count: 0
    .wavefront_size: 32
    .workgroup_processor_mode: 1
  - .args:
      - .offset:         0
        .size:           1
        .value_kind:     by_value
      - .offset:         4
        .size:           4
        .value_kind:     by_value
      - .offset:         8
        .size:           8
        .value_kind:     by_value
      - .actual_access:  read_only
        .address_space:  global
        .offset:         16
        .size:           8
        .value_kind:     global_buffer
      - .actual_access:  read_only
        .address_space:  global
        .offset:         24
        .size:           8
        .value_kind:     global_buffer
      - .offset:         32
        .size:           4
        .value_kind:     by_value
      - .offset:         40
        .size:           16
        .value_kind:     by_value
      - .actual_access:  read_only
        .address_space:  global
        .offset:         56
        .size:           8
        .value_kind:     global_buffer
      - .actual_access:  read_only
        .address_space:  global
        .offset:         64
        .size:           8
        .value_kind:     global_buffer
      - .actual_access:  read_only
        .address_space:  global
        .offset:         72
        .size:           8
        .value_kind:     global_buffer
      - .actual_access:  read_only
        .address_space:  global
        .offset:         80
        .size:           8
        .value_kind:     global_buffer
      - .offset:         88
        .size:           16
        .value_kind:     by_value
      - .address_space:  global
        .offset:         104
        .size:           8
        .value_kind:     global_buffer
      - .offset:         112
        .size:           4
        .value_kind:     by_value
      - .offset:         116
        .size:           1
        .value_kind:     by_value
    .group_segment_fixed_size: 4096
    .kernarg_segment_align: 8
    .kernarg_segment_size: 120
    .language:       OpenCL C
    .language_version:
      - 2
      - 0
    .max_flat_workgroup_size: 256
    .name:           _ZN9rocsparseL41csrmvn_lrb_medium_rows_warp_reduce_kernelILj256ELj64Eii21rocsparse_complex_numIdES2_S2_S2_EEvbT1_lPT2_S5_jNS_24const_host_device_scalarIT6_EEPKS3_PKS4_PKT3_PKT4_S8_PT5_21rocsparse_index_base_b
    .private_segment_fixed_size: 0
    .sgpr_count:     20
    .sgpr_spill_count: 0
    .symbol:         _ZN9rocsparseL41csrmvn_lrb_medium_rows_warp_reduce_kernelILj256ELj64Eii21rocsparse_complex_numIdES2_S2_S2_EEvbT1_lPT2_S5_jNS_24const_host_device_scalarIT6_EEPKS3_PKS4_PKT3_PKT4_S8_PT5_21rocsparse_index_base_b.kd
    .uniform_work_group_size: 1
    .uses_dynamic_stack: false
    .vgpr_count:     28
    .vgpr_spill_count: 0
    .wavefront_size: 32
    .workgroup_processor_mode: 1
  - .args:
      - .offset:         0
        .size:           1
        .value_kind:     by_value
      - .offset:         4
        .size:           4
        .value_kind:     by_value
      - .actual_access:  read_only
        .address_space:  global
        .offset:         8
        .size:           8
        .value_kind:     global_buffer
      - .actual_access:  read_only
        .address_space:  global
        .offset:         16
        .size:           8
        .value_kind:     global_buffer
      - .offset:         24
        .size:           4
        .value_kind:     by_value
      - .offset:         32
        .size:           16
        .value_kind:     by_value
      - .actual_access:  read_only
        .address_space:  global
        .offset:         48
        .size:           8
        .value_kind:     global_buffer
      - .actual_access:  read_only
        .address_space:  global
        .offset:         56
        .size:           8
        .value_kind:     global_buffer
      - .actual_access:  read_only
        .address_space:  global
        .offset:         64
        .size:           8
        .value_kind:     global_buffer
      - .actual_access:  read_only
        .address_space:  global
        .offset:         72
        .size:           8
        .value_kind:     global_buffer
      - .offset:         80
        .size:           16
        .value_kind:     by_value
      - .address_space:  global
        .offset:         96
        .size:           8
        .value_kind:     global_buffer
      - .offset:         104
        .size:           4
        .value_kind:     by_value
      - .offset:         108
        .size:           1
        .value_kind:     by_value
    .group_segment_fixed_size: 8192
    .kernarg_segment_align: 8
    .kernarg_segment_size: 112
    .language:       OpenCL C
    .language_version:
      - 2
      - 0
    .max_flat_workgroup_size: 256
    .name:           _ZN9rocsparseL29csrmvn_lrb_medium_rows_kernelILj256Eii21rocsparse_complex_numIdES2_S2_S2_EEvbT0_PT1_S5_jNS_24const_host_device_scalarIT5_EEPKS3_PKS4_PKT2_PKT3_S8_PT4_21rocsparse_index_base_b
    .private_segment_fixed_size: 0
    .sgpr_count:     20
    .sgpr_spill_count: 0
    .symbol:         _ZN9rocsparseL29csrmvn_lrb_medium_rows_kernelILj256Eii21rocsparse_complex_numIdES2_S2_S2_EEvbT0_PT1_S5_jNS_24const_host_device_scalarIT5_EEPKS3_PKS4_PKT2_PKT3_S8_PT4_21rocsparse_index_base_b.kd
    .uniform_work_group_size: 1
    .uses_dynamic_stack: false
    .vgpr_count:     25
    .vgpr_spill_count: 0
    .wavefront_size: 32
    .workgroup_processor_mode: 1
  - .args:
      - .offset:         0
        .size:           1
        .value_kind:     by_value
      - .offset:         4
        .size:           4
        .value_kind:     by_value
      - .address_space:  global
        .offset:         8
        .size:           8
        .value_kind:     global_buffer
      - .actual_access:  read_only
        .address_space:  global
        .offset:         16
        .size:           8
        .value_kind:     global_buffer
      - .actual_access:  read_only
        .address_space:  global
        .offset:         24
        .size:           8
        .value_kind:     global_buffer
      - .offset:         32
        .size:           4
        .value_kind:     by_value
      - .offset:         40
        .size:           16
        .value_kind:     by_value
      - .actual_access:  read_only
        .address_space:  global
        .offset:         56
        .size:           8
        .value_kind:     global_buffer
      - .actual_access:  read_only
        .address_space:  global
        .offset:         64
        .size:           8
        .value_kind:     global_buffer
      - .actual_access:  read_only
        .address_space:  global
        .offset:         72
        .size:           8
        .value_kind:     global_buffer
      - .actual_access:  read_only
        .address_space:  global
        .offset:         80
        .size:           8
        .value_kind:     global_buffer
      - .offset:         88
        .size:           16
        .value_kind:     by_value
      - .address_space:  global
        .offset:         104
        .size:           8
        .value_kind:     global_buffer
      - .offset:         112
        .size:           4
        .value_kind:     by_value
      - .offset:         116
        .size:           1
        .value_kind:     by_value
    .group_segment_fixed_size: 8192
    .kernarg_segment_align: 8
    .kernarg_segment_size: 120
    .language:       OpenCL C
    .language_version:
      - 2
      - 0
    .max_flat_workgroup_size: 256
    .name:           _ZN9rocsparseL27csrmvn_lrb_long_rows_kernelIii21rocsparse_complex_numIdES2_S2_S2_EEvbT_PjPT0_S6_jNS_24const_host_device_scalarIT4_EEPKS3_PKS5_PKT1_PKT2_S9_PT3_21rocsparse_index_base_b
    .private_segment_fixed_size: 0
    .sgpr_count:     28
    .sgpr_spill_count: 0
    .symbol:         _ZN9rocsparseL27csrmvn_lrb_long_rows_kernelIii21rocsparse_complex_numIdES2_S2_S2_EEvbT_PjPT0_S6_jNS_24const_host_device_scalarIT4_EEPKS3_PKS5_PKT1_PKT2_S9_PT3_21rocsparse_index_base_b.kd
    .uniform_work_group_size: 1
    .uses_dynamic_stack: false
    .vgpr_count:     21
    .vgpr_spill_count: 0
    .wavefront_size: 32
    .workgroup_processor_mode: 1
  - .args:
      - .offset:         0
        .size:           1
        .value_kind:     by_value
      - .offset:         8
        .size:           8
        .value_kind:     by_value
      - .actual_access:  read_only
        .address_space:  global
        .offset:         16
        .size:           8
        .value_kind:     global_buffer
      - .actual_access:  read_only
        .address_space:  global
        .offset:         24
        .size:           8
        .value_kind:     global_buffer
      - .offset:         32
        .size:           4
        .value_kind:     by_value
      - .offset:         40
        .size:           16
        .value_kind:     by_value
      - .actual_access:  read_only
        .address_space:  global
        .offset:         56
        .size:           8
        .value_kind:     global_buffer
      - .actual_access:  read_only
        .address_space:  global
        .offset:         64
        .size:           8
        .value_kind:     global_buffer
      - .actual_access:  read_only
        .address_space:  global
        .offset:         72
        .size:           8
        .value_kind:     global_buffer
      - .actual_access:  read_only
        .address_space:  global
        .offset:         80
        .size:           8
        .value_kind:     global_buffer
      - .offset:         88
        .size:           16
        .value_kind:     by_value
      - .address_space:  global
        .offset:         104
        .size:           8
        .value_kind:     global_buffer
      - .offset:         112
        .size:           4
        .value_kind:     by_value
      - .offset:         116
        .size:           1
        .value_kind:     by_value
    .group_segment_fixed_size: 0
    .kernarg_segment_align: 8
    .kernarg_segment_size: 120
    .language:       OpenCL C
    .language_version:
      - 2
      - 0
    .max_flat_workgroup_size: 256
    .name:           _ZN9rocsparseL28csrmvn_lrb_short_rows_kernelIli21rocsparse_complex_numIdES2_S2_S2_EEvbT_PT0_S5_jNS_24const_host_device_scalarIT4_EEPKS3_PKS4_PKT1_PKT2_S8_PT3_21rocsparse_index_base_b
    .private_segment_fixed_size: 24
    .sgpr_count:     24
    .sgpr_spill_count: 0
    .symbol:         _ZN9rocsparseL28csrmvn_lrb_short_rows_kernelIli21rocsparse_complex_numIdES2_S2_S2_EEvbT_PT0_S5_jNS_24const_host_device_scalarIT4_EEPKS3_PKS4_PKT1_PKT2_S8_PT3_21rocsparse_index_base_b.kd
    .uniform_work_group_size: 1
    .uses_dynamic_stack: false
    .vgpr_count:     24
    .vgpr_spill_count: 0
    .wavefront_size: 32
    .workgroup_processor_mode: 1
  - .args:
      - .offset:         0
        .size:           1
        .value_kind:     by_value
      - .offset:         8
        .size:           8
        .value_kind:     by_value
      - .actual_access:  read_only
        .address_space:  global
        .offset:         16
        .size:           8
        .value_kind:     global_buffer
      - .actual_access:  read_only
        .address_space:  global
        .offset:         24
        .size:           8
        .value_kind:     global_buffer
      - .offset:         32
        .size:           4
        .value_kind:     by_value
      - .offset:         40
        .size:           16
        .value_kind:     by_value
      - .actual_access:  read_only
        .address_space:  global
        .offset:         56
        .size:           8
        .value_kind:     global_buffer
      - .actual_access:  read_only
        .address_space:  global
        .offset:         64
        .size:           8
        .value_kind:     global_buffer
      - .actual_access:  read_only
        .address_space:  global
        .offset:         72
        .size:           8
        .value_kind:     global_buffer
      - .actual_access:  read_only
        .address_space:  global
        .offset:         80
        .size:           8
        .value_kind:     global_buffer
      - .offset:         88
        .size:           16
        .value_kind:     by_value
      - .address_space:  global
        .offset:         104
        .size:           8
        .value_kind:     global_buffer
      - .offset:         112
        .size:           4
        .value_kind:     by_value
      - .offset:         116
        .size:           1
        .value_kind:     by_value
    .group_segment_fixed_size: 16384
    .kernarg_segment_align: 8
    .kernarg_segment_size: 120
    .language:       OpenCL C
    .language_version:
      - 2
      - 0
    .max_flat_workgroup_size: 256
    .name:           _ZN9rocsparseL30csrmvn_lrb_short_rows_2_kernelIli21rocsparse_complex_numIdES2_S2_S2_EEvbT_PT0_S5_jNS_24const_host_device_scalarIT4_EEPKS3_PKS4_PKT1_PKT2_S8_PT3_21rocsparse_index_base_b
    .private_segment_fixed_size: 24
    .sgpr_count:     24
    .sgpr_spill_count: 0
    .symbol:         _ZN9rocsparseL30csrmvn_lrb_short_rows_2_kernelIli21rocsparse_complex_numIdES2_S2_S2_EEvbT_PT0_S5_jNS_24const_host_device_scalarIT4_EEPKS3_PKS4_PKT1_PKT2_S8_PT3_21rocsparse_index_base_b.kd
    .uniform_work_group_size: 1
    .uses_dynamic_stack: false
    .vgpr_count:     21
    .vgpr_spill_count: 0
    .wavefront_size: 32
    .workgroup_processor_mode: 1
  - .args:
      - .offset:         0
        .size:           1
        .value_kind:     by_value
      - .offset:         8
        .size:           8
        .value_kind:     by_value
      - .offset:         16
        .size:           8
        .value_kind:     by_value
      - .actual_access:  read_only
        .address_space:  global
        .offset:         24
        .size:           8
        .value_kind:     global_buffer
      - .actual_access:  read_only
        .address_space:  global
        .offset:         32
        .size:           8
        .value_kind:     global_buffer
      - .offset:         40
        .size:           4
        .value_kind:     by_value
      - .offset:         48
        .size:           16
        .value_kind:     by_value
      - .actual_access:  read_only
        .address_space:  global
        .offset:         64
        .size:           8
        .value_kind:     global_buffer
      - .actual_access:  read_only
        .address_space:  global
        .offset:         72
        .size:           8
        .value_kind:     global_buffer
      - .actual_access:  read_only
        .address_space:  global
        .offset:         80
        .size:           8
        .value_kind:     global_buffer
      - .actual_access:  read_only
        .address_space:  global
        .offset:         88
        .size:           8
        .value_kind:     global_buffer
      - .offset:         96
        .size:           16
        .value_kind:     by_value
      - .address_space:  global
        .offset:         112
        .size:           8
        .value_kind:     global_buffer
      - .offset:         120
        .size:           4
        .value_kind:     by_value
      - .offset:         124
        .size:           1
        .value_kind:     by_value
    .group_segment_fixed_size: 4096
    .kernarg_segment_align: 8
    .kernarg_segment_size: 128
    .language:       OpenCL C
    .language_version:
      - 2
      - 0
    .max_flat_workgroup_size: 256
    .name:           _ZN9rocsparseL41csrmvn_lrb_medium_rows_warp_reduce_kernelILj256ELj32Eli21rocsparse_complex_numIdES2_S2_S2_EEvbT1_lPT2_S5_jNS_24const_host_device_scalarIT6_EEPKS3_PKS4_PKT3_PKT4_S8_PT5_21rocsparse_index_base_b
    .private_segment_fixed_size: 0
    .sgpr_count:     20
    .sgpr_spill_count: 0
    .symbol:         _ZN9rocsparseL41csrmvn_lrb_medium_rows_warp_reduce_kernelILj256ELj32Eli21rocsparse_complex_numIdES2_S2_S2_EEvbT1_lPT2_S5_jNS_24const_host_device_scalarIT6_EEPKS3_PKS4_PKT3_PKT4_S8_PT5_21rocsparse_index_base_b.kd
    .uniform_work_group_size: 1
    .uses_dynamic_stack: false
    .vgpr_count:     33
    .vgpr_spill_count: 0
    .wavefront_size: 32
    .workgroup_processor_mode: 1
  - .args:
      - .offset:         0
        .size:           1
        .value_kind:     by_value
      - .offset:         8
        .size:           8
        .value_kind:     by_value
      - .offset:         16
        .size:           8
        .value_kind:     by_value
      - .actual_access:  read_only
        .address_space:  global
        .offset:         24
        .size:           8
        .value_kind:     global_buffer
      - .actual_access:  read_only
        .address_space:  global
        .offset:         32
        .size:           8
        .value_kind:     global_buffer
      - .offset:         40
        .size:           4
        .value_kind:     by_value
      - .offset:         48
        .size:           16
        .value_kind:     by_value
      - .actual_access:  read_only
        .address_space:  global
        .offset:         64
        .size:           8
        .value_kind:     global_buffer
      - .actual_access:  read_only
        .address_space:  global
        .offset:         72
        .size:           8
        .value_kind:     global_buffer
      - .actual_access:  read_only
        .address_space:  global
        .offset:         80
        .size:           8
        .value_kind:     global_buffer
      - .actual_access:  read_only
        .address_space:  global
        .offset:         88
        .size:           8
        .value_kind:     global_buffer
      - .offset:         96
        .size:           16
        .value_kind:     by_value
      - .address_space:  global
        .offset:         112
        .size:           8
        .value_kind:     global_buffer
      - .offset:         120
        .size:           4
        .value_kind:     by_value
      - .offset:         124
        .size:           1
        .value_kind:     by_value
    .group_segment_fixed_size: 4096
    .kernarg_segment_align: 8
    .kernarg_segment_size: 128
    .language:       OpenCL C
    .language_version:
      - 2
      - 0
    .max_flat_workgroup_size: 256
    .name:           _ZN9rocsparseL41csrmvn_lrb_medium_rows_warp_reduce_kernelILj256ELj64Eli21rocsparse_complex_numIdES2_S2_S2_EEvbT1_lPT2_S5_jNS_24const_host_device_scalarIT6_EEPKS3_PKS4_PKT3_PKT4_S8_PT5_21rocsparse_index_base_b
    .private_segment_fixed_size: 0
    .sgpr_count:     20
    .sgpr_spill_count: 0
    .symbol:         _ZN9rocsparseL41csrmvn_lrb_medium_rows_warp_reduce_kernelILj256ELj64Eli21rocsparse_complex_numIdES2_S2_S2_EEvbT1_lPT2_S5_jNS_24const_host_device_scalarIT6_EEPKS3_PKS4_PKT3_PKT4_S8_PT5_21rocsparse_index_base_b.kd
    .uniform_work_group_size: 1
    .uses_dynamic_stack: false
    .vgpr_count:     33
    .vgpr_spill_count: 0
    .wavefront_size: 32
    .workgroup_processor_mode: 1
  - .args:
      - .offset:         0
        .size:           1
        .value_kind:     by_value
      - .offset:         8
        .size:           8
        .value_kind:     by_value
      - .actual_access:  read_only
        .address_space:  global
        .offset:         16
        .size:           8
        .value_kind:     global_buffer
      - .actual_access:  read_only
        .address_space:  global
        .offset:         24
        .size:           8
        .value_kind:     global_buffer
      - .offset:         32
        .size:           4
        .value_kind:     by_value
      - .offset:         40
        .size:           16
        .value_kind:     by_value
      - .actual_access:  read_only
        .address_space:  global
        .offset:         56
        .size:           8
        .value_kind:     global_buffer
      - .actual_access:  read_only
        .address_space:  global
        .offset:         64
        .size:           8
        .value_kind:     global_buffer
      - .actual_access:  read_only
        .address_space:  global
        .offset:         72
        .size:           8
        .value_kind:     global_buffer
      - .actual_access:  read_only
        .address_space:  global
        .offset:         80
        .size:           8
        .value_kind:     global_buffer
      - .offset:         88
        .size:           16
        .value_kind:     by_value
      - .address_space:  global
        .offset:         104
        .size:           8
        .value_kind:     global_buffer
      - .offset:         112
        .size:           4
        .value_kind:     by_value
      - .offset:         116
        .size:           1
        .value_kind:     by_value
    .group_segment_fixed_size: 8192
    .kernarg_segment_align: 8
    .kernarg_segment_size: 120
    .language:       OpenCL C
    .language_version:
      - 2
      - 0
    .max_flat_workgroup_size: 256
    .name:           _ZN9rocsparseL29csrmvn_lrb_medium_rows_kernelILj256Eli21rocsparse_complex_numIdES2_S2_S2_EEvbT0_PT1_S5_jNS_24const_host_device_scalarIT5_EEPKS3_PKS4_PKT2_PKT3_S8_PT4_21rocsparse_index_base_b
    .private_segment_fixed_size: 0
    .sgpr_count:     22
    .sgpr_spill_count: 0
    .symbol:         _ZN9rocsparseL29csrmvn_lrb_medium_rows_kernelILj256Eli21rocsparse_complex_numIdES2_S2_S2_EEvbT0_PT1_S5_jNS_24const_host_device_scalarIT5_EEPKS3_PKS4_PKT2_PKT3_S8_PT4_21rocsparse_index_base_b.kd
    .uniform_work_group_size: 1
    .uses_dynamic_stack: false
    .vgpr_count:     29
    .vgpr_spill_count: 0
    .wavefront_size: 32
    .workgroup_processor_mode: 1
  - .args:
      - .offset:         0
        .size:           1
        .value_kind:     by_value
      - .offset:         8
        .size:           8
        .value_kind:     by_value
      - .address_space:  global
        .offset:         16
        .size:           8
        .value_kind:     global_buffer
      - .actual_access:  read_only
        .address_space:  global
        .offset:         24
        .size:           8
        .value_kind:     global_buffer
      - .actual_access:  read_only
        .address_space:  global
        .offset:         32
        .size:           8
        .value_kind:     global_buffer
      - .offset:         40
        .size:           4
        .value_kind:     by_value
      - .offset:         48
        .size:           16
        .value_kind:     by_value
      - .actual_access:  read_only
        .address_space:  global
        .offset:         64
        .size:           8
        .value_kind:     global_buffer
      - .actual_access:  read_only
        .address_space:  global
        .offset:         72
        .size:           8
        .value_kind:     global_buffer
      - .actual_access:  read_only
        .address_space:  global
        .offset:         80
        .size:           8
        .value_kind:     global_buffer
      - .actual_access:  read_only
        .address_space:  global
        .offset:         88
        .size:           8
        .value_kind:     global_buffer
      - .offset:         96
        .size:           16
        .value_kind:     by_value
      - .address_space:  global
        .offset:         112
        .size:           8
        .value_kind:     global_buffer
      - .offset:         120
        .size:           4
        .value_kind:     by_value
      - .offset:         124
        .size:           1
        .value_kind:     by_value
    .group_segment_fixed_size: 8192
    .kernarg_segment_align: 8
    .kernarg_segment_size: 128
    .language:       OpenCL C
    .language_version:
      - 2
      - 0
    .max_flat_workgroup_size: 256
    .name:           _ZN9rocsparseL27csrmvn_lrb_long_rows_kernelIli21rocsparse_complex_numIdES2_S2_S2_EEvbT_PjPT0_S6_jNS_24const_host_device_scalarIT4_EEPKS3_PKS5_PKT1_PKT2_S9_PT3_21rocsparse_index_base_b
    .private_segment_fixed_size: 0
    .sgpr_count:     30
    .sgpr_spill_count: 0
    .symbol:         _ZN9rocsparseL27csrmvn_lrb_long_rows_kernelIli21rocsparse_complex_numIdES2_S2_S2_EEvbT_PjPT0_S6_jNS_24const_host_device_scalarIT4_EEPKS3_PKS5_PKT1_PKT2_S9_PT3_21rocsparse_index_base_b.kd
    .uniform_work_group_size: 1
    .uses_dynamic_stack: false
    .vgpr_count:     25
    .vgpr_spill_count: 0
    .wavefront_size: 32
    .workgroup_processor_mode: 1
  - .args:
      - .offset:         0
        .size:           1
        .value_kind:     by_value
      - .offset:         8
        .size:           8
        .value_kind:     by_value
      - .actual_access:  read_only
        .address_space:  global
        .offset:         16
        .size:           8
        .value_kind:     global_buffer
      - .actual_access:  read_only
        .address_space:  global
        .offset:         24
        .size:           8
        .value_kind:     global_buffer
      - .offset:         32
        .size:           4
        .value_kind:     by_value
      - .offset:         40
        .size:           16
        .value_kind:     by_value
      - .actual_access:  read_only
        .address_space:  global
        .offset:         56
        .size:           8
        .value_kind:     global_buffer
      - .actual_access:  read_only
        .address_space:  global
        .offset:         64
        .size:           8
        .value_kind:     global_buffer
      - .actual_access:  read_only
        .address_space:  global
        .offset:         72
        .size:           8
        .value_kind:     global_buffer
      - .actual_access:  read_only
        .address_space:  global
        .offset:         80
        .size:           8
        .value_kind:     global_buffer
      - .offset:         88
        .size:           16
        .value_kind:     by_value
      - .address_space:  global
        .offset:         104
        .size:           8
        .value_kind:     global_buffer
      - .offset:         112
        .size:           4
        .value_kind:     by_value
      - .offset:         116
        .size:           1
        .value_kind:     by_value
    .group_segment_fixed_size: 0
    .kernarg_segment_align: 8
    .kernarg_segment_size: 120
    .language:       OpenCL C
    .language_version:
      - 2
      - 0
    .max_flat_workgroup_size: 256
    .name:           _ZN9rocsparseL28csrmvn_lrb_short_rows_kernelIll21rocsparse_complex_numIdES2_S2_S2_EEvbT_PT0_S5_jNS_24const_host_device_scalarIT4_EEPKS3_PKS4_PKT1_PKT2_S8_PT3_21rocsparse_index_base_b
    .private_segment_fixed_size: 24
    .sgpr_count:     27
    .sgpr_spill_count: 0
    .symbol:         _ZN9rocsparseL28csrmvn_lrb_short_rows_kernelIll21rocsparse_complex_numIdES2_S2_S2_EEvbT_PT0_S5_jNS_24const_host_device_scalarIT4_EEPKS3_PKS4_PKT1_PKT2_S8_PT3_21rocsparse_index_base_b.kd
    .uniform_work_group_size: 1
    .uses_dynamic_stack: false
    .vgpr_count:     24
    .vgpr_spill_count: 0
    .wavefront_size: 32
    .workgroup_processor_mode: 1
  - .args:
      - .offset:         0
        .size:           1
        .value_kind:     by_value
      - .offset:         8
        .size:           8
        .value_kind:     by_value
      - .actual_access:  read_only
        .address_space:  global
        .offset:         16
        .size:           8
        .value_kind:     global_buffer
      - .actual_access:  read_only
        .address_space:  global
        .offset:         24
        .size:           8
        .value_kind:     global_buffer
      - .offset:         32
        .size:           4
        .value_kind:     by_value
      - .offset:         40
        .size:           16
        .value_kind:     by_value
      - .actual_access:  read_only
        .address_space:  global
        .offset:         56
        .size:           8
        .value_kind:     global_buffer
      - .actual_access:  read_only
        .address_space:  global
        .offset:         64
        .size:           8
        .value_kind:     global_buffer
      - .actual_access:  read_only
        .address_space:  global
        .offset:         72
        .size:           8
        .value_kind:     global_buffer
      - .actual_access:  read_only
        .address_space:  global
        .offset:         80
        .size:           8
        .value_kind:     global_buffer
      - .offset:         88
        .size:           16
        .value_kind:     by_value
      - .address_space:  global
        .offset:         104
        .size:           8
        .value_kind:     global_buffer
      - .offset:         112
        .size:           4
        .value_kind:     by_value
      - .offset:         116
        .size:           1
        .value_kind:     by_value
    .group_segment_fixed_size: 16384
    .kernarg_segment_align: 8
    .kernarg_segment_size: 120
    .language:       OpenCL C
    .language_version:
      - 2
      - 0
    .max_flat_workgroup_size: 256
    .name:           _ZN9rocsparseL30csrmvn_lrb_short_rows_2_kernelIll21rocsparse_complex_numIdES2_S2_S2_EEvbT_PT0_S5_jNS_24const_host_device_scalarIT4_EEPKS3_PKS4_PKT1_PKT2_S8_PT3_21rocsparse_index_base_b
    .private_segment_fixed_size: 24
    .sgpr_count:     24
    .sgpr_spill_count: 0
    .symbol:         _ZN9rocsparseL30csrmvn_lrb_short_rows_2_kernelIll21rocsparse_complex_numIdES2_S2_S2_EEvbT_PT0_S5_jNS_24const_host_device_scalarIT4_EEPKS3_PKS4_PKT1_PKT2_S8_PT3_21rocsparse_index_base_b.kd
    .uniform_work_group_size: 1
    .uses_dynamic_stack: false
    .vgpr_count:     21
    .vgpr_spill_count: 0
    .wavefront_size: 32
    .workgroup_processor_mode: 1
  - .args:
      - .offset:         0
        .size:           1
        .value_kind:     by_value
      - .offset:         8
        .size:           8
        .value_kind:     by_value
      - .offset:         16
        .size:           8
        .value_kind:     by_value
      - .actual_access:  read_only
        .address_space:  global
        .offset:         24
        .size:           8
        .value_kind:     global_buffer
      - .actual_access:  read_only
        .address_space:  global
        .offset:         32
        .size:           8
        .value_kind:     global_buffer
      - .offset:         40
        .size:           4
        .value_kind:     by_value
      - .offset:         48
        .size:           16
        .value_kind:     by_value
      - .actual_access:  read_only
        .address_space:  global
        .offset:         64
        .size:           8
        .value_kind:     global_buffer
      - .actual_access:  read_only
        .address_space:  global
        .offset:         72
        .size:           8
        .value_kind:     global_buffer
      - .actual_access:  read_only
        .address_space:  global
        .offset:         80
        .size:           8
        .value_kind:     global_buffer
      - .actual_access:  read_only
        .address_space:  global
        .offset:         88
        .size:           8
        .value_kind:     global_buffer
      - .offset:         96
        .size:           16
        .value_kind:     by_value
      - .address_space:  global
        .offset:         112
        .size:           8
        .value_kind:     global_buffer
      - .offset:         120
        .size:           4
        .value_kind:     by_value
      - .offset:         124
        .size:           1
        .value_kind:     by_value
    .group_segment_fixed_size: 4096
    .kernarg_segment_align: 8
    .kernarg_segment_size: 128
    .language:       OpenCL C
    .language_version:
      - 2
      - 0
    .max_flat_workgroup_size: 256
    .name:           _ZN9rocsparseL41csrmvn_lrb_medium_rows_warp_reduce_kernelILj256ELj32Ell21rocsparse_complex_numIdES2_S2_S2_EEvbT1_lPT2_S5_jNS_24const_host_device_scalarIT6_EEPKS3_PKS4_PKT3_PKT4_S8_PT5_21rocsparse_index_base_b
    .private_segment_fixed_size: 0
    .sgpr_count:     20
    .sgpr_spill_count: 0
    .symbol:         _ZN9rocsparseL41csrmvn_lrb_medium_rows_warp_reduce_kernelILj256ELj32Ell21rocsparse_complex_numIdES2_S2_S2_EEvbT1_lPT2_S5_jNS_24const_host_device_scalarIT6_EEPKS3_PKS4_PKT3_PKT4_S8_PT5_21rocsparse_index_base_b.kd
    .uniform_work_group_size: 1
    .uses_dynamic_stack: false
    .vgpr_count:     33
    .vgpr_spill_count: 0
    .wavefront_size: 32
    .workgroup_processor_mode: 1
  - .args:
      - .offset:         0
        .size:           1
        .value_kind:     by_value
      - .offset:         8
        .size:           8
        .value_kind:     by_value
      - .offset:         16
        .size:           8
        .value_kind:     by_value
      - .actual_access:  read_only
        .address_space:  global
        .offset:         24
        .size:           8
        .value_kind:     global_buffer
      - .actual_access:  read_only
        .address_space:  global
        .offset:         32
        .size:           8
        .value_kind:     global_buffer
      - .offset:         40
        .size:           4
        .value_kind:     by_value
      - .offset:         48
        .size:           16
        .value_kind:     by_value
      - .actual_access:  read_only
        .address_space:  global
        .offset:         64
        .size:           8
        .value_kind:     global_buffer
      - .actual_access:  read_only
        .address_space:  global
        .offset:         72
        .size:           8
        .value_kind:     global_buffer
      - .actual_access:  read_only
        .address_space:  global
        .offset:         80
        .size:           8
        .value_kind:     global_buffer
      - .actual_access:  read_only
        .address_space:  global
        .offset:         88
        .size:           8
        .value_kind:     global_buffer
      - .offset:         96
        .size:           16
        .value_kind:     by_value
      - .address_space:  global
        .offset:         112
        .size:           8
        .value_kind:     global_buffer
      - .offset:         120
        .size:           4
        .value_kind:     by_value
      - .offset:         124
        .size:           1
        .value_kind:     by_value
    .group_segment_fixed_size: 4096
    .kernarg_segment_align: 8
    .kernarg_segment_size: 128
    .language:       OpenCL C
    .language_version:
      - 2
      - 0
    .max_flat_workgroup_size: 256
    .name:           _ZN9rocsparseL41csrmvn_lrb_medium_rows_warp_reduce_kernelILj256ELj64Ell21rocsparse_complex_numIdES2_S2_S2_EEvbT1_lPT2_S5_jNS_24const_host_device_scalarIT6_EEPKS3_PKS4_PKT3_PKT4_S8_PT5_21rocsparse_index_base_b
    .private_segment_fixed_size: 0
    .sgpr_count:     20
    .sgpr_spill_count: 0
    .symbol:         _ZN9rocsparseL41csrmvn_lrb_medium_rows_warp_reduce_kernelILj256ELj64Ell21rocsparse_complex_numIdES2_S2_S2_EEvbT1_lPT2_S5_jNS_24const_host_device_scalarIT6_EEPKS3_PKS4_PKT3_PKT4_S8_PT5_21rocsparse_index_base_b.kd
    .uniform_work_group_size: 1
    .uses_dynamic_stack: false
    .vgpr_count:     33
    .vgpr_spill_count: 0
    .wavefront_size: 32
    .workgroup_processor_mode: 1
  - .args:
      - .offset:         0
        .size:           1
        .value_kind:     by_value
      - .offset:         8
        .size:           8
        .value_kind:     by_value
      - .actual_access:  read_only
        .address_space:  global
        .offset:         16
        .size:           8
        .value_kind:     global_buffer
      - .actual_access:  read_only
        .address_space:  global
        .offset:         24
        .size:           8
        .value_kind:     global_buffer
      - .offset:         32
        .size:           4
        .value_kind:     by_value
      - .offset:         40
        .size:           16
        .value_kind:     by_value
      - .actual_access:  read_only
        .address_space:  global
        .offset:         56
        .size:           8
        .value_kind:     global_buffer
      - .actual_access:  read_only
        .address_space:  global
        .offset:         64
        .size:           8
        .value_kind:     global_buffer
      - .actual_access:  read_only
        .address_space:  global
        .offset:         72
        .size:           8
        .value_kind:     global_buffer
      - .actual_access:  read_only
        .address_space:  global
        .offset:         80
        .size:           8
        .value_kind:     global_buffer
      - .offset:         88
        .size:           16
        .value_kind:     by_value
      - .address_space:  global
        .offset:         104
        .size:           8
        .value_kind:     global_buffer
      - .offset:         112
        .size:           4
        .value_kind:     by_value
      - .offset:         116
        .size:           1
        .value_kind:     by_value
    .group_segment_fixed_size: 8192
    .kernarg_segment_align: 8
    .kernarg_segment_size: 120
    .language:       OpenCL C
    .language_version:
      - 2
      - 0
    .max_flat_workgroup_size: 256
    .name:           _ZN9rocsparseL29csrmvn_lrb_medium_rows_kernelILj256Ell21rocsparse_complex_numIdES2_S2_S2_EEvbT0_PT1_S5_jNS_24const_host_device_scalarIT5_EEPKS3_PKS4_PKT2_PKT3_S8_PT4_21rocsparse_index_base_b
    .private_segment_fixed_size: 0
    .sgpr_count:     22
    .sgpr_spill_count: 0
    .symbol:         _ZN9rocsparseL29csrmvn_lrb_medium_rows_kernelILj256Ell21rocsparse_complex_numIdES2_S2_S2_EEvbT0_PT1_S5_jNS_24const_host_device_scalarIT5_EEPKS3_PKS4_PKT2_PKT3_S8_PT4_21rocsparse_index_base_b.kd
    .uniform_work_group_size: 1
    .uses_dynamic_stack: false
    .vgpr_count:     29
    .vgpr_spill_count: 0
    .wavefront_size: 32
    .workgroup_processor_mode: 1
  - .args:
      - .offset:         0
        .size:           1
        .value_kind:     by_value
      - .offset:         8
        .size:           8
        .value_kind:     by_value
      - .address_space:  global
        .offset:         16
        .size:           8
        .value_kind:     global_buffer
      - .actual_access:  read_only
        .address_space:  global
        .offset:         24
        .size:           8
        .value_kind:     global_buffer
      - .actual_access:  read_only
        .address_space:  global
        .offset:         32
        .size:           8
        .value_kind:     global_buffer
      - .offset:         40
        .size:           4
        .value_kind:     by_value
      - .offset:         48
        .size:           16
        .value_kind:     by_value
      - .actual_access:  read_only
        .address_space:  global
        .offset:         64
        .size:           8
        .value_kind:     global_buffer
      - .actual_access:  read_only
        .address_space:  global
        .offset:         72
        .size:           8
        .value_kind:     global_buffer
      - .actual_access:  read_only
        .address_space:  global
        .offset:         80
        .size:           8
        .value_kind:     global_buffer
      - .actual_access:  read_only
        .address_space:  global
        .offset:         88
        .size:           8
        .value_kind:     global_buffer
      - .offset:         96
        .size:           16
        .value_kind:     by_value
      - .address_space:  global
        .offset:         112
        .size:           8
        .value_kind:     global_buffer
      - .offset:         120
        .size:           4
        .value_kind:     by_value
      - .offset:         124
        .size:           1
        .value_kind:     by_value
    .group_segment_fixed_size: 8192
    .kernarg_segment_align: 8
    .kernarg_segment_size: 128
    .language:       OpenCL C
    .language_version:
      - 2
      - 0
    .max_flat_workgroup_size: 256
    .name:           _ZN9rocsparseL27csrmvn_lrb_long_rows_kernelIll21rocsparse_complex_numIdES2_S2_S2_EEvbT_PjPT0_S6_jNS_24const_host_device_scalarIT4_EEPKS3_PKS5_PKT1_PKT2_S9_PT3_21rocsparse_index_base_b
    .private_segment_fixed_size: 0
    .sgpr_count:     30
    .sgpr_spill_count: 0
    .symbol:         _ZN9rocsparseL27csrmvn_lrb_long_rows_kernelIll21rocsparse_complex_numIdES2_S2_S2_EEvbT_PjPT0_S6_jNS_24const_host_device_scalarIT4_EEPKS3_PKS5_PKT1_PKT2_S9_PT3_21rocsparse_index_base_b.kd
    .uniform_work_group_size: 1
    .uses_dynamic_stack: false
    .vgpr_count:     25
    .vgpr_spill_count: 0
    .wavefront_size: 32
    .workgroup_processor_mode: 1
  - .args:
      - .offset:         0
        .size:           1
        .value_kind:     by_value
      - .offset:         4
        .size:           4
        .value_kind:     by_value
      - .actual_access:  read_only
        .address_space:  global
        .offset:         8
        .size:           8
        .value_kind:     global_buffer
      - .actual_access:  read_only
        .address_space:  global
        .offset:         16
        .size:           8
        .value_kind:     global_buffer
      - .offset:         24
        .size:           4
        .value_kind:     by_value
      - .offset:         32
        .size:           8
        .value_kind:     by_value
      - .actual_access:  read_only
        .address_space:  global
        .offset:         40
        .size:           8
        .value_kind:     global_buffer
      - .actual_access:  read_only
        .address_space:  global
        .offset:         48
        .size:           8
        .value_kind:     global_buffer
      - .actual_access:  read_only
        .address_space:  global
        .offset:         56
        .size:           8
        .value_kind:     global_buffer
      - .actual_access:  read_only
        .address_space:  global
        .offset:         64
        .size:           8
        .value_kind:     global_buffer
      - .offset:         72
        .size:           8
        .value_kind:     by_value
      - .address_space:  global
        .offset:         80
        .size:           8
        .value_kind:     global_buffer
      - .offset:         88
        .size:           4
        .value_kind:     by_value
      - .offset:         92
        .size:           1
        .value_kind:     by_value
    .group_segment_fixed_size: 0
    .kernarg_segment_align: 8
    .kernarg_segment_size: 96
    .language:       OpenCL C
    .language_version:
      - 2
      - 0
    .max_flat_workgroup_size: 256
    .name:           _ZN9rocsparseL28csrmvn_lrb_short_rows_kernelIiiaaiiEEvbT_PT0_S3_jNS_24const_host_device_scalarIT4_EEPKS1_PKS2_PKT1_PKT2_S6_PT3_21rocsparse_index_base_b
    .private_segment_fixed_size: 0
    .sgpr_count:     25
    .sgpr_spill_count: 0
    .symbol:         _ZN9rocsparseL28csrmvn_lrb_short_rows_kernelIiiaaiiEEvbT_PT0_S3_jNS_24const_host_device_scalarIT4_EEPKS1_PKS2_PKT1_PKT2_S6_PT3_21rocsparse_index_base_b.kd
    .uniform_work_group_size: 1
    .uses_dynamic_stack: false
    .vgpr_count:     8
    .vgpr_spill_count: 0
    .wavefront_size: 32
    .workgroup_processor_mode: 1
  - .args:
      - .offset:         0
        .size:           1
        .value_kind:     by_value
      - .offset:         4
        .size:           4
        .value_kind:     by_value
      - .actual_access:  read_only
        .address_space:  global
        .offset:         8
        .size:           8
        .value_kind:     global_buffer
      - .actual_access:  read_only
        .address_space:  global
        .offset:         16
        .size:           8
        .value_kind:     global_buffer
      - .offset:         24
        .size:           4
        .value_kind:     by_value
      - .offset:         32
        .size:           8
        .value_kind:     by_value
      - .actual_access:  read_only
        .address_space:  global
        .offset:         40
        .size:           8
        .value_kind:     global_buffer
      - .actual_access:  read_only
        .address_space:  global
        .offset:         48
        .size:           8
        .value_kind:     global_buffer
      - .actual_access:  read_only
        .address_space:  global
        .offset:         56
        .size:           8
        .value_kind:     global_buffer
      - .actual_access:  read_only
        .address_space:  global
        .offset:         64
        .size:           8
        .value_kind:     global_buffer
      - .offset:         72
        .size:           8
        .value_kind:     by_value
      - .address_space:  global
        .offset:         80
        .size:           8
        .value_kind:     global_buffer
      - .offset:         88
        .size:           4
        .value_kind:     by_value
      - .offset:         92
        .size:           1
        .value_kind:     by_value
    .group_segment_fixed_size: 4096
    .kernarg_segment_align: 8
    .kernarg_segment_size: 96
    .language:       OpenCL C
    .language_version:
      - 2
      - 0
    .max_flat_workgroup_size: 256
    .name:           _ZN9rocsparseL30csrmvn_lrb_short_rows_2_kernelIiiaaiiEEvbT_PT0_S3_jNS_24const_host_device_scalarIT4_EEPKS1_PKS2_PKT1_PKT2_S6_PT3_21rocsparse_index_base_b
    .private_segment_fixed_size: 0
    .sgpr_count:     24
    .sgpr_spill_count: 0
    .symbol:         _ZN9rocsparseL30csrmvn_lrb_short_rows_2_kernelIiiaaiiEEvbT_PT0_S3_jNS_24const_host_device_scalarIT4_EEPKS1_PKS2_PKT1_PKT2_S6_PT3_21rocsparse_index_base_b.kd
    .uniform_work_group_size: 1
    .uses_dynamic_stack: false
    .vgpr_count:     8
    .vgpr_spill_count: 0
    .wavefront_size: 32
    .workgroup_processor_mode: 1
  - .args:
      - .offset:         0
        .size:           1
        .value_kind:     by_value
      - .offset:         4
        .size:           4
        .value_kind:     by_value
      - .offset:         8
        .size:           8
        .value_kind:     by_value
      - .actual_access:  read_only
        .address_space:  global
        .offset:         16
        .size:           8
        .value_kind:     global_buffer
      - .actual_access:  read_only
        .address_space:  global
        .offset:         24
        .size:           8
        .value_kind:     global_buffer
      - .offset:         32
        .size:           4
        .value_kind:     by_value
      - .offset:         40
        .size:           8
        .value_kind:     by_value
      - .actual_access:  read_only
        .address_space:  global
        .offset:         48
        .size:           8
        .value_kind:     global_buffer
      - .actual_access:  read_only
        .address_space:  global
        .offset:         56
        .size:           8
        .value_kind:     global_buffer
      - .actual_access:  read_only
        .address_space:  global
        .offset:         64
        .size:           8
        .value_kind:     global_buffer
      - .actual_access:  read_only
        .address_space:  global
        .offset:         72
        .size:           8
        .value_kind:     global_buffer
      - .offset:         80
        .size:           8
        .value_kind:     by_value
      - .address_space:  global
        .offset:         88
        .size:           8
        .value_kind:     global_buffer
      - .offset:         96
        .size:           4
        .value_kind:     by_value
      - .offset:         100
        .size:           1
        .value_kind:     by_value
    .group_segment_fixed_size: 0
    .kernarg_segment_align: 8
    .kernarg_segment_size: 104
    .language:       OpenCL C
    .language_version:
      - 2
      - 0
    .max_flat_workgroup_size: 256
    .name:           _ZN9rocsparseL41csrmvn_lrb_medium_rows_warp_reduce_kernelILj256ELj32EiiaaiiEEvbT1_lPT2_S3_jNS_24const_host_device_scalarIT6_EEPKS1_PKS2_PKT3_PKT4_S6_PT5_21rocsparse_index_base_b
    .private_segment_fixed_size: 0
    .sgpr_count:     18
    .sgpr_spill_count: 0
    .symbol:         _ZN9rocsparseL41csrmvn_lrb_medium_rows_warp_reduce_kernelILj256ELj32EiiaaiiEEvbT1_lPT2_S3_jNS_24const_host_device_scalarIT6_EEPKS1_PKS2_PKT3_PKT4_S6_PT5_21rocsparse_index_base_b.kd
    .uniform_work_group_size: 1
    .uses_dynamic_stack: false
    .vgpr_count:     11
    .vgpr_spill_count: 0
    .wavefront_size: 32
    .workgroup_processor_mode: 1
  - .args:
      - .offset:         0
        .size:           1
        .value_kind:     by_value
      - .offset:         4
        .size:           4
        .value_kind:     by_value
      - .offset:         8
        .size:           8
        .value_kind:     by_value
      - .actual_access:  read_only
        .address_space:  global
        .offset:         16
        .size:           8
        .value_kind:     global_buffer
      - .actual_access:  read_only
        .address_space:  global
        .offset:         24
        .size:           8
        .value_kind:     global_buffer
      - .offset:         32
        .size:           4
        .value_kind:     by_value
      - .offset:         40
        .size:           8
        .value_kind:     by_value
      - .actual_access:  read_only
        .address_space:  global
        .offset:         48
        .size:           8
        .value_kind:     global_buffer
      - .actual_access:  read_only
        .address_space:  global
        .offset:         56
        .size:           8
        .value_kind:     global_buffer
      - .actual_access:  read_only
        .address_space:  global
        .offset:         64
        .size:           8
        .value_kind:     global_buffer
      - .actual_access:  read_only
        .address_space:  global
        .offset:         72
        .size:           8
        .value_kind:     global_buffer
      - .offset:         80
        .size:           8
        .value_kind:     by_value
      - .address_space:  global
        .offset:         88
        .size:           8
        .value_kind:     global_buffer
      - .offset:         96
        .size:           4
        .value_kind:     by_value
      - .offset:         100
        .size:           1
        .value_kind:     by_value
    .group_segment_fixed_size: 0
    .kernarg_segment_align: 8
    .kernarg_segment_size: 104
    .language:       OpenCL C
    .language_version:
      - 2
      - 0
    .max_flat_workgroup_size: 256
    .name:           _ZN9rocsparseL41csrmvn_lrb_medium_rows_warp_reduce_kernelILj256ELj64EiiaaiiEEvbT1_lPT2_S3_jNS_24const_host_device_scalarIT6_EEPKS1_PKS2_PKT3_PKT4_S6_PT5_21rocsparse_index_base_b
    .private_segment_fixed_size: 0
    .sgpr_count:     18
    .sgpr_spill_count: 0
    .symbol:         _ZN9rocsparseL41csrmvn_lrb_medium_rows_warp_reduce_kernelILj256ELj64EiiaaiiEEvbT1_lPT2_S3_jNS_24const_host_device_scalarIT6_EEPKS1_PKS2_PKT3_PKT4_S6_PT5_21rocsparse_index_base_b.kd
    .uniform_work_group_size: 1
    .uses_dynamic_stack: false
    .vgpr_count:     11
    .vgpr_spill_count: 0
    .wavefront_size: 32
    .workgroup_processor_mode: 1
  - .args:
      - .offset:         0
        .size:           1
        .value_kind:     by_value
      - .offset:         4
        .size:           4
        .value_kind:     by_value
      - .actual_access:  read_only
        .address_space:  global
        .offset:         8
        .size:           8
        .value_kind:     global_buffer
      - .actual_access:  read_only
        .address_space:  global
        .offset:         16
        .size:           8
        .value_kind:     global_buffer
      - .offset:         24
        .size:           4
        .value_kind:     by_value
      - .offset:         32
        .size:           8
        .value_kind:     by_value
      - .actual_access:  read_only
        .address_space:  global
        .offset:         40
        .size:           8
        .value_kind:     global_buffer
      - .actual_access:  read_only
        .address_space:  global
        .offset:         48
        .size:           8
        .value_kind:     global_buffer
      - .actual_access:  read_only
        .address_space:  global
        .offset:         56
        .size:           8
        .value_kind:     global_buffer
      - .actual_access:  read_only
        .address_space:  global
        .offset:         64
        .size:           8
        .value_kind:     global_buffer
      - .offset:         72
        .size:           8
        .value_kind:     by_value
      - .address_space:  global
        .offset:         80
        .size:           8
        .value_kind:     global_buffer
      - .offset:         88
        .size:           4
        .value_kind:     by_value
      - .offset:         92
        .size:           1
        .value_kind:     by_value
    .group_segment_fixed_size: 1024
    .kernarg_segment_align: 8
    .kernarg_segment_size: 96
    .language:       OpenCL C
    .language_version:
      - 2
      - 0
    .max_flat_workgroup_size: 256
    .name:           _ZN9rocsparseL29csrmvn_lrb_medium_rows_kernelILj256EiiaaiiEEvbT0_PT1_S3_jNS_24const_host_device_scalarIT5_EEPKS1_PKS2_PKT2_PKT3_S6_PT4_21rocsparse_index_base_b
    .private_segment_fixed_size: 0
    .sgpr_count:     18
    .sgpr_spill_count: 0
    .symbol:         _ZN9rocsparseL29csrmvn_lrb_medium_rows_kernelILj256EiiaaiiEEvbT0_PT1_S3_jNS_24const_host_device_scalarIT5_EEPKS1_PKS2_PKT2_PKT3_S6_PT4_21rocsparse_index_base_b.kd
    .uniform_work_group_size: 1
    .uses_dynamic_stack: false
    .vgpr_count:     8
    .vgpr_spill_count: 0
    .wavefront_size: 32
    .workgroup_processor_mode: 1
  - .args:
      - .offset:         0
        .size:           1
        .value_kind:     by_value
      - .offset:         4
        .size:           4
        .value_kind:     by_value
      - .address_space:  global
        .offset:         8
        .size:           8
        .value_kind:     global_buffer
      - .actual_access:  read_only
        .address_space:  global
        .offset:         16
        .size:           8
        .value_kind:     global_buffer
      - .actual_access:  read_only
        .address_space:  global
        .offset:         24
        .size:           8
        .value_kind:     global_buffer
      - .offset:         32
        .size:           4
        .value_kind:     by_value
      - .offset:         40
        .size:           8
        .value_kind:     by_value
      - .actual_access:  read_only
        .address_space:  global
        .offset:         48
        .size:           8
        .value_kind:     global_buffer
      - .actual_access:  read_only
        .address_space:  global
        .offset:         56
        .size:           8
        .value_kind:     global_buffer
      - .actual_access:  read_only
        .address_space:  global
        .offset:         64
        .size:           8
        .value_kind:     global_buffer
      - .actual_access:  read_only
        .address_space:  global
        .offset:         72
        .size:           8
        .value_kind:     global_buffer
      - .offset:         80
        .size:           8
        .value_kind:     by_value
      - .address_space:  global
        .offset:         88
        .size:           8
        .value_kind:     global_buffer
      - .offset:         96
        .size:           4
        .value_kind:     by_value
      - .offset:         100
        .size:           1
        .value_kind:     by_value
    .group_segment_fixed_size: 1024
    .kernarg_segment_align: 8
    .kernarg_segment_size: 104
    .language:       OpenCL C
    .language_version:
      - 2
      - 0
    .max_flat_workgroup_size: 256
    .name:           _ZN9rocsparseL27csrmvn_lrb_long_rows_kernelIiiaaiiEEvbT_PjPT0_S4_jNS_24const_host_device_scalarIT4_EEPKS1_PKS3_PKT1_PKT2_S7_PT3_21rocsparse_index_base_b
    .private_segment_fixed_size: 0
    .sgpr_count:     26
    .sgpr_spill_count: 0
    .symbol:         _ZN9rocsparseL27csrmvn_lrb_long_rows_kernelIiiaaiiEEvbT_PjPT0_S4_jNS_24const_host_device_scalarIT4_EEPKS1_PKS3_PKT1_PKT2_S7_PT3_21rocsparse_index_base_b.kd
    .uniform_work_group_size: 1
    .uses_dynamic_stack: false
    .vgpr_count:     8
    .vgpr_spill_count: 0
    .wavefront_size: 32
    .workgroup_processor_mode: 1
  - .args:
      - .offset:         0
        .size:           1
        .value_kind:     by_value
      - .offset:         8
        .size:           8
        .value_kind:     by_value
      - .actual_access:  read_only
        .address_space:  global
        .offset:         16
        .size:           8
        .value_kind:     global_buffer
      - .actual_access:  read_only
        .address_space:  global
        .offset:         24
        .size:           8
        .value_kind:     global_buffer
      - .offset:         32
        .size:           4
        .value_kind:     by_value
      - .offset:         40
        .size:           8
        .value_kind:     by_value
      - .actual_access:  read_only
        .address_space:  global
        .offset:         48
        .size:           8
        .value_kind:     global_buffer
      - .actual_access:  read_only
        .address_space:  global
        .offset:         56
        .size:           8
        .value_kind:     global_buffer
      - .actual_access:  read_only
        .address_space:  global
        .offset:         64
        .size:           8
        .value_kind:     global_buffer
      - .actual_access:  read_only
        .address_space:  global
        .offset:         72
        .size:           8
        .value_kind:     global_buffer
      - .offset:         80
        .size:           8
        .value_kind:     by_value
      - .address_space:  global
        .offset:         88
        .size:           8
        .value_kind:     global_buffer
      - .offset:         96
        .size:           4
        .value_kind:     by_value
      - .offset:         100
        .size:           1
        .value_kind:     by_value
    .group_segment_fixed_size: 0
    .kernarg_segment_align: 8
    .kernarg_segment_size: 104
    .language:       OpenCL C
    .language_version:
      - 2
      - 0
    .max_flat_workgroup_size: 256
    .name:           _ZN9rocsparseL28csrmvn_lrb_short_rows_kernelIliaaiiEEvbT_PT0_S3_jNS_24const_host_device_scalarIT4_EEPKS1_PKS2_PKT1_PKT2_S6_PT3_21rocsparse_index_base_b
    .private_segment_fixed_size: 0
    .sgpr_count:     25
    .sgpr_spill_count: 0
    .symbol:         _ZN9rocsparseL28csrmvn_lrb_short_rows_kernelIliaaiiEEvbT_PT0_S3_jNS_24const_host_device_scalarIT4_EEPKS1_PKS2_PKT1_PKT2_S6_PT3_21rocsparse_index_base_b.kd
    .uniform_work_group_size: 1
    .uses_dynamic_stack: false
    .vgpr_count:     10
    .vgpr_spill_count: 0
    .wavefront_size: 32
    .workgroup_processor_mode: 1
  - .args:
      - .offset:         0
        .size:           1
        .value_kind:     by_value
      - .offset:         8
        .size:           8
        .value_kind:     by_value
      - .actual_access:  read_only
        .address_space:  global
        .offset:         16
        .size:           8
        .value_kind:     global_buffer
      - .actual_access:  read_only
        .address_space:  global
        .offset:         24
        .size:           8
        .value_kind:     global_buffer
      - .offset:         32
        .size:           4
        .value_kind:     by_value
      - .offset:         40
        .size:           8
        .value_kind:     by_value
      - .actual_access:  read_only
        .address_space:  global
        .offset:         48
        .size:           8
        .value_kind:     global_buffer
      - .actual_access:  read_only
        .address_space:  global
        .offset:         56
        .size:           8
        .value_kind:     global_buffer
      - .actual_access:  read_only
        .address_space:  global
        .offset:         64
        .size:           8
        .value_kind:     global_buffer
      - .actual_access:  read_only
        .address_space:  global
        .offset:         72
        .size:           8
        .value_kind:     global_buffer
      - .offset:         80
        .size:           8
        .value_kind:     by_value
      - .address_space:  global
        .offset:         88
        .size:           8
        .value_kind:     global_buffer
      - .offset:         96
        .size:           4
        .value_kind:     by_value
      - .offset:         100
        .size:           1
        .value_kind:     by_value
    .group_segment_fixed_size: 4096
    .kernarg_segment_align: 8
    .kernarg_segment_size: 104
    .language:       OpenCL C
    .language_version:
      - 2
      - 0
    .max_flat_workgroup_size: 256
    .name:           _ZN9rocsparseL30csrmvn_lrb_short_rows_2_kernelIliaaiiEEvbT_PT0_S3_jNS_24const_host_device_scalarIT4_EEPKS1_PKS2_PKT1_PKT2_S6_PT3_21rocsparse_index_base_b
    .private_segment_fixed_size: 0
    .sgpr_count:     24
    .sgpr_spill_count: 0
    .symbol:         _ZN9rocsparseL30csrmvn_lrb_short_rows_2_kernelIliaaiiEEvbT_PT0_S3_jNS_24const_host_device_scalarIT4_EEPKS1_PKS2_PKT1_PKT2_S6_PT3_21rocsparse_index_base_b.kd
    .uniform_work_group_size: 1
    .uses_dynamic_stack: false
    .vgpr_count:     9
    .vgpr_spill_count: 0
    .wavefront_size: 32
    .workgroup_processor_mode: 1
  - .args:
      - .offset:         0
        .size:           1
        .value_kind:     by_value
      - .offset:         8
        .size:           8
        .value_kind:     by_value
      - .offset:         16
        .size:           8
        .value_kind:     by_value
      - .actual_access:  read_only
        .address_space:  global
        .offset:         24
        .size:           8
        .value_kind:     global_buffer
      - .actual_access:  read_only
        .address_space:  global
        .offset:         32
        .size:           8
        .value_kind:     global_buffer
      - .offset:         40
        .size:           4
        .value_kind:     by_value
      - .offset:         48
        .size:           8
        .value_kind:     by_value
      - .actual_access:  read_only
        .address_space:  global
        .offset:         56
        .size:           8
        .value_kind:     global_buffer
      - .actual_access:  read_only
        .address_space:  global
        .offset:         64
        .size:           8
        .value_kind:     global_buffer
      - .actual_access:  read_only
        .address_space:  global
        .offset:         72
        .size:           8
        .value_kind:     global_buffer
      - .actual_access:  read_only
        .address_space:  global
        .offset:         80
        .size:           8
        .value_kind:     global_buffer
      - .offset:         88
        .size:           8
        .value_kind:     by_value
      - .address_space:  global
        .offset:         96
        .size:           8
        .value_kind:     global_buffer
      - .offset:         104
        .size:           4
        .value_kind:     by_value
      - .offset:         108
        .size:           1
        .value_kind:     by_value
    .group_segment_fixed_size: 0
    .kernarg_segment_align: 8
    .kernarg_segment_size: 112
    .language:       OpenCL C
    .language_version:
      - 2
      - 0
    .max_flat_workgroup_size: 256
    .name:           _ZN9rocsparseL41csrmvn_lrb_medium_rows_warp_reduce_kernelILj256ELj32EliaaiiEEvbT1_lPT2_S3_jNS_24const_host_device_scalarIT6_EEPKS1_PKS2_PKT3_PKT4_S6_PT5_21rocsparse_index_base_b
    .private_segment_fixed_size: 0
    .sgpr_count:     18
    .sgpr_spill_count: 0
    .symbol:         _ZN9rocsparseL41csrmvn_lrb_medium_rows_warp_reduce_kernelILj256ELj32EliaaiiEEvbT1_lPT2_S3_jNS_24const_host_device_scalarIT6_EEPKS1_PKS2_PKT3_PKT4_S6_PT5_21rocsparse_index_base_b.kd
    .uniform_work_group_size: 1
    .uses_dynamic_stack: false
    .vgpr_count:     15
    .vgpr_spill_count: 0
    .wavefront_size: 32
    .workgroup_processor_mode: 1
  - .args:
      - .offset:         0
        .size:           1
        .value_kind:     by_value
      - .offset:         8
        .size:           8
        .value_kind:     by_value
      - .offset:         16
        .size:           8
        .value_kind:     by_value
      - .actual_access:  read_only
        .address_space:  global
        .offset:         24
        .size:           8
        .value_kind:     global_buffer
      - .actual_access:  read_only
        .address_space:  global
        .offset:         32
        .size:           8
        .value_kind:     global_buffer
      - .offset:         40
        .size:           4
        .value_kind:     by_value
      - .offset:         48
        .size:           8
        .value_kind:     by_value
      - .actual_access:  read_only
        .address_space:  global
        .offset:         56
        .size:           8
        .value_kind:     global_buffer
      - .actual_access:  read_only
        .address_space:  global
        .offset:         64
        .size:           8
        .value_kind:     global_buffer
      - .actual_access:  read_only
        .address_space:  global
        .offset:         72
        .size:           8
        .value_kind:     global_buffer
      - .actual_access:  read_only
        .address_space:  global
        .offset:         80
        .size:           8
        .value_kind:     global_buffer
      - .offset:         88
        .size:           8
        .value_kind:     by_value
      - .address_space:  global
        .offset:         96
        .size:           8
        .value_kind:     global_buffer
      - .offset:         104
        .size:           4
        .value_kind:     by_value
      - .offset:         108
        .size:           1
        .value_kind:     by_value
    .group_segment_fixed_size: 0
    .kernarg_segment_align: 8
    .kernarg_segment_size: 112
    .language:       OpenCL C
    .language_version:
      - 2
      - 0
    .max_flat_workgroup_size: 256
    .name:           _ZN9rocsparseL41csrmvn_lrb_medium_rows_warp_reduce_kernelILj256ELj64EliaaiiEEvbT1_lPT2_S3_jNS_24const_host_device_scalarIT6_EEPKS1_PKS2_PKT3_PKT4_S6_PT5_21rocsparse_index_base_b
    .private_segment_fixed_size: 0
    .sgpr_count:     18
    .sgpr_spill_count: 0
    .symbol:         _ZN9rocsparseL41csrmvn_lrb_medium_rows_warp_reduce_kernelILj256ELj64EliaaiiEEvbT1_lPT2_S3_jNS_24const_host_device_scalarIT6_EEPKS1_PKS2_PKT3_PKT4_S6_PT5_21rocsparse_index_base_b.kd
    .uniform_work_group_size: 1
    .uses_dynamic_stack: false
    .vgpr_count:     15
    .vgpr_spill_count: 0
    .wavefront_size: 32
    .workgroup_processor_mode: 1
  - .args:
      - .offset:         0
        .size:           1
        .value_kind:     by_value
      - .offset:         8
        .size:           8
        .value_kind:     by_value
      - .actual_access:  read_only
        .address_space:  global
        .offset:         16
        .size:           8
        .value_kind:     global_buffer
      - .actual_access:  read_only
        .address_space:  global
        .offset:         24
        .size:           8
        .value_kind:     global_buffer
      - .offset:         32
        .size:           4
        .value_kind:     by_value
      - .offset:         40
        .size:           8
        .value_kind:     by_value
      - .actual_access:  read_only
        .address_space:  global
        .offset:         48
        .size:           8
        .value_kind:     global_buffer
      - .actual_access:  read_only
        .address_space:  global
        .offset:         56
        .size:           8
        .value_kind:     global_buffer
      - .actual_access:  read_only
        .address_space:  global
        .offset:         64
        .size:           8
        .value_kind:     global_buffer
      - .actual_access:  read_only
        .address_space:  global
        .offset:         72
        .size:           8
        .value_kind:     global_buffer
      - .offset:         80
        .size:           8
        .value_kind:     by_value
      - .address_space:  global
        .offset:         88
        .size:           8
        .value_kind:     global_buffer
      - .offset:         96
        .size:           4
        .value_kind:     by_value
      - .offset:         100
        .size:           1
        .value_kind:     by_value
    .group_segment_fixed_size: 1024
    .kernarg_segment_align: 8
    .kernarg_segment_size: 104
    .language:       OpenCL C
    .language_version:
      - 2
      - 0
    .max_flat_workgroup_size: 256
    .name:           _ZN9rocsparseL29csrmvn_lrb_medium_rows_kernelILj256EliaaiiEEvbT0_PT1_S3_jNS_24const_host_device_scalarIT5_EEPKS1_PKS2_PKT2_PKT3_S6_PT4_21rocsparse_index_base_b
    .private_segment_fixed_size: 0
    .sgpr_count:     20
    .sgpr_spill_count: 0
    .symbol:         _ZN9rocsparseL29csrmvn_lrb_medium_rows_kernelILj256EliaaiiEEvbT0_PT1_S3_jNS_24const_host_device_scalarIT5_EEPKS1_PKS2_PKT2_PKT3_S6_PT4_21rocsparse_index_base_b.kd
    .uniform_work_group_size: 1
    .uses_dynamic_stack: false
    .vgpr_count:     11
    .vgpr_spill_count: 0
    .wavefront_size: 32
    .workgroup_processor_mode: 1
  - .args:
      - .offset:         0
        .size:           1
        .value_kind:     by_value
      - .offset:         8
        .size:           8
        .value_kind:     by_value
      - .address_space:  global
        .offset:         16
        .size:           8
        .value_kind:     global_buffer
      - .actual_access:  read_only
        .address_space:  global
        .offset:         24
        .size:           8
        .value_kind:     global_buffer
      - .actual_access:  read_only
        .address_space:  global
        .offset:         32
        .size:           8
        .value_kind:     global_buffer
      - .offset:         40
        .size:           4
        .value_kind:     by_value
      - .offset:         48
        .size:           8
        .value_kind:     by_value
      - .actual_access:  read_only
        .address_space:  global
        .offset:         56
        .size:           8
        .value_kind:     global_buffer
      - .actual_access:  read_only
        .address_space:  global
        .offset:         64
        .size:           8
        .value_kind:     global_buffer
      - .actual_access:  read_only
        .address_space:  global
        .offset:         72
        .size:           8
        .value_kind:     global_buffer
      - .actual_access:  read_only
        .address_space:  global
        .offset:         80
        .size:           8
        .value_kind:     global_buffer
      - .offset:         88
        .size:           8
        .value_kind:     by_value
      - .address_space:  global
        .offset:         96
        .size:           8
        .value_kind:     global_buffer
      - .offset:         104
        .size:           4
        .value_kind:     by_value
      - .offset:         108
        .size:           1
        .value_kind:     by_value
    .group_segment_fixed_size: 1024
    .kernarg_segment_align: 8
    .kernarg_segment_size: 112
    .language:       OpenCL C
    .language_version:
      - 2
      - 0
    .max_flat_workgroup_size: 256
    .name:           _ZN9rocsparseL27csrmvn_lrb_long_rows_kernelIliaaiiEEvbT_PjPT0_S4_jNS_24const_host_device_scalarIT4_EEPKS1_PKS3_PKT1_PKT2_S7_PT3_21rocsparse_index_base_b
    .private_segment_fixed_size: 0
    .sgpr_count:     28
    .sgpr_spill_count: 0
    .symbol:         _ZN9rocsparseL27csrmvn_lrb_long_rows_kernelIliaaiiEEvbT_PjPT0_S4_jNS_24const_host_device_scalarIT4_EEPKS1_PKS3_PKT1_PKT2_S7_PT3_21rocsparse_index_base_b.kd
    .uniform_work_group_size: 1
    .uses_dynamic_stack: false
    .vgpr_count:     11
    .vgpr_spill_count: 0
    .wavefront_size: 32
    .workgroup_processor_mode: 1
  - .args:
      - .offset:         0
        .size:           1
        .value_kind:     by_value
      - .offset:         8
        .size:           8
        .value_kind:     by_value
      - .actual_access:  read_only
        .address_space:  global
        .offset:         16
        .size:           8
        .value_kind:     global_buffer
      - .actual_access:  read_only
        .address_space:  global
        .offset:         24
        .size:           8
        .value_kind:     global_buffer
      - .offset:         32
        .size:           4
        .value_kind:     by_value
      - .offset:         40
        .size:           8
        .value_kind:     by_value
      - .actual_access:  read_only
        .address_space:  global
        .offset:         48
        .size:           8
        .value_kind:     global_buffer
      - .actual_access:  read_only
        .address_space:  global
        .offset:         56
        .size:           8
        .value_kind:     global_buffer
      - .actual_access:  read_only
        .address_space:  global
        .offset:         64
        .size:           8
        .value_kind:     global_buffer
      - .actual_access:  read_only
        .address_space:  global
        .offset:         72
        .size:           8
        .value_kind:     global_buffer
      - .offset:         80
        .size:           8
        .value_kind:     by_value
      - .address_space:  global
        .offset:         88
        .size:           8
        .value_kind:     global_buffer
      - .offset:         96
        .size:           4
        .value_kind:     by_value
      - .offset:         100
        .size:           1
        .value_kind:     by_value
    .group_segment_fixed_size: 0
    .kernarg_segment_align: 8
    .kernarg_segment_size: 104
    .language:       OpenCL C
    .language_version:
      - 2
      - 0
    .max_flat_workgroup_size: 256
    .name:           _ZN9rocsparseL28csrmvn_lrb_short_rows_kernelIllaaiiEEvbT_PT0_S3_jNS_24const_host_device_scalarIT4_EEPKS1_PKS2_PKT1_PKT2_S6_PT3_21rocsparse_index_base_b
    .private_segment_fixed_size: 0
    .sgpr_count:     28
    .sgpr_spill_count: 0
    .symbol:         _ZN9rocsparseL28csrmvn_lrb_short_rows_kernelIllaaiiEEvbT_PT0_S3_jNS_24const_host_device_scalarIT4_EEPKS1_PKS2_PKT1_PKT2_S6_PT3_21rocsparse_index_base_b.kd
    .uniform_work_group_size: 1
    .uses_dynamic_stack: false
    .vgpr_count:     10
    .vgpr_spill_count: 0
    .wavefront_size: 32
    .workgroup_processor_mode: 1
  - .args:
      - .offset:         0
        .size:           1
        .value_kind:     by_value
      - .offset:         8
        .size:           8
        .value_kind:     by_value
      - .actual_access:  read_only
        .address_space:  global
        .offset:         16
        .size:           8
        .value_kind:     global_buffer
      - .actual_access:  read_only
        .address_space:  global
        .offset:         24
        .size:           8
        .value_kind:     global_buffer
      - .offset:         32
        .size:           4
        .value_kind:     by_value
      - .offset:         40
        .size:           8
        .value_kind:     by_value
      - .actual_access:  read_only
        .address_space:  global
        .offset:         48
        .size:           8
        .value_kind:     global_buffer
      - .actual_access:  read_only
        .address_space:  global
        .offset:         56
        .size:           8
        .value_kind:     global_buffer
      - .actual_access:  read_only
        .address_space:  global
        .offset:         64
        .size:           8
        .value_kind:     global_buffer
      - .actual_access:  read_only
        .address_space:  global
        .offset:         72
        .size:           8
        .value_kind:     global_buffer
      - .offset:         80
        .size:           8
        .value_kind:     by_value
      - .address_space:  global
        .offset:         88
        .size:           8
        .value_kind:     global_buffer
      - .offset:         96
        .size:           4
        .value_kind:     by_value
      - .offset:         100
        .size:           1
        .value_kind:     by_value
    .group_segment_fixed_size: 4096
    .kernarg_segment_align: 8
    .kernarg_segment_size: 104
    .language:       OpenCL C
    .language_version:
      - 2
      - 0
    .max_flat_workgroup_size: 256
    .name:           _ZN9rocsparseL30csrmvn_lrb_short_rows_2_kernelIllaaiiEEvbT_PT0_S3_jNS_24const_host_device_scalarIT4_EEPKS1_PKS2_PKT1_PKT2_S6_PT3_21rocsparse_index_base_b
    .private_segment_fixed_size: 0
    .sgpr_count:     26
    .sgpr_spill_count: 0
    .symbol:         _ZN9rocsparseL30csrmvn_lrb_short_rows_2_kernelIllaaiiEEvbT_PT0_S3_jNS_24const_host_device_scalarIT4_EEPKS1_PKS2_PKT1_PKT2_S6_PT3_21rocsparse_index_base_b.kd
    .uniform_work_group_size: 1
    .uses_dynamic_stack: false
    .vgpr_count:     9
    .vgpr_spill_count: 0
    .wavefront_size: 32
    .workgroup_processor_mode: 1
  - .args:
      - .offset:         0
        .size:           1
        .value_kind:     by_value
      - .offset:         8
        .size:           8
        .value_kind:     by_value
      - .offset:         16
        .size:           8
        .value_kind:     by_value
      - .actual_access:  read_only
        .address_space:  global
        .offset:         24
        .size:           8
        .value_kind:     global_buffer
      - .actual_access:  read_only
        .address_space:  global
        .offset:         32
        .size:           8
        .value_kind:     global_buffer
      - .offset:         40
        .size:           4
        .value_kind:     by_value
      - .offset:         48
        .size:           8
        .value_kind:     by_value
      - .actual_access:  read_only
        .address_space:  global
        .offset:         56
        .size:           8
        .value_kind:     global_buffer
      - .actual_access:  read_only
        .address_space:  global
        .offset:         64
        .size:           8
        .value_kind:     global_buffer
      - .actual_access:  read_only
        .address_space:  global
        .offset:         72
        .size:           8
        .value_kind:     global_buffer
      - .actual_access:  read_only
        .address_space:  global
        .offset:         80
        .size:           8
        .value_kind:     global_buffer
      - .offset:         88
        .size:           8
        .value_kind:     by_value
      - .address_space:  global
        .offset:         96
        .size:           8
        .value_kind:     global_buffer
      - .offset:         104
        .size:           4
        .value_kind:     by_value
      - .offset:         108
        .size:           1
        .value_kind:     by_value
    .group_segment_fixed_size: 0
    .kernarg_segment_align: 8
    .kernarg_segment_size: 112
    .language:       OpenCL C
    .language_version:
      - 2
      - 0
    .max_flat_workgroup_size: 256
    .name:           _ZN9rocsparseL41csrmvn_lrb_medium_rows_warp_reduce_kernelILj256ELj32EllaaiiEEvbT1_lPT2_S3_jNS_24const_host_device_scalarIT6_EEPKS1_PKS2_PKT3_PKT4_S6_PT5_21rocsparse_index_base_b
    .private_segment_fixed_size: 0
    .sgpr_count:     18
    .sgpr_spill_count: 0
    .symbol:         _ZN9rocsparseL41csrmvn_lrb_medium_rows_warp_reduce_kernelILj256ELj32EllaaiiEEvbT1_lPT2_S3_jNS_24const_host_device_scalarIT6_EEPKS1_PKS2_PKT3_PKT4_S6_PT5_21rocsparse_index_base_b.kd
    .uniform_work_group_size: 1
    .uses_dynamic_stack: false
    .vgpr_count:     14
    .vgpr_spill_count: 0
    .wavefront_size: 32
    .workgroup_processor_mode: 1
  - .args:
      - .offset:         0
        .size:           1
        .value_kind:     by_value
      - .offset:         8
        .size:           8
        .value_kind:     by_value
      - .offset:         16
        .size:           8
        .value_kind:     by_value
      - .actual_access:  read_only
        .address_space:  global
        .offset:         24
        .size:           8
        .value_kind:     global_buffer
      - .actual_access:  read_only
        .address_space:  global
        .offset:         32
        .size:           8
        .value_kind:     global_buffer
      - .offset:         40
        .size:           4
        .value_kind:     by_value
      - .offset:         48
        .size:           8
        .value_kind:     by_value
      - .actual_access:  read_only
        .address_space:  global
        .offset:         56
        .size:           8
        .value_kind:     global_buffer
      - .actual_access:  read_only
        .address_space:  global
        .offset:         64
        .size:           8
        .value_kind:     global_buffer
      - .actual_access:  read_only
        .address_space:  global
        .offset:         72
        .size:           8
        .value_kind:     global_buffer
      - .actual_access:  read_only
        .address_space:  global
        .offset:         80
        .size:           8
        .value_kind:     global_buffer
      - .offset:         88
        .size:           8
        .value_kind:     by_value
      - .address_space:  global
        .offset:         96
        .size:           8
        .value_kind:     global_buffer
      - .offset:         104
        .size:           4
        .value_kind:     by_value
      - .offset:         108
        .size:           1
        .value_kind:     by_value
    .group_segment_fixed_size: 0
    .kernarg_segment_align: 8
    .kernarg_segment_size: 112
    .language:       OpenCL C
    .language_version:
      - 2
      - 0
    .max_flat_workgroup_size: 256
    .name:           _ZN9rocsparseL41csrmvn_lrb_medium_rows_warp_reduce_kernelILj256ELj64EllaaiiEEvbT1_lPT2_S3_jNS_24const_host_device_scalarIT6_EEPKS1_PKS2_PKT3_PKT4_S6_PT5_21rocsparse_index_base_b
    .private_segment_fixed_size: 0
    .sgpr_count:     18
    .sgpr_spill_count: 0
    .symbol:         _ZN9rocsparseL41csrmvn_lrb_medium_rows_warp_reduce_kernelILj256ELj64EllaaiiEEvbT1_lPT2_S3_jNS_24const_host_device_scalarIT6_EEPKS1_PKS2_PKT3_PKT4_S6_PT5_21rocsparse_index_base_b.kd
    .uniform_work_group_size: 1
    .uses_dynamic_stack: false
    .vgpr_count:     14
    .vgpr_spill_count: 0
    .wavefront_size: 32
    .workgroup_processor_mode: 1
  - .args:
      - .offset:         0
        .size:           1
        .value_kind:     by_value
      - .offset:         8
        .size:           8
        .value_kind:     by_value
      - .actual_access:  read_only
        .address_space:  global
        .offset:         16
        .size:           8
        .value_kind:     global_buffer
      - .actual_access:  read_only
        .address_space:  global
        .offset:         24
        .size:           8
        .value_kind:     global_buffer
      - .offset:         32
        .size:           4
        .value_kind:     by_value
      - .offset:         40
        .size:           8
        .value_kind:     by_value
      - .actual_access:  read_only
        .address_space:  global
        .offset:         48
        .size:           8
        .value_kind:     global_buffer
      - .actual_access:  read_only
        .address_space:  global
        .offset:         56
        .size:           8
        .value_kind:     global_buffer
      - .actual_access:  read_only
        .address_space:  global
        .offset:         64
        .size:           8
        .value_kind:     global_buffer
      - .actual_access:  read_only
        .address_space:  global
        .offset:         72
        .size:           8
        .value_kind:     global_buffer
      - .offset:         80
        .size:           8
        .value_kind:     by_value
      - .address_space:  global
        .offset:         88
        .size:           8
        .value_kind:     global_buffer
      - .offset:         96
        .size:           4
        .value_kind:     by_value
      - .offset:         100
        .size:           1
        .value_kind:     by_value
    .group_segment_fixed_size: 1024
    .kernarg_segment_align: 8
    .kernarg_segment_size: 104
    .language:       OpenCL C
    .language_version:
      - 2
      - 0
    .max_flat_workgroup_size: 256
    .name:           _ZN9rocsparseL29csrmvn_lrb_medium_rows_kernelILj256EllaaiiEEvbT0_PT1_S3_jNS_24const_host_device_scalarIT5_EEPKS1_PKS2_PKT2_PKT3_S6_PT4_21rocsparse_index_base_b
    .private_segment_fixed_size: 0
    .sgpr_count:     20
    .sgpr_spill_count: 0
    .symbol:         _ZN9rocsparseL29csrmvn_lrb_medium_rows_kernelILj256EllaaiiEEvbT0_PT1_S3_jNS_24const_host_device_scalarIT5_EEPKS1_PKS2_PKT2_PKT3_S6_PT4_21rocsparse_index_base_b.kd
    .uniform_work_group_size: 1
    .uses_dynamic_stack: false
    .vgpr_count:     10
    .vgpr_spill_count: 0
    .wavefront_size: 32
    .workgroup_processor_mode: 1
  - .args:
      - .offset:         0
        .size:           1
        .value_kind:     by_value
      - .offset:         8
        .size:           8
        .value_kind:     by_value
      - .address_space:  global
        .offset:         16
        .size:           8
        .value_kind:     global_buffer
      - .actual_access:  read_only
        .address_space:  global
        .offset:         24
        .size:           8
        .value_kind:     global_buffer
      - .actual_access:  read_only
        .address_space:  global
        .offset:         32
        .size:           8
        .value_kind:     global_buffer
      - .offset:         40
        .size:           4
        .value_kind:     by_value
      - .offset:         48
        .size:           8
        .value_kind:     by_value
      - .actual_access:  read_only
        .address_space:  global
        .offset:         56
        .size:           8
        .value_kind:     global_buffer
      - .actual_access:  read_only
        .address_space:  global
        .offset:         64
        .size:           8
        .value_kind:     global_buffer
      - .actual_access:  read_only
        .address_space:  global
        .offset:         72
        .size:           8
        .value_kind:     global_buffer
      - .actual_access:  read_only
        .address_space:  global
        .offset:         80
        .size:           8
        .value_kind:     global_buffer
      - .offset:         88
        .size:           8
        .value_kind:     by_value
      - .address_space:  global
        .offset:         96
        .size:           8
        .value_kind:     global_buffer
      - .offset:         104
        .size:           4
        .value_kind:     by_value
      - .offset:         108
        .size:           1
        .value_kind:     by_value
    .group_segment_fixed_size: 1024
    .kernarg_segment_align: 8
    .kernarg_segment_size: 112
    .language:       OpenCL C
    .language_version:
      - 2
      - 0
    .max_flat_workgroup_size: 256
    .name:           _ZN9rocsparseL27csrmvn_lrb_long_rows_kernelIllaaiiEEvbT_PjPT0_S4_jNS_24const_host_device_scalarIT4_EEPKS1_PKS3_PKT1_PKT2_S7_PT3_21rocsparse_index_base_b
    .private_segment_fixed_size: 0
    .sgpr_count:     28
    .sgpr_spill_count: 0
    .symbol:         _ZN9rocsparseL27csrmvn_lrb_long_rows_kernelIllaaiiEEvbT_PjPT0_S4_jNS_24const_host_device_scalarIT4_EEPKS1_PKS3_PKT1_PKT2_S7_PT3_21rocsparse_index_base_b.kd
    .uniform_work_group_size: 1
    .uses_dynamic_stack: false
    .vgpr_count:     10
    .vgpr_spill_count: 0
    .wavefront_size: 32
    .workgroup_processor_mode: 1
  - .args:
      - .offset:         0
        .size:           1
        .value_kind:     by_value
      - .offset:         4
        .size:           4
        .value_kind:     by_value
      - .actual_access:  read_only
        .address_space:  global
        .offset:         8
        .size:           8
        .value_kind:     global_buffer
      - .actual_access:  read_only
        .address_space:  global
        .offset:         16
        .size:           8
        .value_kind:     global_buffer
      - .offset:         24
        .size:           4
        .value_kind:     by_value
      - .offset:         32
        .size:           8
        .value_kind:     by_value
      - .actual_access:  read_only
        .address_space:  global
        .offset:         40
        .size:           8
        .value_kind:     global_buffer
      - .actual_access:  read_only
        .address_space:  global
        .offset:         48
        .size:           8
        .value_kind:     global_buffer
      - .actual_access:  read_only
        .address_space:  global
        .offset:         56
        .size:           8
        .value_kind:     global_buffer
      - .actual_access:  read_only
        .address_space:  global
        .offset:         64
        .size:           8
        .value_kind:     global_buffer
      - .offset:         72
        .size:           8
        .value_kind:     by_value
      - .address_space:  global
        .offset:         80
        .size:           8
        .value_kind:     global_buffer
      - .offset:         88
        .size:           4
        .value_kind:     by_value
      - .offset:         92
        .size:           1
        .value_kind:     by_value
    .group_segment_fixed_size: 0
    .kernarg_segment_align: 8
    .kernarg_segment_size: 96
    .language:       OpenCL C
    .language_version:
      - 2
      - 0
    .max_flat_workgroup_size: 256
    .name:           _ZN9rocsparseL28csrmvn_lrb_short_rows_kernelIiiaaffEEvbT_PT0_S3_jNS_24const_host_device_scalarIT4_EEPKS1_PKS2_PKT1_PKT2_S6_PT3_21rocsparse_index_base_b
    .private_segment_fixed_size: 0
    .sgpr_count:     26
    .sgpr_spill_count: 0
    .symbol:         _ZN9rocsparseL28csrmvn_lrb_short_rows_kernelIiiaaffEEvbT_PT0_S3_jNS_24const_host_device_scalarIT4_EEPKS1_PKS2_PKT1_PKT2_S6_PT3_21rocsparse_index_base_b.kd
    .uniform_work_group_size: 1
    .uses_dynamic_stack: false
    .vgpr_count:     8
    .vgpr_spill_count: 0
    .wavefront_size: 32
    .workgroup_processor_mode: 1
  - .args:
      - .offset:         0
        .size:           1
        .value_kind:     by_value
      - .offset:         4
        .size:           4
        .value_kind:     by_value
      - .actual_access:  read_only
        .address_space:  global
        .offset:         8
        .size:           8
        .value_kind:     global_buffer
      - .actual_access:  read_only
        .address_space:  global
        .offset:         16
        .size:           8
        .value_kind:     global_buffer
      - .offset:         24
        .size:           4
        .value_kind:     by_value
      - .offset:         32
        .size:           8
        .value_kind:     by_value
      - .actual_access:  read_only
        .address_space:  global
        .offset:         40
        .size:           8
        .value_kind:     global_buffer
      - .actual_access:  read_only
        .address_space:  global
        .offset:         48
        .size:           8
        .value_kind:     global_buffer
      - .actual_access:  read_only
        .address_space:  global
        .offset:         56
        .size:           8
        .value_kind:     global_buffer
      - .actual_access:  read_only
        .address_space:  global
        .offset:         64
        .size:           8
        .value_kind:     global_buffer
      - .offset:         72
        .size:           8
        .value_kind:     by_value
      - .address_space:  global
        .offset:         80
        .size:           8
        .value_kind:     global_buffer
      - .offset:         88
        .size:           4
        .value_kind:     by_value
      - .offset:         92
        .size:           1
        .value_kind:     by_value
    .group_segment_fixed_size: 4096
    .kernarg_segment_align: 8
    .kernarg_segment_size: 96
    .language:       OpenCL C
    .language_version:
      - 2
      - 0
    .max_flat_workgroup_size: 256
    .name:           _ZN9rocsparseL30csrmvn_lrb_short_rows_2_kernelIiiaaffEEvbT_PT0_S3_jNS_24const_host_device_scalarIT4_EEPKS1_PKS2_PKT1_PKT2_S6_PT3_21rocsparse_index_base_b
    .private_segment_fixed_size: 0
    .sgpr_count:     24
    .sgpr_spill_count: 0
    .symbol:         _ZN9rocsparseL30csrmvn_lrb_short_rows_2_kernelIiiaaffEEvbT_PT0_S3_jNS_24const_host_device_scalarIT4_EEPKS1_PKS2_PKT1_PKT2_S6_PT3_21rocsparse_index_base_b.kd
    .uniform_work_group_size: 1
    .uses_dynamic_stack: false
    .vgpr_count:     7
    .vgpr_spill_count: 0
    .wavefront_size: 32
    .workgroup_processor_mode: 1
  - .args:
      - .offset:         0
        .size:           1
        .value_kind:     by_value
      - .offset:         4
        .size:           4
        .value_kind:     by_value
      - .offset:         8
        .size:           8
        .value_kind:     by_value
      - .actual_access:  read_only
        .address_space:  global
        .offset:         16
        .size:           8
        .value_kind:     global_buffer
      - .actual_access:  read_only
        .address_space:  global
        .offset:         24
        .size:           8
        .value_kind:     global_buffer
      - .offset:         32
        .size:           4
        .value_kind:     by_value
      - .offset:         40
        .size:           8
        .value_kind:     by_value
      - .actual_access:  read_only
        .address_space:  global
        .offset:         48
        .size:           8
        .value_kind:     global_buffer
      - .actual_access:  read_only
        .address_space:  global
        .offset:         56
        .size:           8
        .value_kind:     global_buffer
      - .actual_access:  read_only
        .address_space:  global
        .offset:         64
        .size:           8
        .value_kind:     global_buffer
      - .actual_access:  read_only
        .address_space:  global
        .offset:         72
        .size:           8
        .value_kind:     global_buffer
      - .offset:         80
        .size:           8
        .value_kind:     by_value
      - .address_space:  global
        .offset:         88
        .size:           8
        .value_kind:     global_buffer
      - .offset:         96
        .size:           4
        .value_kind:     by_value
      - .offset:         100
        .size:           1
        .value_kind:     by_value
    .group_segment_fixed_size: 0
    .kernarg_segment_align: 8
    .kernarg_segment_size: 104
    .language:       OpenCL C
    .language_version:
      - 2
      - 0
    .max_flat_workgroup_size: 256
    .name:           _ZN9rocsparseL41csrmvn_lrb_medium_rows_warp_reduce_kernelILj256ELj32EiiaaffEEvbT1_lPT2_S3_jNS_24const_host_device_scalarIT6_EEPKS1_PKS2_PKT3_PKT4_S6_PT5_21rocsparse_index_base_b
    .private_segment_fixed_size: 0
    .sgpr_count:     18
    .sgpr_spill_count: 0
    .symbol:         _ZN9rocsparseL41csrmvn_lrb_medium_rows_warp_reduce_kernelILj256ELj32EiiaaffEEvbT1_lPT2_S3_jNS_24const_host_device_scalarIT6_EEPKS1_PKS2_PKT3_PKT4_S6_PT5_21rocsparse_index_base_b.kd
    .uniform_work_group_size: 1
    .uses_dynamic_stack: false
    .vgpr_count:     11
    .vgpr_spill_count: 0
    .wavefront_size: 32
    .workgroup_processor_mode: 1
  - .args:
      - .offset:         0
        .size:           1
        .value_kind:     by_value
      - .offset:         4
        .size:           4
        .value_kind:     by_value
      - .offset:         8
        .size:           8
        .value_kind:     by_value
      - .actual_access:  read_only
        .address_space:  global
        .offset:         16
        .size:           8
        .value_kind:     global_buffer
      - .actual_access:  read_only
        .address_space:  global
        .offset:         24
        .size:           8
        .value_kind:     global_buffer
      - .offset:         32
        .size:           4
        .value_kind:     by_value
      - .offset:         40
        .size:           8
        .value_kind:     by_value
      - .actual_access:  read_only
        .address_space:  global
        .offset:         48
        .size:           8
        .value_kind:     global_buffer
      - .actual_access:  read_only
        .address_space:  global
        .offset:         56
        .size:           8
        .value_kind:     global_buffer
      - .actual_access:  read_only
        .address_space:  global
        .offset:         64
        .size:           8
        .value_kind:     global_buffer
      - .actual_access:  read_only
        .address_space:  global
        .offset:         72
        .size:           8
        .value_kind:     global_buffer
      - .offset:         80
        .size:           8
        .value_kind:     by_value
      - .address_space:  global
        .offset:         88
        .size:           8
        .value_kind:     global_buffer
      - .offset:         96
        .size:           4
        .value_kind:     by_value
      - .offset:         100
        .size:           1
        .value_kind:     by_value
    .group_segment_fixed_size: 0
    .kernarg_segment_align: 8
    .kernarg_segment_size: 104
    .language:       OpenCL C
    .language_version:
      - 2
      - 0
    .max_flat_workgroup_size: 256
    .name:           _ZN9rocsparseL41csrmvn_lrb_medium_rows_warp_reduce_kernelILj256ELj64EiiaaffEEvbT1_lPT2_S3_jNS_24const_host_device_scalarIT6_EEPKS1_PKS2_PKT3_PKT4_S6_PT5_21rocsparse_index_base_b
    .private_segment_fixed_size: 0
    .sgpr_count:     18
    .sgpr_spill_count: 0
    .symbol:         _ZN9rocsparseL41csrmvn_lrb_medium_rows_warp_reduce_kernelILj256ELj64EiiaaffEEvbT1_lPT2_S3_jNS_24const_host_device_scalarIT6_EEPKS1_PKS2_PKT3_PKT4_S6_PT5_21rocsparse_index_base_b.kd
    .uniform_work_group_size: 1
    .uses_dynamic_stack: false
    .vgpr_count:     11
    .vgpr_spill_count: 0
    .wavefront_size: 32
    .workgroup_processor_mode: 1
  - .args:
      - .offset:         0
        .size:           1
        .value_kind:     by_value
      - .offset:         4
        .size:           4
        .value_kind:     by_value
      - .actual_access:  read_only
        .address_space:  global
        .offset:         8
        .size:           8
        .value_kind:     global_buffer
      - .actual_access:  read_only
        .address_space:  global
        .offset:         16
        .size:           8
        .value_kind:     global_buffer
      - .offset:         24
        .size:           4
        .value_kind:     by_value
      - .offset:         32
        .size:           8
        .value_kind:     by_value
      - .actual_access:  read_only
        .address_space:  global
        .offset:         40
        .size:           8
        .value_kind:     global_buffer
      - .actual_access:  read_only
        .address_space:  global
        .offset:         48
        .size:           8
        .value_kind:     global_buffer
      - .actual_access:  read_only
        .address_space:  global
        .offset:         56
        .size:           8
        .value_kind:     global_buffer
      - .actual_access:  read_only
        .address_space:  global
        .offset:         64
        .size:           8
        .value_kind:     global_buffer
      - .offset:         72
        .size:           8
        .value_kind:     by_value
      - .address_space:  global
        .offset:         80
        .size:           8
        .value_kind:     global_buffer
      - .offset:         88
        .size:           4
        .value_kind:     by_value
      - .offset:         92
        .size:           1
        .value_kind:     by_value
    .group_segment_fixed_size: 1024
    .kernarg_segment_align: 8
    .kernarg_segment_size: 96
    .language:       OpenCL C
    .language_version:
      - 2
      - 0
    .max_flat_workgroup_size: 256
    .name:           _ZN9rocsparseL29csrmvn_lrb_medium_rows_kernelILj256EiiaaffEEvbT0_PT1_S3_jNS_24const_host_device_scalarIT5_EEPKS1_PKS2_PKT2_PKT3_S6_PT4_21rocsparse_index_base_b
    .private_segment_fixed_size: 0
    .sgpr_count:     20
    .sgpr_spill_count: 0
    .symbol:         _ZN9rocsparseL29csrmvn_lrb_medium_rows_kernelILj256EiiaaffEEvbT0_PT1_S3_jNS_24const_host_device_scalarIT5_EEPKS1_PKS2_PKT2_PKT3_S6_PT4_21rocsparse_index_base_b.kd
    .uniform_work_group_size: 1
    .uses_dynamic_stack: false
    .vgpr_count:     8
    .vgpr_spill_count: 0
    .wavefront_size: 32
    .workgroup_processor_mode: 1
  - .args:
      - .offset:         0
        .size:           1
        .value_kind:     by_value
      - .offset:         4
        .size:           4
        .value_kind:     by_value
      - .address_space:  global
        .offset:         8
        .size:           8
        .value_kind:     global_buffer
      - .actual_access:  read_only
        .address_space:  global
        .offset:         16
        .size:           8
        .value_kind:     global_buffer
      - .actual_access:  read_only
        .address_space:  global
        .offset:         24
        .size:           8
        .value_kind:     global_buffer
      - .offset:         32
        .size:           4
        .value_kind:     by_value
      - .offset:         40
        .size:           8
        .value_kind:     by_value
      - .actual_access:  read_only
        .address_space:  global
        .offset:         48
        .size:           8
        .value_kind:     global_buffer
      - .actual_access:  read_only
        .address_space:  global
        .offset:         56
        .size:           8
        .value_kind:     global_buffer
      - .actual_access:  read_only
        .address_space:  global
        .offset:         64
        .size:           8
        .value_kind:     global_buffer
      - .actual_access:  read_only
        .address_space:  global
        .offset:         72
        .size:           8
        .value_kind:     global_buffer
      - .offset:         80
        .size:           8
        .value_kind:     by_value
      - .address_space:  global
        .offset:         88
        .size:           8
        .value_kind:     global_buffer
      - .offset:         96
        .size:           4
        .value_kind:     by_value
      - .offset:         100
        .size:           1
        .value_kind:     by_value
    .group_segment_fixed_size: 1024
    .kernarg_segment_align: 8
    .kernarg_segment_size: 104
    .language:       OpenCL C
    .language_version:
      - 2
      - 0
    .max_flat_workgroup_size: 256
    .name:           _ZN9rocsparseL27csrmvn_lrb_long_rows_kernelIiiaaffEEvbT_PjPT0_S4_jNS_24const_host_device_scalarIT4_EEPKS1_PKS3_PKT1_PKT2_S7_PT3_21rocsparse_index_base_b
    .private_segment_fixed_size: 0
    .sgpr_count:     26
    .sgpr_spill_count: 0
    .symbol:         _ZN9rocsparseL27csrmvn_lrb_long_rows_kernelIiiaaffEEvbT_PjPT0_S4_jNS_24const_host_device_scalarIT4_EEPKS1_PKS3_PKT1_PKT2_S7_PT3_21rocsparse_index_base_b.kd
    .uniform_work_group_size: 1
    .uses_dynamic_stack: false
    .vgpr_count:     8
    .vgpr_spill_count: 0
    .wavefront_size: 32
    .workgroup_processor_mode: 1
  - .args:
      - .offset:         0
        .size:           1
        .value_kind:     by_value
      - .offset:         8
        .size:           8
        .value_kind:     by_value
      - .actual_access:  read_only
        .address_space:  global
        .offset:         16
        .size:           8
        .value_kind:     global_buffer
      - .actual_access:  read_only
        .address_space:  global
        .offset:         24
        .size:           8
        .value_kind:     global_buffer
      - .offset:         32
        .size:           4
        .value_kind:     by_value
      - .offset:         40
        .size:           8
        .value_kind:     by_value
      - .actual_access:  read_only
        .address_space:  global
        .offset:         48
        .size:           8
        .value_kind:     global_buffer
      - .actual_access:  read_only
        .address_space:  global
        .offset:         56
        .size:           8
        .value_kind:     global_buffer
      - .actual_access:  read_only
        .address_space:  global
        .offset:         64
        .size:           8
        .value_kind:     global_buffer
      - .actual_access:  read_only
        .address_space:  global
        .offset:         72
        .size:           8
        .value_kind:     global_buffer
      - .offset:         80
        .size:           8
        .value_kind:     by_value
      - .address_space:  global
        .offset:         88
        .size:           8
        .value_kind:     global_buffer
      - .offset:         96
        .size:           4
        .value_kind:     by_value
      - .offset:         100
        .size:           1
        .value_kind:     by_value
    .group_segment_fixed_size: 0
    .kernarg_segment_align: 8
    .kernarg_segment_size: 104
    .language:       OpenCL C
    .language_version:
      - 2
      - 0
    .max_flat_workgroup_size: 256
    .name:           _ZN9rocsparseL28csrmvn_lrb_short_rows_kernelIliaaffEEvbT_PT0_S3_jNS_24const_host_device_scalarIT4_EEPKS1_PKS2_PKT1_PKT2_S6_PT3_21rocsparse_index_base_b
    .private_segment_fixed_size: 0
    .sgpr_count:     26
    .sgpr_spill_count: 0
    .symbol:         _ZN9rocsparseL28csrmvn_lrb_short_rows_kernelIliaaffEEvbT_PT0_S3_jNS_24const_host_device_scalarIT4_EEPKS1_PKS2_PKT1_PKT2_S6_PT3_21rocsparse_index_base_b.kd
    .uniform_work_group_size: 1
    .uses_dynamic_stack: false
    .vgpr_count:     10
    .vgpr_spill_count: 0
    .wavefront_size: 32
    .workgroup_processor_mode: 1
  - .args:
      - .offset:         0
        .size:           1
        .value_kind:     by_value
      - .offset:         8
        .size:           8
        .value_kind:     by_value
      - .actual_access:  read_only
        .address_space:  global
        .offset:         16
        .size:           8
        .value_kind:     global_buffer
      - .actual_access:  read_only
        .address_space:  global
        .offset:         24
        .size:           8
        .value_kind:     global_buffer
      - .offset:         32
        .size:           4
        .value_kind:     by_value
      - .offset:         40
        .size:           8
        .value_kind:     by_value
      - .actual_access:  read_only
        .address_space:  global
        .offset:         48
        .size:           8
        .value_kind:     global_buffer
      - .actual_access:  read_only
        .address_space:  global
        .offset:         56
        .size:           8
        .value_kind:     global_buffer
      - .actual_access:  read_only
        .address_space:  global
        .offset:         64
        .size:           8
        .value_kind:     global_buffer
      - .actual_access:  read_only
        .address_space:  global
        .offset:         72
        .size:           8
        .value_kind:     global_buffer
      - .offset:         80
        .size:           8
        .value_kind:     by_value
      - .address_space:  global
        .offset:         88
        .size:           8
        .value_kind:     global_buffer
      - .offset:         96
        .size:           4
        .value_kind:     by_value
      - .offset:         100
        .size:           1
        .value_kind:     by_value
    .group_segment_fixed_size: 4096
    .kernarg_segment_align: 8
    .kernarg_segment_size: 104
    .language:       OpenCL C
    .language_version:
      - 2
      - 0
    .max_flat_workgroup_size: 256
    .name:           _ZN9rocsparseL30csrmvn_lrb_short_rows_2_kernelIliaaffEEvbT_PT0_S3_jNS_24const_host_device_scalarIT4_EEPKS1_PKS2_PKT1_PKT2_S6_PT3_21rocsparse_index_base_b
    .private_segment_fixed_size: 0
    .sgpr_count:     24
    .sgpr_spill_count: 0
    .symbol:         _ZN9rocsparseL30csrmvn_lrb_short_rows_2_kernelIliaaffEEvbT_PT0_S3_jNS_24const_host_device_scalarIT4_EEPKS1_PKS2_PKT1_PKT2_S6_PT3_21rocsparse_index_base_b.kd
    .uniform_work_group_size: 1
    .uses_dynamic_stack: false
    .vgpr_count:     9
    .vgpr_spill_count: 0
    .wavefront_size: 32
    .workgroup_processor_mode: 1
  - .args:
      - .offset:         0
        .size:           1
        .value_kind:     by_value
      - .offset:         8
        .size:           8
        .value_kind:     by_value
      - .offset:         16
        .size:           8
        .value_kind:     by_value
      - .actual_access:  read_only
        .address_space:  global
        .offset:         24
        .size:           8
        .value_kind:     global_buffer
      - .actual_access:  read_only
        .address_space:  global
        .offset:         32
        .size:           8
        .value_kind:     global_buffer
      - .offset:         40
        .size:           4
        .value_kind:     by_value
      - .offset:         48
        .size:           8
        .value_kind:     by_value
      - .actual_access:  read_only
        .address_space:  global
        .offset:         56
        .size:           8
        .value_kind:     global_buffer
      - .actual_access:  read_only
        .address_space:  global
        .offset:         64
        .size:           8
        .value_kind:     global_buffer
      - .actual_access:  read_only
        .address_space:  global
        .offset:         72
        .size:           8
        .value_kind:     global_buffer
      - .actual_access:  read_only
        .address_space:  global
        .offset:         80
        .size:           8
        .value_kind:     global_buffer
      - .offset:         88
        .size:           8
        .value_kind:     by_value
      - .address_space:  global
        .offset:         96
        .size:           8
        .value_kind:     global_buffer
      - .offset:         104
        .size:           4
        .value_kind:     by_value
      - .offset:         108
        .size:           1
        .value_kind:     by_value
    .group_segment_fixed_size: 0
    .kernarg_segment_align: 8
    .kernarg_segment_size: 112
    .language:       OpenCL C
    .language_version:
      - 2
      - 0
    .max_flat_workgroup_size: 256
    .name:           _ZN9rocsparseL41csrmvn_lrb_medium_rows_warp_reduce_kernelILj256ELj32EliaaffEEvbT1_lPT2_S3_jNS_24const_host_device_scalarIT6_EEPKS1_PKS2_PKT3_PKT4_S6_PT5_21rocsparse_index_base_b
    .private_segment_fixed_size: 0
    .sgpr_count:     20
    .sgpr_spill_count: 0
    .symbol:         _ZN9rocsparseL41csrmvn_lrb_medium_rows_warp_reduce_kernelILj256ELj32EliaaffEEvbT1_lPT2_S3_jNS_24const_host_device_scalarIT6_EEPKS1_PKS2_PKT3_PKT4_S6_PT5_21rocsparse_index_base_b.kd
    .uniform_work_group_size: 1
    .uses_dynamic_stack: false
    .vgpr_count:     15
    .vgpr_spill_count: 0
    .wavefront_size: 32
    .workgroup_processor_mode: 1
  - .args:
      - .offset:         0
        .size:           1
        .value_kind:     by_value
      - .offset:         8
        .size:           8
        .value_kind:     by_value
      - .offset:         16
        .size:           8
        .value_kind:     by_value
      - .actual_access:  read_only
        .address_space:  global
        .offset:         24
        .size:           8
        .value_kind:     global_buffer
      - .actual_access:  read_only
        .address_space:  global
        .offset:         32
        .size:           8
        .value_kind:     global_buffer
      - .offset:         40
        .size:           4
        .value_kind:     by_value
      - .offset:         48
        .size:           8
        .value_kind:     by_value
      - .actual_access:  read_only
        .address_space:  global
        .offset:         56
        .size:           8
        .value_kind:     global_buffer
      - .actual_access:  read_only
        .address_space:  global
        .offset:         64
        .size:           8
        .value_kind:     global_buffer
      - .actual_access:  read_only
        .address_space:  global
        .offset:         72
        .size:           8
        .value_kind:     global_buffer
      - .actual_access:  read_only
        .address_space:  global
        .offset:         80
        .size:           8
        .value_kind:     global_buffer
      - .offset:         88
        .size:           8
        .value_kind:     by_value
      - .address_space:  global
        .offset:         96
        .size:           8
        .value_kind:     global_buffer
      - .offset:         104
        .size:           4
        .value_kind:     by_value
      - .offset:         108
        .size:           1
        .value_kind:     by_value
    .group_segment_fixed_size: 0
    .kernarg_segment_align: 8
    .kernarg_segment_size: 112
    .language:       OpenCL C
    .language_version:
      - 2
      - 0
    .max_flat_workgroup_size: 256
    .name:           _ZN9rocsparseL41csrmvn_lrb_medium_rows_warp_reduce_kernelILj256ELj64EliaaffEEvbT1_lPT2_S3_jNS_24const_host_device_scalarIT6_EEPKS1_PKS2_PKT3_PKT4_S6_PT5_21rocsparse_index_base_b
    .private_segment_fixed_size: 0
    .sgpr_count:     20
    .sgpr_spill_count: 0
    .symbol:         _ZN9rocsparseL41csrmvn_lrb_medium_rows_warp_reduce_kernelILj256ELj64EliaaffEEvbT1_lPT2_S3_jNS_24const_host_device_scalarIT6_EEPKS1_PKS2_PKT3_PKT4_S6_PT5_21rocsparse_index_base_b.kd
    .uniform_work_group_size: 1
    .uses_dynamic_stack: false
    .vgpr_count:     15
    .vgpr_spill_count: 0
    .wavefront_size: 32
    .workgroup_processor_mode: 1
  - .args:
      - .offset:         0
        .size:           1
        .value_kind:     by_value
      - .offset:         8
        .size:           8
        .value_kind:     by_value
      - .actual_access:  read_only
        .address_space:  global
        .offset:         16
        .size:           8
        .value_kind:     global_buffer
      - .actual_access:  read_only
        .address_space:  global
        .offset:         24
        .size:           8
        .value_kind:     global_buffer
      - .offset:         32
        .size:           4
        .value_kind:     by_value
      - .offset:         40
        .size:           8
        .value_kind:     by_value
      - .actual_access:  read_only
        .address_space:  global
        .offset:         48
        .size:           8
        .value_kind:     global_buffer
      - .actual_access:  read_only
        .address_space:  global
        .offset:         56
        .size:           8
        .value_kind:     global_buffer
      - .actual_access:  read_only
        .address_space:  global
        .offset:         64
        .size:           8
        .value_kind:     global_buffer
      - .actual_access:  read_only
        .address_space:  global
        .offset:         72
        .size:           8
        .value_kind:     global_buffer
      - .offset:         80
        .size:           8
        .value_kind:     by_value
      - .address_space:  global
        .offset:         88
        .size:           8
        .value_kind:     global_buffer
      - .offset:         96
        .size:           4
        .value_kind:     by_value
      - .offset:         100
        .size:           1
        .value_kind:     by_value
    .group_segment_fixed_size: 1024
    .kernarg_segment_align: 8
    .kernarg_segment_size: 104
    .language:       OpenCL C
    .language_version:
      - 2
      - 0
    .max_flat_workgroup_size: 256
    .name:           _ZN9rocsparseL29csrmvn_lrb_medium_rows_kernelILj256EliaaffEEvbT0_PT1_S3_jNS_24const_host_device_scalarIT5_EEPKS1_PKS2_PKT2_PKT3_S6_PT4_21rocsparse_index_base_b
    .private_segment_fixed_size: 0
    .sgpr_count:     22
    .sgpr_spill_count: 0
    .symbol:         _ZN9rocsparseL29csrmvn_lrb_medium_rows_kernelILj256EliaaffEEvbT0_PT1_S3_jNS_24const_host_device_scalarIT5_EEPKS1_PKS2_PKT2_PKT3_S6_PT4_21rocsparse_index_base_b.kd
    .uniform_work_group_size: 1
    .uses_dynamic_stack: false
    .vgpr_count:     11
    .vgpr_spill_count: 0
    .wavefront_size: 32
    .workgroup_processor_mode: 1
  - .args:
      - .offset:         0
        .size:           1
        .value_kind:     by_value
      - .offset:         8
        .size:           8
        .value_kind:     by_value
      - .address_space:  global
        .offset:         16
        .size:           8
        .value_kind:     global_buffer
      - .actual_access:  read_only
        .address_space:  global
        .offset:         24
        .size:           8
        .value_kind:     global_buffer
      - .actual_access:  read_only
        .address_space:  global
        .offset:         32
        .size:           8
        .value_kind:     global_buffer
      - .offset:         40
        .size:           4
        .value_kind:     by_value
      - .offset:         48
        .size:           8
        .value_kind:     by_value
      - .actual_access:  read_only
        .address_space:  global
        .offset:         56
        .size:           8
        .value_kind:     global_buffer
      - .actual_access:  read_only
        .address_space:  global
        .offset:         64
        .size:           8
        .value_kind:     global_buffer
      - .actual_access:  read_only
        .address_space:  global
        .offset:         72
        .size:           8
        .value_kind:     global_buffer
      - .actual_access:  read_only
        .address_space:  global
        .offset:         80
        .size:           8
        .value_kind:     global_buffer
      - .offset:         88
        .size:           8
        .value_kind:     by_value
      - .address_space:  global
        .offset:         96
        .size:           8
        .value_kind:     global_buffer
      - .offset:         104
        .size:           4
        .value_kind:     by_value
      - .offset:         108
        .size:           1
        .value_kind:     by_value
    .group_segment_fixed_size: 1024
    .kernarg_segment_align: 8
    .kernarg_segment_size: 112
    .language:       OpenCL C
    .language_version:
      - 2
      - 0
    .max_flat_workgroup_size: 256
    .name:           _ZN9rocsparseL27csrmvn_lrb_long_rows_kernelIliaaffEEvbT_PjPT0_S4_jNS_24const_host_device_scalarIT4_EEPKS1_PKS3_PKT1_PKT2_S7_PT3_21rocsparse_index_base_b
    .private_segment_fixed_size: 0
    .sgpr_count:     28
    .sgpr_spill_count: 0
    .symbol:         _ZN9rocsparseL27csrmvn_lrb_long_rows_kernelIliaaffEEvbT_PjPT0_S4_jNS_24const_host_device_scalarIT4_EEPKS1_PKS3_PKT1_PKT2_S7_PT3_21rocsparse_index_base_b.kd
    .uniform_work_group_size: 1
    .uses_dynamic_stack: false
    .vgpr_count:     11
    .vgpr_spill_count: 0
    .wavefront_size: 32
    .workgroup_processor_mode: 1
  - .args:
      - .offset:         0
        .size:           1
        .value_kind:     by_value
      - .offset:         8
        .size:           8
        .value_kind:     by_value
      - .actual_access:  read_only
        .address_space:  global
        .offset:         16
        .size:           8
        .value_kind:     global_buffer
      - .actual_access:  read_only
        .address_space:  global
        .offset:         24
        .size:           8
        .value_kind:     global_buffer
      - .offset:         32
        .size:           4
        .value_kind:     by_value
      - .offset:         40
        .size:           8
        .value_kind:     by_value
      - .actual_access:  read_only
        .address_space:  global
        .offset:         48
        .size:           8
        .value_kind:     global_buffer
      - .actual_access:  read_only
        .address_space:  global
        .offset:         56
        .size:           8
        .value_kind:     global_buffer
      - .actual_access:  read_only
        .address_space:  global
        .offset:         64
        .size:           8
        .value_kind:     global_buffer
      - .actual_access:  read_only
        .address_space:  global
        .offset:         72
        .size:           8
        .value_kind:     global_buffer
      - .offset:         80
        .size:           8
        .value_kind:     by_value
      - .address_space:  global
        .offset:         88
        .size:           8
        .value_kind:     global_buffer
      - .offset:         96
        .size:           4
        .value_kind:     by_value
      - .offset:         100
        .size:           1
        .value_kind:     by_value
    .group_segment_fixed_size: 0
    .kernarg_segment_align: 8
    .kernarg_segment_size: 104
    .language:       OpenCL C
    .language_version:
      - 2
      - 0
    .max_flat_workgroup_size: 256
    .name:           _ZN9rocsparseL28csrmvn_lrb_short_rows_kernelIllaaffEEvbT_PT0_S3_jNS_24const_host_device_scalarIT4_EEPKS1_PKS2_PKT1_PKT2_S6_PT3_21rocsparse_index_base_b
    .private_segment_fixed_size: 0
    .sgpr_count:     28
    .sgpr_spill_count: 0
    .symbol:         _ZN9rocsparseL28csrmvn_lrb_short_rows_kernelIllaaffEEvbT_PT0_S3_jNS_24const_host_device_scalarIT4_EEPKS1_PKS2_PKT1_PKT2_S6_PT3_21rocsparse_index_base_b.kd
    .uniform_work_group_size: 1
    .uses_dynamic_stack: false
    .vgpr_count:     10
    .vgpr_spill_count: 0
    .wavefront_size: 32
    .workgroup_processor_mode: 1
  - .args:
      - .offset:         0
        .size:           1
        .value_kind:     by_value
      - .offset:         8
        .size:           8
        .value_kind:     by_value
      - .actual_access:  read_only
        .address_space:  global
        .offset:         16
        .size:           8
        .value_kind:     global_buffer
      - .actual_access:  read_only
        .address_space:  global
        .offset:         24
        .size:           8
        .value_kind:     global_buffer
      - .offset:         32
        .size:           4
        .value_kind:     by_value
      - .offset:         40
        .size:           8
        .value_kind:     by_value
      - .actual_access:  read_only
        .address_space:  global
        .offset:         48
        .size:           8
        .value_kind:     global_buffer
      - .actual_access:  read_only
        .address_space:  global
        .offset:         56
        .size:           8
        .value_kind:     global_buffer
      - .actual_access:  read_only
        .address_space:  global
        .offset:         64
        .size:           8
        .value_kind:     global_buffer
      - .actual_access:  read_only
        .address_space:  global
        .offset:         72
        .size:           8
        .value_kind:     global_buffer
      - .offset:         80
        .size:           8
        .value_kind:     by_value
      - .address_space:  global
        .offset:         88
        .size:           8
        .value_kind:     global_buffer
      - .offset:         96
        .size:           4
        .value_kind:     by_value
      - .offset:         100
        .size:           1
        .value_kind:     by_value
    .group_segment_fixed_size: 4096
    .kernarg_segment_align: 8
    .kernarg_segment_size: 104
    .language:       OpenCL C
    .language_version:
      - 2
      - 0
    .max_flat_workgroup_size: 256
    .name:           _ZN9rocsparseL30csrmvn_lrb_short_rows_2_kernelIllaaffEEvbT_PT0_S3_jNS_24const_host_device_scalarIT4_EEPKS1_PKS2_PKT1_PKT2_S6_PT3_21rocsparse_index_base_b
    .private_segment_fixed_size: 0
    .sgpr_count:     26
    .sgpr_spill_count: 0
    .symbol:         _ZN9rocsparseL30csrmvn_lrb_short_rows_2_kernelIllaaffEEvbT_PT0_S3_jNS_24const_host_device_scalarIT4_EEPKS1_PKS2_PKT1_PKT2_S6_PT3_21rocsparse_index_base_b.kd
    .uniform_work_group_size: 1
    .uses_dynamic_stack: false
    .vgpr_count:     9
    .vgpr_spill_count: 0
    .wavefront_size: 32
    .workgroup_processor_mode: 1
  - .args:
      - .offset:         0
        .size:           1
        .value_kind:     by_value
      - .offset:         8
        .size:           8
        .value_kind:     by_value
      - .offset:         16
        .size:           8
        .value_kind:     by_value
      - .actual_access:  read_only
        .address_space:  global
        .offset:         24
        .size:           8
        .value_kind:     global_buffer
      - .actual_access:  read_only
        .address_space:  global
        .offset:         32
        .size:           8
        .value_kind:     global_buffer
      - .offset:         40
        .size:           4
        .value_kind:     by_value
      - .offset:         48
        .size:           8
        .value_kind:     by_value
      - .actual_access:  read_only
        .address_space:  global
        .offset:         56
        .size:           8
        .value_kind:     global_buffer
      - .actual_access:  read_only
        .address_space:  global
        .offset:         64
        .size:           8
        .value_kind:     global_buffer
      - .actual_access:  read_only
        .address_space:  global
        .offset:         72
        .size:           8
        .value_kind:     global_buffer
      - .actual_access:  read_only
        .address_space:  global
        .offset:         80
        .size:           8
        .value_kind:     global_buffer
      - .offset:         88
        .size:           8
        .value_kind:     by_value
      - .address_space:  global
        .offset:         96
        .size:           8
        .value_kind:     global_buffer
      - .offset:         104
        .size:           4
        .value_kind:     by_value
      - .offset:         108
        .size:           1
        .value_kind:     by_value
    .group_segment_fixed_size: 0
    .kernarg_segment_align: 8
    .kernarg_segment_size: 112
    .language:       OpenCL C
    .language_version:
      - 2
      - 0
    .max_flat_workgroup_size: 256
    .name:           _ZN9rocsparseL41csrmvn_lrb_medium_rows_warp_reduce_kernelILj256ELj32EllaaffEEvbT1_lPT2_S3_jNS_24const_host_device_scalarIT6_EEPKS1_PKS2_PKT3_PKT4_S6_PT5_21rocsparse_index_base_b
    .private_segment_fixed_size: 0
    .sgpr_count:     20
    .sgpr_spill_count: 0
    .symbol:         _ZN9rocsparseL41csrmvn_lrb_medium_rows_warp_reduce_kernelILj256ELj32EllaaffEEvbT1_lPT2_S3_jNS_24const_host_device_scalarIT6_EEPKS1_PKS2_PKT3_PKT4_S6_PT5_21rocsparse_index_base_b.kd
    .uniform_work_group_size: 1
    .uses_dynamic_stack: false
    .vgpr_count:     14
    .vgpr_spill_count: 0
    .wavefront_size: 32
    .workgroup_processor_mode: 1
  - .args:
      - .offset:         0
        .size:           1
        .value_kind:     by_value
      - .offset:         8
        .size:           8
        .value_kind:     by_value
      - .offset:         16
        .size:           8
        .value_kind:     by_value
      - .actual_access:  read_only
        .address_space:  global
        .offset:         24
        .size:           8
        .value_kind:     global_buffer
      - .actual_access:  read_only
        .address_space:  global
        .offset:         32
        .size:           8
        .value_kind:     global_buffer
      - .offset:         40
        .size:           4
        .value_kind:     by_value
      - .offset:         48
        .size:           8
        .value_kind:     by_value
      - .actual_access:  read_only
        .address_space:  global
        .offset:         56
        .size:           8
        .value_kind:     global_buffer
      - .actual_access:  read_only
        .address_space:  global
        .offset:         64
        .size:           8
        .value_kind:     global_buffer
      - .actual_access:  read_only
        .address_space:  global
        .offset:         72
        .size:           8
        .value_kind:     global_buffer
      - .actual_access:  read_only
        .address_space:  global
        .offset:         80
        .size:           8
        .value_kind:     global_buffer
      - .offset:         88
        .size:           8
        .value_kind:     by_value
      - .address_space:  global
        .offset:         96
        .size:           8
        .value_kind:     global_buffer
      - .offset:         104
        .size:           4
        .value_kind:     by_value
      - .offset:         108
        .size:           1
        .value_kind:     by_value
    .group_segment_fixed_size: 0
    .kernarg_segment_align: 8
    .kernarg_segment_size: 112
    .language:       OpenCL C
    .language_version:
      - 2
      - 0
    .max_flat_workgroup_size: 256
    .name:           _ZN9rocsparseL41csrmvn_lrb_medium_rows_warp_reduce_kernelILj256ELj64EllaaffEEvbT1_lPT2_S3_jNS_24const_host_device_scalarIT6_EEPKS1_PKS2_PKT3_PKT4_S6_PT5_21rocsparse_index_base_b
    .private_segment_fixed_size: 0
    .sgpr_count:     20
    .sgpr_spill_count: 0
    .symbol:         _ZN9rocsparseL41csrmvn_lrb_medium_rows_warp_reduce_kernelILj256ELj64EllaaffEEvbT1_lPT2_S3_jNS_24const_host_device_scalarIT6_EEPKS1_PKS2_PKT3_PKT4_S6_PT5_21rocsparse_index_base_b.kd
    .uniform_work_group_size: 1
    .uses_dynamic_stack: false
    .vgpr_count:     14
    .vgpr_spill_count: 0
    .wavefront_size: 32
    .workgroup_processor_mode: 1
  - .args:
      - .offset:         0
        .size:           1
        .value_kind:     by_value
      - .offset:         8
        .size:           8
        .value_kind:     by_value
      - .actual_access:  read_only
        .address_space:  global
        .offset:         16
        .size:           8
        .value_kind:     global_buffer
      - .actual_access:  read_only
        .address_space:  global
        .offset:         24
        .size:           8
        .value_kind:     global_buffer
      - .offset:         32
        .size:           4
        .value_kind:     by_value
      - .offset:         40
        .size:           8
        .value_kind:     by_value
      - .actual_access:  read_only
        .address_space:  global
        .offset:         48
        .size:           8
        .value_kind:     global_buffer
      - .actual_access:  read_only
        .address_space:  global
        .offset:         56
        .size:           8
        .value_kind:     global_buffer
      - .actual_access:  read_only
        .address_space:  global
        .offset:         64
        .size:           8
        .value_kind:     global_buffer
      - .actual_access:  read_only
        .address_space:  global
        .offset:         72
        .size:           8
        .value_kind:     global_buffer
      - .offset:         80
        .size:           8
        .value_kind:     by_value
      - .address_space:  global
        .offset:         88
        .size:           8
        .value_kind:     global_buffer
      - .offset:         96
        .size:           4
        .value_kind:     by_value
      - .offset:         100
        .size:           1
        .value_kind:     by_value
    .group_segment_fixed_size: 1024
    .kernarg_segment_align: 8
    .kernarg_segment_size: 104
    .language:       OpenCL C
    .language_version:
      - 2
      - 0
    .max_flat_workgroup_size: 256
    .name:           _ZN9rocsparseL29csrmvn_lrb_medium_rows_kernelILj256EllaaffEEvbT0_PT1_S3_jNS_24const_host_device_scalarIT5_EEPKS1_PKS2_PKT2_PKT3_S6_PT4_21rocsparse_index_base_b
    .private_segment_fixed_size: 0
    .sgpr_count:     22
    .sgpr_spill_count: 0
    .symbol:         _ZN9rocsparseL29csrmvn_lrb_medium_rows_kernelILj256EllaaffEEvbT0_PT1_S3_jNS_24const_host_device_scalarIT5_EEPKS1_PKS2_PKT2_PKT3_S6_PT4_21rocsparse_index_base_b.kd
    .uniform_work_group_size: 1
    .uses_dynamic_stack: false
    .vgpr_count:     10
    .vgpr_spill_count: 0
    .wavefront_size: 32
    .workgroup_processor_mode: 1
  - .args:
      - .offset:         0
        .size:           1
        .value_kind:     by_value
      - .offset:         8
        .size:           8
        .value_kind:     by_value
      - .address_space:  global
        .offset:         16
        .size:           8
        .value_kind:     global_buffer
      - .actual_access:  read_only
        .address_space:  global
        .offset:         24
        .size:           8
        .value_kind:     global_buffer
      - .actual_access:  read_only
        .address_space:  global
        .offset:         32
        .size:           8
        .value_kind:     global_buffer
      - .offset:         40
        .size:           4
        .value_kind:     by_value
      - .offset:         48
        .size:           8
        .value_kind:     by_value
      - .actual_access:  read_only
        .address_space:  global
        .offset:         56
        .size:           8
        .value_kind:     global_buffer
      - .actual_access:  read_only
        .address_space:  global
        .offset:         64
        .size:           8
        .value_kind:     global_buffer
      - .actual_access:  read_only
        .address_space:  global
        .offset:         72
        .size:           8
        .value_kind:     global_buffer
      - .actual_access:  read_only
        .address_space:  global
        .offset:         80
        .size:           8
        .value_kind:     global_buffer
      - .offset:         88
        .size:           8
        .value_kind:     by_value
      - .address_space:  global
        .offset:         96
        .size:           8
        .value_kind:     global_buffer
      - .offset:         104
        .size:           4
        .value_kind:     by_value
      - .offset:         108
        .size:           1
        .value_kind:     by_value
    .group_segment_fixed_size: 1024
    .kernarg_segment_align: 8
    .kernarg_segment_size: 112
    .language:       OpenCL C
    .language_version:
      - 2
      - 0
    .max_flat_workgroup_size: 256
    .name:           _ZN9rocsparseL27csrmvn_lrb_long_rows_kernelIllaaffEEvbT_PjPT0_S4_jNS_24const_host_device_scalarIT4_EEPKS1_PKS3_PKT1_PKT2_S7_PT3_21rocsparse_index_base_b
    .private_segment_fixed_size: 0
    .sgpr_count:     28
    .sgpr_spill_count: 0
    .symbol:         _ZN9rocsparseL27csrmvn_lrb_long_rows_kernelIllaaffEEvbT_PjPT0_S4_jNS_24const_host_device_scalarIT4_EEPKS1_PKS3_PKT1_PKT2_S7_PT3_21rocsparse_index_base_b.kd
    .uniform_work_group_size: 1
    .uses_dynamic_stack: false
    .vgpr_count:     10
    .vgpr_spill_count: 0
    .wavefront_size: 32
    .workgroup_processor_mode: 1
  - .args:
      - .offset:         0
        .size:           1
        .value_kind:     by_value
      - .offset:         4
        .size:           4
        .value_kind:     by_value
      - .actual_access:  read_only
        .address_space:  global
        .offset:         8
        .size:           8
        .value_kind:     global_buffer
      - .actual_access:  read_only
        .address_space:  global
        .offset:         16
        .size:           8
        .value_kind:     global_buffer
      - .offset:         24
        .size:           4
        .value_kind:     by_value
      - .offset:         32
        .size:           8
        .value_kind:     by_value
      - .actual_access:  read_only
        .address_space:  global
        .offset:         40
        .size:           8
        .value_kind:     global_buffer
      - .actual_access:  read_only
        .address_space:  global
        .offset:         48
        .size:           8
        .value_kind:     global_buffer
      - .actual_access:  read_only
        .address_space:  global
        .offset:         56
        .size:           8
        .value_kind:     global_buffer
      - .actual_access:  read_only
        .address_space:  global
        .offset:         64
        .size:           8
        .value_kind:     global_buffer
      - .offset:         72
        .size:           8
        .value_kind:     by_value
      - .address_space:  global
        .offset:         80
        .size:           8
        .value_kind:     global_buffer
      - .offset:         88
        .size:           4
        .value_kind:     by_value
      - .offset:         92
        .size:           1
        .value_kind:     by_value
    .group_segment_fixed_size: 0
    .kernarg_segment_align: 8
    .kernarg_segment_size: 96
    .language:       OpenCL C
    .language_version:
      - 2
      - 0
    .max_flat_workgroup_size: 256
    .name:           _ZN9rocsparseL28csrmvn_lrb_short_rows_kernelIiiDF16_DF16_ffEEvbT_PT0_S3_jNS_24const_host_device_scalarIT4_EEPKS1_PKS2_PKT1_PKT2_S6_PT3_21rocsparse_index_base_b
    .private_segment_fixed_size: 0
    .sgpr_count:     26
    .sgpr_spill_count: 0
    .symbol:         _ZN9rocsparseL28csrmvn_lrb_short_rows_kernelIiiDF16_DF16_ffEEvbT_PT0_S3_jNS_24const_host_device_scalarIT4_EEPKS1_PKS2_PKT1_PKT2_S6_PT3_21rocsparse_index_base_b.kd
    .uniform_work_group_size: 1
    .uses_dynamic_stack: false
    .vgpr_count:     10
    .vgpr_spill_count: 0
    .wavefront_size: 32
    .workgroup_processor_mode: 1
  - .args:
      - .offset:         0
        .size:           1
        .value_kind:     by_value
      - .offset:         4
        .size:           4
        .value_kind:     by_value
      - .actual_access:  read_only
        .address_space:  global
        .offset:         8
        .size:           8
        .value_kind:     global_buffer
      - .actual_access:  read_only
        .address_space:  global
        .offset:         16
        .size:           8
        .value_kind:     global_buffer
      - .offset:         24
        .size:           4
        .value_kind:     by_value
      - .offset:         32
        .size:           8
        .value_kind:     by_value
      - .actual_access:  read_only
        .address_space:  global
        .offset:         40
        .size:           8
        .value_kind:     global_buffer
      - .actual_access:  read_only
        .address_space:  global
        .offset:         48
        .size:           8
        .value_kind:     global_buffer
      - .actual_access:  read_only
        .address_space:  global
        .offset:         56
        .size:           8
        .value_kind:     global_buffer
      - .actual_access:  read_only
        .address_space:  global
        .offset:         64
        .size:           8
        .value_kind:     global_buffer
      - .offset:         72
        .size:           8
        .value_kind:     by_value
      - .address_space:  global
        .offset:         80
        .size:           8
        .value_kind:     global_buffer
      - .offset:         88
        .size:           4
        .value_kind:     by_value
      - .offset:         92
        .size:           1
        .value_kind:     by_value
    .group_segment_fixed_size: 4096
    .kernarg_segment_align: 8
    .kernarg_segment_size: 96
    .language:       OpenCL C
    .language_version:
      - 2
      - 0
    .max_flat_workgroup_size: 256
    .name:           _ZN9rocsparseL30csrmvn_lrb_short_rows_2_kernelIiiDF16_DF16_ffEEvbT_PT0_S3_jNS_24const_host_device_scalarIT4_EEPKS1_PKS2_PKT1_PKT2_S6_PT3_21rocsparse_index_base_b
    .private_segment_fixed_size: 0
    .sgpr_count:     24
    .sgpr_spill_count: 0
    .symbol:         _ZN9rocsparseL30csrmvn_lrb_short_rows_2_kernelIiiDF16_DF16_ffEEvbT_PT0_S3_jNS_24const_host_device_scalarIT4_EEPKS1_PKS2_PKT1_PKT2_S6_PT3_21rocsparse_index_base_b.kd
    .uniform_work_group_size: 1
    .uses_dynamic_stack: false
    .vgpr_count:     8
    .vgpr_spill_count: 0
    .wavefront_size: 32
    .workgroup_processor_mode: 1
  - .args:
      - .offset:         0
        .size:           1
        .value_kind:     by_value
      - .offset:         4
        .size:           4
        .value_kind:     by_value
      - .offset:         8
        .size:           8
        .value_kind:     by_value
      - .actual_access:  read_only
        .address_space:  global
        .offset:         16
        .size:           8
        .value_kind:     global_buffer
      - .actual_access:  read_only
        .address_space:  global
        .offset:         24
        .size:           8
        .value_kind:     global_buffer
      - .offset:         32
        .size:           4
        .value_kind:     by_value
      - .offset:         40
        .size:           8
        .value_kind:     by_value
      - .actual_access:  read_only
        .address_space:  global
        .offset:         48
        .size:           8
        .value_kind:     global_buffer
      - .actual_access:  read_only
        .address_space:  global
        .offset:         56
        .size:           8
        .value_kind:     global_buffer
      - .actual_access:  read_only
        .address_space:  global
        .offset:         64
        .size:           8
        .value_kind:     global_buffer
      - .actual_access:  read_only
        .address_space:  global
        .offset:         72
        .size:           8
        .value_kind:     global_buffer
      - .offset:         80
        .size:           8
        .value_kind:     by_value
      - .address_space:  global
        .offset:         88
        .size:           8
        .value_kind:     global_buffer
      - .offset:         96
        .size:           4
        .value_kind:     by_value
      - .offset:         100
        .size:           1
        .value_kind:     by_value
    .group_segment_fixed_size: 0
    .kernarg_segment_align: 8
    .kernarg_segment_size: 104
    .language:       OpenCL C
    .language_version:
      - 2
      - 0
    .max_flat_workgroup_size: 256
    .name:           _ZN9rocsparseL41csrmvn_lrb_medium_rows_warp_reduce_kernelILj256ELj32EiiDF16_DF16_ffEEvbT1_lPT2_S3_jNS_24const_host_device_scalarIT6_EEPKS1_PKS2_PKT3_PKT4_S6_PT5_21rocsparse_index_base_b
    .private_segment_fixed_size: 0
    .sgpr_count:     18
    .sgpr_spill_count: 0
    .symbol:         _ZN9rocsparseL41csrmvn_lrb_medium_rows_warp_reduce_kernelILj256ELj32EiiDF16_DF16_ffEEvbT1_lPT2_S3_jNS_24const_host_device_scalarIT6_EEPKS1_PKS2_PKT3_PKT4_S6_PT5_21rocsparse_index_base_b.kd
    .uniform_work_group_size: 1
    .uses_dynamic_stack: false
    .vgpr_count:     11
    .vgpr_spill_count: 0
    .wavefront_size: 32
    .workgroup_processor_mode: 1
  - .args:
      - .offset:         0
        .size:           1
        .value_kind:     by_value
      - .offset:         4
        .size:           4
        .value_kind:     by_value
      - .offset:         8
        .size:           8
        .value_kind:     by_value
      - .actual_access:  read_only
        .address_space:  global
        .offset:         16
        .size:           8
        .value_kind:     global_buffer
      - .actual_access:  read_only
        .address_space:  global
        .offset:         24
        .size:           8
        .value_kind:     global_buffer
      - .offset:         32
        .size:           4
        .value_kind:     by_value
      - .offset:         40
        .size:           8
        .value_kind:     by_value
      - .actual_access:  read_only
        .address_space:  global
        .offset:         48
        .size:           8
        .value_kind:     global_buffer
      - .actual_access:  read_only
        .address_space:  global
        .offset:         56
        .size:           8
        .value_kind:     global_buffer
      - .actual_access:  read_only
        .address_space:  global
        .offset:         64
        .size:           8
        .value_kind:     global_buffer
      - .actual_access:  read_only
        .address_space:  global
        .offset:         72
        .size:           8
        .value_kind:     global_buffer
      - .offset:         80
        .size:           8
        .value_kind:     by_value
      - .address_space:  global
        .offset:         88
        .size:           8
        .value_kind:     global_buffer
      - .offset:         96
        .size:           4
        .value_kind:     by_value
      - .offset:         100
        .size:           1
        .value_kind:     by_value
    .group_segment_fixed_size: 0
    .kernarg_segment_align: 8
    .kernarg_segment_size: 104
    .language:       OpenCL C
    .language_version:
      - 2
      - 0
    .max_flat_workgroup_size: 256
    .name:           _ZN9rocsparseL41csrmvn_lrb_medium_rows_warp_reduce_kernelILj256ELj64EiiDF16_DF16_ffEEvbT1_lPT2_S3_jNS_24const_host_device_scalarIT6_EEPKS1_PKS2_PKT3_PKT4_S6_PT5_21rocsparse_index_base_b
    .private_segment_fixed_size: 0
    .sgpr_count:     18
    .sgpr_spill_count: 0
    .symbol:         _ZN9rocsparseL41csrmvn_lrb_medium_rows_warp_reduce_kernelILj256ELj64EiiDF16_DF16_ffEEvbT1_lPT2_S3_jNS_24const_host_device_scalarIT6_EEPKS1_PKS2_PKT3_PKT4_S6_PT5_21rocsparse_index_base_b.kd
    .uniform_work_group_size: 1
    .uses_dynamic_stack: false
    .vgpr_count:     11
    .vgpr_spill_count: 0
    .wavefront_size: 32
    .workgroup_processor_mode: 1
  - .args:
      - .offset:         0
        .size:           1
        .value_kind:     by_value
      - .offset:         4
        .size:           4
        .value_kind:     by_value
      - .actual_access:  read_only
        .address_space:  global
        .offset:         8
        .size:           8
        .value_kind:     global_buffer
      - .actual_access:  read_only
        .address_space:  global
        .offset:         16
        .size:           8
        .value_kind:     global_buffer
      - .offset:         24
        .size:           4
        .value_kind:     by_value
      - .offset:         32
        .size:           8
        .value_kind:     by_value
      - .actual_access:  read_only
        .address_space:  global
        .offset:         40
        .size:           8
        .value_kind:     global_buffer
      - .actual_access:  read_only
        .address_space:  global
        .offset:         48
        .size:           8
        .value_kind:     global_buffer
      - .actual_access:  read_only
        .address_space:  global
        .offset:         56
        .size:           8
        .value_kind:     global_buffer
      - .actual_access:  read_only
        .address_space:  global
        .offset:         64
        .size:           8
        .value_kind:     global_buffer
      - .offset:         72
        .size:           8
        .value_kind:     by_value
      - .address_space:  global
        .offset:         80
        .size:           8
        .value_kind:     global_buffer
      - .offset:         88
        .size:           4
        .value_kind:     by_value
      - .offset:         92
        .size:           1
        .value_kind:     by_value
    .group_segment_fixed_size: 1024
    .kernarg_segment_align: 8
    .kernarg_segment_size: 96
    .language:       OpenCL C
    .language_version:
      - 2
      - 0
    .max_flat_workgroup_size: 256
    .name:           _ZN9rocsparseL29csrmvn_lrb_medium_rows_kernelILj256EiiDF16_DF16_ffEEvbT0_PT1_S3_jNS_24const_host_device_scalarIT5_EEPKS1_PKS2_PKT2_PKT3_S6_PT4_21rocsparse_index_base_b
    .private_segment_fixed_size: 0
    .sgpr_count:     20
    .sgpr_spill_count: 0
    .symbol:         _ZN9rocsparseL29csrmvn_lrb_medium_rows_kernelILj256EiiDF16_DF16_ffEEvbT0_PT1_S3_jNS_24const_host_device_scalarIT5_EEPKS1_PKS2_PKT2_PKT3_S6_PT4_21rocsparse_index_base_b.kd
    .uniform_work_group_size: 1
    .uses_dynamic_stack: false
    .vgpr_count:     8
    .vgpr_spill_count: 0
    .wavefront_size: 32
    .workgroup_processor_mode: 1
  - .args:
      - .offset:         0
        .size:           1
        .value_kind:     by_value
      - .offset:         4
        .size:           4
        .value_kind:     by_value
      - .address_space:  global
        .offset:         8
        .size:           8
        .value_kind:     global_buffer
      - .actual_access:  read_only
        .address_space:  global
        .offset:         16
        .size:           8
        .value_kind:     global_buffer
      - .actual_access:  read_only
        .address_space:  global
        .offset:         24
        .size:           8
        .value_kind:     global_buffer
      - .offset:         32
        .size:           4
        .value_kind:     by_value
      - .offset:         40
        .size:           8
        .value_kind:     by_value
      - .actual_access:  read_only
        .address_space:  global
        .offset:         48
        .size:           8
        .value_kind:     global_buffer
      - .actual_access:  read_only
        .address_space:  global
        .offset:         56
        .size:           8
        .value_kind:     global_buffer
      - .actual_access:  read_only
        .address_space:  global
        .offset:         64
        .size:           8
        .value_kind:     global_buffer
      - .actual_access:  read_only
        .address_space:  global
        .offset:         72
        .size:           8
        .value_kind:     global_buffer
      - .offset:         80
        .size:           8
        .value_kind:     by_value
      - .address_space:  global
        .offset:         88
        .size:           8
        .value_kind:     global_buffer
      - .offset:         96
        .size:           4
        .value_kind:     by_value
      - .offset:         100
        .size:           1
        .value_kind:     by_value
    .group_segment_fixed_size: 1024
    .kernarg_segment_align: 8
    .kernarg_segment_size: 104
    .language:       OpenCL C
    .language_version:
      - 2
      - 0
    .max_flat_workgroup_size: 256
    .name:           _ZN9rocsparseL27csrmvn_lrb_long_rows_kernelIiiDF16_DF16_ffEEvbT_PjPT0_S4_jNS_24const_host_device_scalarIT4_EEPKS1_PKS3_PKT1_PKT2_S7_PT3_21rocsparse_index_base_b
    .private_segment_fixed_size: 0
    .sgpr_count:     26
    .sgpr_spill_count: 0
    .symbol:         _ZN9rocsparseL27csrmvn_lrb_long_rows_kernelIiiDF16_DF16_ffEEvbT_PjPT0_S4_jNS_24const_host_device_scalarIT4_EEPKS1_PKS3_PKT1_PKT2_S7_PT3_21rocsparse_index_base_b.kd
    .uniform_work_group_size: 1
    .uses_dynamic_stack: false
    .vgpr_count:     8
    .vgpr_spill_count: 0
    .wavefront_size: 32
    .workgroup_processor_mode: 1
  - .args:
      - .offset:         0
        .size:           1
        .value_kind:     by_value
      - .offset:         8
        .size:           8
        .value_kind:     by_value
      - .actual_access:  read_only
        .address_space:  global
        .offset:         16
        .size:           8
        .value_kind:     global_buffer
      - .actual_access:  read_only
        .address_space:  global
        .offset:         24
        .size:           8
        .value_kind:     global_buffer
      - .offset:         32
        .size:           4
        .value_kind:     by_value
      - .offset:         40
        .size:           8
        .value_kind:     by_value
      - .actual_access:  read_only
        .address_space:  global
        .offset:         48
        .size:           8
        .value_kind:     global_buffer
      - .actual_access:  read_only
        .address_space:  global
        .offset:         56
        .size:           8
        .value_kind:     global_buffer
      - .actual_access:  read_only
        .address_space:  global
        .offset:         64
        .size:           8
        .value_kind:     global_buffer
      - .actual_access:  read_only
        .address_space:  global
        .offset:         72
        .size:           8
        .value_kind:     global_buffer
      - .offset:         80
        .size:           8
        .value_kind:     by_value
      - .address_space:  global
        .offset:         88
        .size:           8
        .value_kind:     global_buffer
      - .offset:         96
        .size:           4
        .value_kind:     by_value
      - .offset:         100
        .size:           1
        .value_kind:     by_value
    .group_segment_fixed_size: 0
    .kernarg_segment_align: 8
    .kernarg_segment_size: 104
    .language:       OpenCL C
    .language_version:
      - 2
      - 0
    .max_flat_workgroup_size: 256
    .name:           _ZN9rocsparseL28csrmvn_lrb_short_rows_kernelIliDF16_DF16_ffEEvbT_PT0_S3_jNS_24const_host_device_scalarIT4_EEPKS1_PKS2_PKT1_PKT2_S6_PT3_21rocsparse_index_base_b
    .private_segment_fixed_size: 0
    .sgpr_count:     26
    .sgpr_spill_count: 0
    .symbol:         _ZN9rocsparseL28csrmvn_lrb_short_rows_kernelIliDF16_DF16_ffEEvbT_PT0_S3_jNS_24const_host_device_scalarIT4_EEPKS1_PKS2_PKT1_PKT2_S6_PT3_21rocsparse_index_base_b.kd
    .uniform_work_group_size: 1
    .uses_dynamic_stack: false
    .vgpr_count:     10
    .vgpr_spill_count: 0
    .wavefront_size: 32
    .workgroup_processor_mode: 1
  - .args:
      - .offset:         0
        .size:           1
        .value_kind:     by_value
      - .offset:         8
        .size:           8
        .value_kind:     by_value
      - .actual_access:  read_only
        .address_space:  global
        .offset:         16
        .size:           8
        .value_kind:     global_buffer
      - .actual_access:  read_only
        .address_space:  global
        .offset:         24
        .size:           8
        .value_kind:     global_buffer
      - .offset:         32
        .size:           4
        .value_kind:     by_value
      - .offset:         40
        .size:           8
        .value_kind:     by_value
      - .actual_access:  read_only
        .address_space:  global
        .offset:         48
        .size:           8
        .value_kind:     global_buffer
      - .actual_access:  read_only
        .address_space:  global
        .offset:         56
        .size:           8
        .value_kind:     global_buffer
      - .actual_access:  read_only
        .address_space:  global
        .offset:         64
        .size:           8
        .value_kind:     global_buffer
      - .actual_access:  read_only
        .address_space:  global
        .offset:         72
        .size:           8
        .value_kind:     global_buffer
      - .offset:         80
        .size:           8
        .value_kind:     by_value
      - .address_space:  global
        .offset:         88
        .size:           8
        .value_kind:     global_buffer
      - .offset:         96
        .size:           4
        .value_kind:     by_value
      - .offset:         100
        .size:           1
        .value_kind:     by_value
    .group_segment_fixed_size: 4096
    .kernarg_segment_align: 8
    .kernarg_segment_size: 104
    .language:       OpenCL C
    .language_version:
      - 2
      - 0
    .max_flat_workgroup_size: 256
    .name:           _ZN9rocsparseL30csrmvn_lrb_short_rows_2_kernelIliDF16_DF16_ffEEvbT_PT0_S3_jNS_24const_host_device_scalarIT4_EEPKS1_PKS2_PKT1_PKT2_S6_PT3_21rocsparse_index_base_b
    .private_segment_fixed_size: 0
    .sgpr_count:     24
    .sgpr_spill_count: 0
    .symbol:         _ZN9rocsparseL30csrmvn_lrb_short_rows_2_kernelIliDF16_DF16_ffEEvbT_PT0_S3_jNS_24const_host_device_scalarIT4_EEPKS1_PKS2_PKT1_PKT2_S6_PT3_21rocsparse_index_base_b.kd
    .uniform_work_group_size: 1
    .uses_dynamic_stack: false
    .vgpr_count:     9
    .vgpr_spill_count: 0
    .wavefront_size: 32
    .workgroup_processor_mode: 1
  - .args:
      - .offset:         0
        .size:           1
        .value_kind:     by_value
      - .offset:         8
        .size:           8
        .value_kind:     by_value
      - .offset:         16
        .size:           8
        .value_kind:     by_value
      - .actual_access:  read_only
        .address_space:  global
        .offset:         24
        .size:           8
        .value_kind:     global_buffer
      - .actual_access:  read_only
        .address_space:  global
        .offset:         32
        .size:           8
        .value_kind:     global_buffer
      - .offset:         40
        .size:           4
        .value_kind:     by_value
      - .offset:         48
        .size:           8
        .value_kind:     by_value
      - .actual_access:  read_only
        .address_space:  global
        .offset:         56
        .size:           8
        .value_kind:     global_buffer
      - .actual_access:  read_only
        .address_space:  global
        .offset:         64
        .size:           8
        .value_kind:     global_buffer
      - .actual_access:  read_only
        .address_space:  global
        .offset:         72
        .size:           8
        .value_kind:     global_buffer
      - .actual_access:  read_only
        .address_space:  global
        .offset:         80
        .size:           8
        .value_kind:     global_buffer
      - .offset:         88
        .size:           8
        .value_kind:     by_value
      - .address_space:  global
        .offset:         96
        .size:           8
        .value_kind:     global_buffer
      - .offset:         104
        .size:           4
        .value_kind:     by_value
      - .offset:         108
        .size:           1
        .value_kind:     by_value
    .group_segment_fixed_size: 0
    .kernarg_segment_align: 8
    .kernarg_segment_size: 112
    .language:       OpenCL C
    .language_version:
      - 2
      - 0
    .max_flat_workgroup_size: 256
    .name:           _ZN9rocsparseL41csrmvn_lrb_medium_rows_warp_reduce_kernelILj256ELj32EliDF16_DF16_ffEEvbT1_lPT2_S3_jNS_24const_host_device_scalarIT6_EEPKS1_PKS2_PKT3_PKT4_S6_PT5_21rocsparse_index_base_b
    .private_segment_fixed_size: 0
    .sgpr_count:     22
    .sgpr_spill_count: 0
    .symbol:         _ZN9rocsparseL41csrmvn_lrb_medium_rows_warp_reduce_kernelILj256ELj32EliDF16_DF16_ffEEvbT1_lPT2_S3_jNS_24const_host_device_scalarIT6_EEPKS1_PKS2_PKT3_PKT4_S6_PT5_21rocsparse_index_base_b.kd
    .uniform_work_group_size: 1
    .uses_dynamic_stack: false
    .vgpr_count:     15
    .vgpr_spill_count: 0
    .wavefront_size: 32
    .workgroup_processor_mode: 1
  - .args:
      - .offset:         0
        .size:           1
        .value_kind:     by_value
      - .offset:         8
        .size:           8
        .value_kind:     by_value
      - .offset:         16
        .size:           8
        .value_kind:     by_value
      - .actual_access:  read_only
        .address_space:  global
        .offset:         24
        .size:           8
        .value_kind:     global_buffer
      - .actual_access:  read_only
        .address_space:  global
        .offset:         32
        .size:           8
        .value_kind:     global_buffer
      - .offset:         40
        .size:           4
        .value_kind:     by_value
      - .offset:         48
        .size:           8
        .value_kind:     by_value
      - .actual_access:  read_only
        .address_space:  global
        .offset:         56
        .size:           8
        .value_kind:     global_buffer
      - .actual_access:  read_only
        .address_space:  global
        .offset:         64
        .size:           8
        .value_kind:     global_buffer
      - .actual_access:  read_only
        .address_space:  global
        .offset:         72
        .size:           8
        .value_kind:     global_buffer
      - .actual_access:  read_only
        .address_space:  global
        .offset:         80
        .size:           8
        .value_kind:     global_buffer
      - .offset:         88
        .size:           8
        .value_kind:     by_value
      - .address_space:  global
        .offset:         96
        .size:           8
        .value_kind:     global_buffer
      - .offset:         104
        .size:           4
        .value_kind:     by_value
      - .offset:         108
        .size:           1
        .value_kind:     by_value
    .group_segment_fixed_size: 0
    .kernarg_segment_align: 8
    .kernarg_segment_size: 112
    .language:       OpenCL C
    .language_version:
      - 2
      - 0
    .max_flat_workgroup_size: 256
    .name:           _ZN9rocsparseL41csrmvn_lrb_medium_rows_warp_reduce_kernelILj256ELj64EliDF16_DF16_ffEEvbT1_lPT2_S3_jNS_24const_host_device_scalarIT6_EEPKS1_PKS2_PKT3_PKT4_S6_PT5_21rocsparse_index_base_b
    .private_segment_fixed_size: 0
    .sgpr_count:     22
    .sgpr_spill_count: 0
    .symbol:         _ZN9rocsparseL41csrmvn_lrb_medium_rows_warp_reduce_kernelILj256ELj64EliDF16_DF16_ffEEvbT1_lPT2_S3_jNS_24const_host_device_scalarIT6_EEPKS1_PKS2_PKT3_PKT4_S6_PT5_21rocsparse_index_base_b.kd
    .uniform_work_group_size: 1
    .uses_dynamic_stack: false
    .vgpr_count:     15
    .vgpr_spill_count: 0
    .wavefront_size: 32
    .workgroup_processor_mode: 1
  - .args:
      - .offset:         0
        .size:           1
        .value_kind:     by_value
      - .offset:         8
        .size:           8
        .value_kind:     by_value
      - .actual_access:  read_only
        .address_space:  global
        .offset:         16
        .size:           8
        .value_kind:     global_buffer
      - .actual_access:  read_only
        .address_space:  global
        .offset:         24
        .size:           8
        .value_kind:     global_buffer
      - .offset:         32
        .size:           4
        .value_kind:     by_value
      - .offset:         40
        .size:           8
        .value_kind:     by_value
      - .actual_access:  read_only
        .address_space:  global
        .offset:         48
        .size:           8
        .value_kind:     global_buffer
      - .actual_access:  read_only
        .address_space:  global
        .offset:         56
        .size:           8
        .value_kind:     global_buffer
      - .actual_access:  read_only
        .address_space:  global
        .offset:         64
        .size:           8
        .value_kind:     global_buffer
      - .actual_access:  read_only
        .address_space:  global
        .offset:         72
        .size:           8
        .value_kind:     global_buffer
      - .offset:         80
        .size:           8
        .value_kind:     by_value
      - .address_space:  global
        .offset:         88
        .size:           8
        .value_kind:     global_buffer
      - .offset:         96
        .size:           4
        .value_kind:     by_value
      - .offset:         100
        .size:           1
        .value_kind:     by_value
    .group_segment_fixed_size: 1024
    .kernarg_segment_align: 8
    .kernarg_segment_size: 104
    .language:       OpenCL C
    .language_version:
      - 2
      - 0
    .max_flat_workgroup_size: 256
    .name:           _ZN9rocsparseL29csrmvn_lrb_medium_rows_kernelILj256EliDF16_DF16_ffEEvbT0_PT1_S3_jNS_24const_host_device_scalarIT5_EEPKS1_PKS2_PKT2_PKT3_S6_PT4_21rocsparse_index_base_b
    .private_segment_fixed_size: 0
    .sgpr_count:     22
    .sgpr_spill_count: 0
    .symbol:         _ZN9rocsparseL29csrmvn_lrb_medium_rows_kernelILj256EliDF16_DF16_ffEEvbT0_PT1_S3_jNS_24const_host_device_scalarIT5_EEPKS1_PKS2_PKT2_PKT3_S6_PT4_21rocsparse_index_base_b.kd
    .uniform_work_group_size: 1
    .uses_dynamic_stack: false
    .vgpr_count:     11
    .vgpr_spill_count: 0
    .wavefront_size: 32
    .workgroup_processor_mode: 1
  - .args:
      - .offset:         0
        .size:           1
        .value_kind:     by_value
      - .offset:         8
        .size:           8
        .value_kind:     by_value
      - .address_space:  global
        .offset:         16
        .size:           8
        .value_kind:     global_buffer
      - .actual_access:  read_only
        .address_space:  global
        .offset:         24
        .size:           8
        .value_kind:     global_buffer
      - .actual_access:  read_only
        .address_space:  global
        .offset:         32
        .size:           8
        .value_kind:     global_buffer
      - .offset:         40
        .size:           4
        .value_kind:     by_value
      - .offset:         48
        .size:           8
        .value_kind:     by_value
      - .actual_access:  read_only
        .address_space:  global
        .offset:         56
        .size:           8
        .value_kind:     global_buffer
      - .actual_access:  read_only
        .address_space:  global
        .offset:         64
        .size:           8
        .value_kind:     global_buffer
      - .actual_access:  read_only
        .address_space:  global
        .offset:         72
        .size:           8
        .value_kind:     global_buffer
      - .actual_access:  read_only
        .address_space:  global
        .offset:         80
        .size:           8
        .value_kind:     global_buffer
      - .offset:         88
        .size:           8
        .value_kind:     by_value
      - .address_space:  global
        .offset:         96
        .size:           8
        .value_kind:     global_buffer
      - .offset:         104
        .size:           4
        .value_kind:     by_value
      - .offset:         108
        .size:           1
        .value_kind:     by_value
    .group_segment_fixed_size: 1024
    .kernarg_segment_align: 8
    .kernarg_segment_size: 112
    .language:       OpenCL C
    .language_version:
      - 2
      - 0
    .max_flat_workgroup_size: 256
    .name:           _ZN9rocsparseL27csrmvn_lrb_long_rows_kernelIliDF16_DF16_ffEEvbT_PjPT0_S4_jNS_24const_host_device_scalarIT4_EEPKS1_PKS3_PKT1_PKT2_S7_PT3_21rocsparse_index_base_b
    .private_segment_fixed_size: 0
    .sgpr_count:     30
    .sgpr_spill_count: 0
    .symbol:         _ZN9rocsparseL27csrmvn_lrb_long_rows_kernelIliDF16_DF16_ffEEvbT_PjPT0_S4_jNS_24const_host_device_scalarIT4_EEPKS1_PKS3_PKT1_PKT2_S7_PT3_21rocsparse_index_base_b.kd
    .uniform_work_group_size: 1
    .uses_dynamic_stack: false
    .vgpr_count:     11
    .vgpr_spill_count: 0
    .wavefront_size: 32
    .workgroup_processor_mode: 1
  - .args:
      - .offset:         0
        .size:           1
        .value_kind:     by_value
      - .offset:         8
        .size:           8
        .value_kind:     by_value
      - .actual_access:  read_only
        .address_space:  global
        .offset:         16
        .size:           8
        .value_kind:     global_buffer
      - .actual_access:  read_only
        .address_space:  global
        .offset:         24
        .size:           8
        .value_kind:     global_buffer
      - .offset:         32
        .size:           4
        .value_kind:     by_value
      - .offset:         40
        .size:           8
        .value_kind:     by_value
      - .actual_access:  read_only
        .address_space:  global
        .offset:         48
        .size:           8
        .value_kind:     global_buffer
      - .actual_access:  read_only
        .address_space:  global
        .offset:         56
        .size:           8
        .value_kind:     global_buffer
      - .actual_access:  read_only
        .address_space:  global
        .offset:         64
        .size:           8
        .value_kind:     global_buffer
      - .actual_access:  read_only
        .address_space:  global
        .offset:         72
        .size:           8
        .value_kind:     global_buffer
      - .offset:         80
        .size:           8
        .value_kind:     by_value
      - .address_space:  global
        .offset:         88
        .size:           8
        .value_kind:     global_buffer
      - .offset:         96
        .size:           4
        .value_kind:     by_value
      - .offset:         100
        .size:           1
        .value_kind:     by_value
    .group_segment_fixed_size: 0
    .kernarg_segment_align: 8
    .kernarg_segment_size: 104
    .language:       OpenCL C
    .language_version:
      - 2
      - 0
    .max_flat_workgroup_size: 256
    .name:           _ZN9rocsparseL28csrmvn_lrb_short_rows_kernelIllDF16_DF16_ffEEvbT_PT0_S3_jNS_24const_host_device_scalarIT4_EEPKS1_PKS2_PKT1_PKT2_S6_PT3_21rocsparse_index_base_b
    .private_segment_fixed_size: 0
    .sgpr_count:     28
    .sgpr_spill_count: 0
    .symbol:         _ZN9rocsparseL28csrmvn_lrb_short_rows_kernelIllDF16_DF16_ffEEvbT_PT0_S3_jNS_24const_host_device_scalarIT4_EEPKS1_PKS2_PKT1_PKT2_S6_PT3_21rocsparse_index_base_b.kd
    .uniform_work_group_size: 1
    .uses_dynamic_stack: false
    .vgpr_count:     10
    .vgpr_spill_count: 0
    .wavefront_size: 32
    .workgroup_processor_mode: 1
  - .args:
      - .offset:         0
        .size:           1
        .value_kind:     by_value
      - .offset:         8
        .size:           8
        .value_kind:     by_value
      - .actual_access:  read_only
        .address_space:  global
        .offset:         16
        .size:           8
        .value_kind:     global_buffer
      - .actual_access:  read_only
        .address_space:  global
        .offset:         24
        .size:           8
        .value_kind:     global_buffer
      - .offset:         32
        .size:           4
        .value_kind:     by_value
      - .offset:         40
        .size:           8
        .value_kind:     by_value
      - .actual_access:  read_only
        .address_space:  global
        .offset:         48
        .size:           8
        .value_kind:     global_buffer
      - .actual_access:  read_only
        .address_space:  global
        .offset:         56
        .size:           8
        .value_kind:     global_buffer
      - .actual_access:  read_only
        .address_space:  global
        .offset:         64
        .size:           8
        .value_kind:     global_buffer
      - .actual_access:  read_only
        .address_space:  global
        .offset:         72
        .size:           8
        .value_kind:     global_buffer
      - .offset:         80
        .size:           8
        .value_kind:     by_value
      - .address_space:  global
        .offset:         88
        .size:           8
        .value_kind:     global_buffer
      - .offset:         96
        .size:           4
        .value_kind:     by_value
      - .offset:         100
        .size:           1
        .value_kind:     by_value
    .group_segment_fixed_size: 4096
    .kernarg_segment_align: 8
    .kernarg_segment_size: 104
    .language:       OpenCL C
    .language_version:
      - 2
      - 0
    .max_flat_workgroup_size: 256
    .name:           _ZN9rocsparseL30csrmvn_lrb_short_rows_2_kernelIllDF16_DF16_ffEEvbT_PT0_S3_jNS_24const_host_device_scalarIT4_EEPKS1_PKS2_PKT1_PKT2_S6_PT3_21rocsparse_index_base_b
    .private_segment_fixed_size: 0
    .sgpr_count:     26
    .sgpr_spill_count: 0
    .symbol:         _ZN9rocsparseL30csrmvn_lrb_short_rows_2_kernelIllDF16_DF16_ffEEvbT_PT0_S3_jNS_24const_host_device_scalarIT4_EEPKS1_PKS2_PKT1_PKT2_S6_PT3_21rocsparse_index_base_b.kd
    .uniform_work_group_size: 1
    .uses_dynamic_stack: false
    .vgpr_count:     9
    .vgpr_spill_count: 0
    .wavefront_size: 32
    .workgroup_processor_mode: 1
  - .args:
      - .offset:         0
        .size:           1
        .value_kind:     by_value
      - .offset:         8
        .size:           8
        .value_kind:     by_value
      - .offset:         16
        .size:           8
        .value_kind:     by_value
      - .actual_access:  read_only
        .address_space:  global
        .offset:         24
        .size:           8
        .value_kind:     global_buffer
      - .actual_access:  read_only
        .address_space:  global
        .offset:         32
        .size:           8
        .value_kind:     global_buffer
      - .offset:         40
        .size:           4
        .value_kind:     by_value
      - .offset:         48
        .size:           8
        .value_kind:     by_value
      - .actual_access:  read_only
        .address_space:  global
        .offset:         56
        .size:           8
        .value_kind:     global_buffer
      - .actual_access:  read_only
        .address_space:  global
        .offset:         64
        .size:           8
        .value_kind:     global_buffer
      - .actual_access:  read_only
        .address_space:  global
        .offset:         72
        .size:           8
        .value_kind:     global_buffer
      - .actual_access:  read_only
        .address_space:  global
        .offset:         80
        .size:           8
        .value_kind:     global_buffer
      - .offset:         88
        .size:           8
        .value_kind:     by_value
      - .address_space:  global
        .offset:         96
        .size:           8
        .value_kind:     global_buffer
      - .offset:         104
        .size:           4
        .value_kind:     by_value
      - .offset:         108
        .size:           1
        .value_kind:     by_value
    .group_segment_fixed_size: 0
    .kernarg_segment_align: 8
    .kernarg_segment_size: 112
    .language:       OpenCL C
    .language_version:
      - 2
      - 0
    .max_flat_workgroup_size: 256
    .name:           _ZN9rocsparseL41csrmvn_lrb_medium_rows_warp_reduce_kernelILj256ELj32EllDF16_DF16_ffEEvbT1_lPT2_S3_jNS_24const_host_device_scalarIT6_EEPKS1_PKS2_PKT3_PKT4_S6_PT5_21rocsparse_index_base_b
    .private_segment_fixed_size: 0
    .sgpr_count:     22
    .sgpr_spill_count: 0
    .symbol:         _ZN9rocsparseL41csrmvn_lrb_medium_rows_warp_reduce_kernelILj256ELj32EllDF16_DF16_ffEEvbT1_lPT2_S3_jNS_24const_host_device_scalarIT6_EEPKS1_PKS2_PKT3_PKT4_S6_PT5_21rocsparse_index_base_b.kd
    .uniform_work_group_size: 1
    .uses_dynamic_stack: false
    .vgpr_count:     15
    .vgpr_spill_count: 0
    .wavefront_size: 32
    .workgroup_processor_mode: 1
  - .args:
      - .offset:         0
        .size:           1
        .value_kind:     by_value
      - .offset:         8
        .size:           8
        .value_kind:     by_value
      - .offset:         16
        .size:           8
        .value_kind:     by_value
      - .actual_access:  read_only
        .address_space:  global
        .offset:         24
        .size:           8
        .value_kind:     global_buffer
      - .actual_access:  read_only
        .address_space:  global
        .offset:         32
        .size:           8
        .value_kind:     global_buffer
      - .offset:         40
        .size:           4
        .value_kind:     by_value
      - .offset:         48
        .size:           8
        .value_kind:     by_value
      - .actual_access:  read_only
        .address_space:  global
        .offset:         56
        .size:           8
        .value_kind:     global_buffer
      - .actual_access:  read_only
        .address_space:  global
        .offset:         64
        .size:           8
        .value_kind:     global_buffer
      - .actual_access:  read_only
        .address_space:  global
        .offset:         72
        .size:           8
        .value_kind:     global_buffer
      - .actual_access:  read_only
        .address_space:  global
        .offset:         80
        .size:           8
        .value_kind:     global_buffer
      - .offset:         88
        .size:           8
        .value_kind:     by_value
      - .address_space:  global
        .offset:         96
        .size:           8
        .value_kind:     global_buffer
      - .offset:         104
        .size:           4
        .value_kind:     by_value
      - .offset:         108
        .size:           1
        .value_kind:     by_value
    .group_segment_fixed_size: 0
    .kernarg_segment_align: 8
    .kernarg_segment_size: 112
    .language:       OpenCL C
    .language_version:
      - 2
      - 0
    .max_flat_workgroup_size: 256
    .name:           _ZN9rocsparseL41csrmvn_lrb_medium_rows_warp_reduce_kernelILj256ELj64EllDF16_DF16_ffEEvbT1_lPT2_S3_jNS_24const_host_device_scalarIT6_EEPKS1_PKS2_PKT3_PKT4_S6_PT5_21rocsparse_index_base_b
    .private_segment_fixed_size: 0
    .sgpr_count:     22
    .sgpr_spill_count: 0
    .symbol:         _ZN9rocsparseL41csrmvn_lrb_medium_rows_warp_reduce_kernelILj256ELj64EllDF16_DF16_ffEEvbT1_lPT2_S3_jNS_24const_host_device_scalarIT6_EEPKS1_PKS2_PKT3_PKT4_S6_PT5_21rocsparse_index_base_b.kd
    .uniform_work_group_size: 1
    .uses_dynamic_stack: false
    .vgpr_count:     15
    .vgpr_spill_count: 0
    .wavefront_size: 32
    .workgroup_processor_mode: 1
  - .args:
      - .offset:         0
        .size:           1
        .value_kind:     by_value
      - .offset:         8
        .size:           8
        .value_kind:     by_value
      - .actual_access:  read_only
        .address_space:  global
        .offset:         16
        .size:           8
        .value_kind:     global_buffer
      - .actual_access:  read_only
        .address_space:  global
        .offset:         24
        .size:           8
        .value_kind:     global_buffer
      - .offset:         32
        .size:           4
        .value_kind:     by_value
      - .offset:         40
        .size:           8
        .value_kind:     by_value
      - .actual_access:  read_only
        .address_space:  global
        .offset:         48
        .size:           8
        .value_kind:     global_buffer
      - .actual_access:  read_only
        .address_space:  global
        .offset:         56
        .size:           8
        .value_kind:     global_buffer
      - .actual_access:  read_only
        .address_space:  global
        .offset:         64
        .size:           8
        .value_kind:     global_buffer
      - .actual_access:  read_only
        .address_space:  global
        .offset:         72
        .size:           8
        .value_kind:     global_buffer
      - .offset:         80
        .size:           8
        .value_kind:     by_value
      - .address_space:  global
        .offset:         88
        .size:           8
        .value_kind:     global_buffer
      - .offset:         96
        .size:           4
        .value_kind:     by_value
      - .offset:         100
        .size:           1
        .value_kind:     by_value
    .group_segment_fixed_size: 1024
    .kernarg_segment_align: 8
    .kernarg_segment_size: 104
    .language:       OpenCL C
    .language_version:
      - 2
      - 0
    .max_flat_workgroup_size: 256
    .name:           _ZN9rocsparseL29csrmvn_lrb_medium_rows_kernelILj256EllDF16_DF16_ffEEvbT0_PT1_S3_jNS_24const_host_device_scalarIT5_EEPKS1_PKS2_PKT2_PKT3_S6_PT4_21rocsparse_index_base_b
    .private_segment_fixed_size: 0
    .sgpr_count:     22
    .sgpr_spill_count: 0
    .symbol:         _ZN9rocsparseL29csrmvn_lrb_medium_rows_kernelILj256EllDF16_DF16_ffEEvbT0_PT1_S3_jNS_24const_host_device_scalarIT5_EEPKS1_PKS2_PKT2_PKT3_S6_PT4_21rocsparse_index_base_b.kd
    .uniform_work_group_size: 1
    .uses_dynamic_stack: false
    .vgpr_count:     11
    .vgpr_spill_count: 0
    .wavefront_size: 32
    .workgroup_processor_mode: 1
  - .args:
      - .offset:         0
        .size:           1
        .value_kind:     by_value
      - .offset:         8
        .size:           8
        .value_kind:     by_value
      - .address_space:  global
        .offset:         16
        .size:           8
        .value_kind:     global_buffer
      - .actual_access:  read_only
        .address_space:  global
        .offset:         24
        .size:           8
        .value_kind:     global_buffer
      - .actual_access:  read_only
        .address_space:  global
        .offset:         32
        .size:           8
        .value_kind:     global_buffer
      - .offset:         40
        .size:           4
        .value_kind:     by_value
      - .offset:         48
        .size:           8
        .value_kind:     by_value
      - .actual_access:  read_only
        .address_space:  global
        .offset:         56
        .size:           8
        .value_kind:     global_buffer
      - .actual_access:  read_only
        .address_space:  global
        .offset:         64
        .size:           8
        .value_kind:     global_buffer
      - .actual_access:  read_only
        .address_space:  global
        .offset:         72
        .size:           8
        .value_kind:     global_buffer
      - .actual_access:  read_only
        .address_space:  global
        .offset:         80
        .size:           8
        .value_kind:     global_buffer
      - .offset:         88
        .size:           8
        .value_kind:     by_value
      - .address_space:  global
        .offset:         96
        .size:           8
        .value_kind:     global_buffer
      - .offset:         104
        .size:           4
        .value_kind:     by_value
      - .offset:         108
        .size:           1
        .value_kind:     by_value
    .group_segment_fixed_size: 1024
    .kernarg_segment_align: 8
    .kernarg_segment_size: 112
    .language:       OpenCL C
    .language_version:
      - 2
      - 0
    .max_flat_workgroup_size: 256
    .name:           _ZN9rocsparseL27csrmvn_lrb_long_rows_kernelIllDF16_DF16_ffEEvbT_PjPT0_S4_jNS_24const_host_device_scalarIT4_EEPKS1_PKS3_PKT1_PKT2_S7_PT3_21rocsparse_index_base_b
    .private_segment_fixed_size: 0
    .sgpr_count:     30
    .sgpr_spill_count: 0
    .symbol:         _ZN9rocsparseL27csrmvn_lrb_long_rows_kernelIllDF16_DF16_ffEEvbT_PjPT0_S4_jNS_24const_host_device_scalarIT4_EEPKS1_PKS3_PKT1_PKT2_S7_PT3_21rocsparse_index_base_b.kd
    .uniform_work_group_size: 1
    .uses_dynamic_stack: false
    .vgpr_count:     11
    .vgpr_spill_count: 0
    .wavefront_size: 32
    .workgroup_processor_mode: 1
  - .args:
      - .offset:         0
        .size:           1
        .value_kind:     by_value
      - .offset:         4
        .size:           4
        .value_kind:     by_value
      - .actual_access:  read_only
        .address_space:  global
        .offset:         8
        .size:           8
        .value_kind:     global_buffer
      - .actual_access:  read_only
        .address_space:  global
        .offset:         16
        .size:           8
        .value_kind:     global_buffer
      - .offset:         24
        .size:           4
        .value_kind:     by_value
      - .offset:         32
        .size:           8
        .value_kind:     by_value
      - .actual_access:  read_only
        .address_space:  global
        .offset:         40
        .size:           8
        .value_kind:     global_buffer
      - .actual_access:  read_only
        .address_space:  global
        .offset:         48
        .size:           8
        .value_kind:     global_buffer
      - .actual_access:  read_only
        .address_space:  global
        .offset:         56
        .size:           8
        .value_kind:     global_buffer
      - .actual_access:  read_only
        .address_space:  global
        .offset:         64
        .size:           8
        .value_kind:     global_buffer
      - .offset:         72
        .size:           8
        .value_kind:     by_value
      - .address_space:  global
        .offset:         80
        .size:           8
        .value_kind:     global_buffer
      - .offset:         88
        .size:           4
        .value_kind:     by_value
      - .offset:         92
        .size:           1
        .value_kind:     by_value
    .group_segment_fixed_size: 0
    .kernarg_segment_align: 8
    .kernarg_segment_size: 96
    .language:       OpenCL C
    .language_version:
      - 2
      - 0
    .max_flat_workgroup_size: 256
    .name:           _ZN9rocsparseL28csrmvn_lrb_short_rows_kernelIii18rocsparse_bfloat16S1_ffEEvbT_PT0_S4_jNS_24const_host_device_scalarIT4_EEPKS2_PKS3_PKT1_PKT2_S7_PT3_21rocsparse_index_base_b
    .private_segment_fixed_size: 0
    .sgpr_count:     26
    .sgpr_spill_count: 0
    .symbol:         _ZN9rocsparseL28csrmvn_lrb_short_rows_kernelIii18rocsparse_bfloat16S1_ffEEvbT_PT0_S4_jNS_24const_host_device_scalarIT4_EEPKS2_PKS3_PKT1_PKT2_S7_PT3_21rocsparse_index_base_b.kd
    .uniform_work_group_size: 1
    .uses_dynamic_stack: false
    .vgpr_count:     10
    .vgpr_spill_count: 0
    .wavefront_size: 32
    .workgroup_processor_mode: 1
  - .args:
      - .offset:         0
        .size:           1
        .value_kind:     by_value
      - .offset:         4
        .size:           4
        .value_kind:     by_value
      - .actual_access:  read_only
        .address_space:  global
        .offset:         8
        .size:           8
        .value_kind:     global_buffer
      - .actual_access:  read_only
        .address_space:  global
        .offset:         16
        .size:           8
        .value_kind:     global_buffer
      - .offset:         24
        .size:           4
        .value_kind:     by_value
      - .offset:         32
        .size:           8
        .value_kind:     by_value
      - .actual_access:  read_only
        .address_space:  global
        .offset:         40
        .size:           8
        .value_kind:     global_buffer
      - .actual_access:  read_only
        .address_space:  global
        .offset:         48
        .size:           8
        .value_kind:     global_buffer
      - .actual_access:  read_only
        .address_space:  global
        .offset:         56
        .size:           8
        .value_kind:     global_buffer
      - .actual_access:  read_only
        .address_space:  global
        .offset:         64
        .size:           8
        .value_kind:     global_buffer
      - .offset:         72
        .size:           8
        .value_kind:     by_value
      - .address_space:  global
        .offset:         80
        .size:           8
        .value_kind:     global_buffer
      - .offset:         88
        .size:           4
        .value_kind:     by_value
      - .offset:         92
        .size:           1
        .value_kind:     by_value
    .group_segment_fixed_size: 4096
    .kernarg_segment_align: 8
    .kernarg_segment_size: 96
    .language:       OpenCL C
    .language_version:
      - 2
      - 0
    .max_flat_workgroup_size: 256
    .name:           _ZN9rocsparseL30csrmvn_lrb_short_rows_2_kernelIii18rocsparse_bfloat16S1_ffEEvbT_PT0_S4_jNS_24const_host_device_scalarIT4_EEPKS2_PKS3_PKT1_PKT2_S7_PT3_21rocsparse_index_base_b
    .private_segment_fixed_size: 0
    .sgpr_count:     24
    .sgpr_spill_count: 0
    .symbol:         _ZN9rocsparseL30csrmvn_lrb_short_rows_2_kernelIii18rocsparse_bfloat16S1_ffEEvbT_PT0_S4_jNS_24const_host_device_scalarIT4_EEPKS2_PKS3_PKT1_PKT2_S7_PT3_21rocsparse_index_base_b.kd
    .uniform_work_group_size: 1
    .uses_dynamic_stack: false
    .vgpr_count:     8
    .vgpr_spill_count: 0
    .wavefront_size: 32
    .workgroup_processor_mode: 1
  - .args:
      - .offset:         0
        .size:           1
        .value_kind:     by_value
      - .offset:         4
        .size:           4
        .value_kind:     by_value
      - .offset:         8
        .size:           8
        .value_kind:     by_value
      - .actual_access:  read_only
        .address_space:  global
        .offset:         16
        .size:           8
        .value_kind:     global_buffer
      - .actual_access:  read_only
        .address_space:  global
        .offset:         24
        .size:           8
        .value_kind:     global_buffer
      - .offset:         32
        .size:           4
        .value_kind:     by_value
      - .offset:         40
        .size:           8
        .value_kind:     by_value
      - .actual_access:  read_only
        .address_space:  global
        .offset:         48
        .size:           8
        .value_kind:     global_buffer
      - .actual_access:  read_only
        .address_space:  global
        .offset:         56
        .size:           8
        .value_kind:     global_buffer
      - .actual_access:  read_only
        .address_space:  global
        .offset:         64
        .size:           8
        .value_kind:     global_buffer
      - .actual_access:  read_only
        .address_space:  global
        .offset:         72
        .size:           8
        .value_kind:     global_buffer
      - .offset:         80
        .size:           8
        .value_kind:     by_value
      - .address_space:  global
        .offset:         88
        .size:           8
        .value_kind:     global_buffer
      - .offset:         96
        .size:           4
        .value_kind:     by_value
      - .offset:         100
        .size:           1
        .value_kind:     by_value
    .group_segment_fixed_size: 0
    .kernarg_segment_align: 8
    .kernarg_segment_size: 104
    .language:       OpenCL C
    .language_version:
      - 2
      - 0
    .max_flat_workgroup_size: 256
    .name:           _ZN9rocsparseL41csrmvn_lrb_medium_rows_warp_reduce_kernelILj256ELj32Eii18rocsparse_bfloat16S1_ffEEvbT1_lPT2_S4_jNS_24const_host_device_scalarIT6_EEPKS2_PKS3_PKT3_PKT4_S7_PT5_21rocsparse_index_base_b
    .private_segment_fixed_size: 0
    .sgpr_count:     18
    .sgpr_spill_count: 0
    .symbol:         _ZN9rocsparseL41csrmvn_lrb_medium_rows_warp_reduce_kernelILj256ELj32Eii18rocsparse_bfloat16S1_ffEEvbT1_lPT2_S4_jNS_24const_host_device_scalarIT6_EEPKS2_PKS3_PKT3_PKT4_S7_PT5_21rocsparse_index_base_b.kd
    .uniform_work_group_size: 1
    .uses_dynamic_stack: false
    .vgpr_count:     11
    .vgpr_spill_count: 0
    .wavefront_size: 32
    .workgroup_processor_mode: 1
  - .args:
      - .offset:         0
        .size:           1
        .value_kind:     by_value
      - .offset:         4
        .size:           4
        .value_kind:     by_value
      - .offset:         8
        .size:           8
        .value_kind:     by_value
      - .actual_access:  read_only
        .address_space:  global
        .offset:         16
        .size:           8
        .value_kind:     global_buffer
      - .actual_access:  read_only
        .address_space:  global
        .offset:         24
        .size:           8
        .value_kind:     global_buffer
      - .offset:         32
        .size:           4
        .value_kind:     by_value
      - .offset:         40
        .size:           8
        .value_kind:     by_value
      - .actual_access:  read_only
        .address_space:  global
        .offset:         48
        .size:           8
        .value_kind:     global_buffer
      - .actual_access:  read_only
        .address_space:  global
        .offset:         56
        .size:           8
        .value_kind:     global_buffer
      - .actual_access:  read_only
        .address_space:  global
        .offset:         64
        .size:           8
        .value_kind:     global_buffer
      - .actual_access:  read_only
        .address_space:  global
        .offset:         72
        .size:           8
        .value_kind:     global_buffer
      - .offset:         80
        .size:           8
        .value_kind:     by_value
      - .address_space:  global
        .offset:         88
        .size:           8
        .value_kind:     global_buffer
      - .offset:         96
        .size:           4
        .value_kind:     by_value
      - .offset:         100
        .size:           1
        .value_kind:     by_value
    .group_segment_fixed_size: 0
    .kernarg_segment_align: 8
    .kernarg_segment_size: 104
    .language:       OpenCL C
    .language_version:
      - 2
      - 0
    .max_flat_workgroup_size: 256
    .name:           _ZN9rocsparseL41csrmvn_lrb_medium_rows_warp_reduce_kernelILj256ELj64Eii18rocsparse_bfloat16S1_ffEEvbT1_lPT2_S4_jNS_24const_host_device_scalarIT6_EEPKS2_PKS3_PKT3_PKT4_S7_PT5_21rocsparse_index_base_b
    .private_segment_fixed_size: 0
    .sgpr_count:     18
    .sgpr_spill_count: 0
    .symbol:         _ZN9rocsparseL41csrmvn_lrb_medium_rows_warp_reduce_kernelILj256ELj64Eii18rocsparse_bfloat16S1_ffEEvbT1_lPT2_S4_jNS_24const_host_device_scalarIT6_EEPKS2_PKS3_PKT3_PKT4_S7_PT5_21rocsparse_index_base_b.kd
    .uniform_work_group_size: 1
    .uses_dynamic_stack: false
    .vgpr_count:     11
    .vgpr_spill_count: 0
    .wavefront_size: 32
    .workgroup_processor_mode: 1
  - .args:
      - .offset:         0
        .size:           1
        .value_kind:     by_value
      - .offset:         4
        .size:           4
        .value_kind:     by_value
      - .actual_access:  read_only
        .address_space:  global
        .offset:         8
        .size:           8
        .value_kind:     global_buffer
      - .actual_access:  read_only
        .address_space:  global
        .offset:         16
        .size:           8
        .value_kind:     global_buffer
      - .offset:         24
        .size:           4
        .value_kind:     by_value
      - .offset:         32
        .size:           8
        .value_kind:     by_value
      - .actual_access:  read_only
        .address_space:  global
        .offset:         40
        .size:           8
        .value_kind:     global_buffer
      - .actual_access:  read_only
        .address_space:  global
        .offset:         48
        .size:           8
        .value_kind:     global_buffer
      - .actual_access:  read_only
        .address_space:  global
        .offset:         56
        .size:           8
        .value_kind:     global_buffer
      - .actual_access:  read_only
        .address_space:  global
        .offset:         64
        .size:           8
        .value_kind:     global_buffer
      - .offset:         72
        .size:           8
        .value_kind:     by_value
      - .address_space:  global
        .offset:         80
        .size:           8
        .value_kind:     global_buffer
      - .offset:         88
        .size:           4
        .value_kind:     by_value
      - .offset:         92
        .size:           1
        .value_kind:     by_value
    .group_segment_fixed_size: 1024
    .kernarg_segment_align: 8
    .kernarg_segment_size: 96
    .language:       OpenCL C
    .language_version:
      - 2
      - 0
    .max_flat_workgroup_size: 256
    .name:           _ZN9rocsparseL29csrmvn_lrb_medium_rows_kernelILj256Eii18rocsparse_bfloat16S1_ffEEvbT0_PT1_S4_jNS_24const_host_device_scalarIT5_EEPKS2_PKS3_PKT2_PKT3_S7_PT4_21rocsparse_index_base_b
    .private_segment_fixed_size: 0
    .sgpr_count:     20
    .sgpr_spill_count: 0
    .symbol:         _ZN9rocsparseL29csrmvn_lrb_medium_rows_kernelILj256Eii18rocsparse_bfloat16S1_ffEEvbT0_PT1_S4_jNS_24const_host_device_scalarIT5_EEPKS2_PKS3_PKT2_PKT3_S7_PT4_21rocsparse_index_base_b.kd
    .uniform_work_group_size: 1
    .uses_dynamic_stack: false
    .vgpr_count:     8
    .vgpr_spill_count: 0
    .wavefront_size: 32
    .workgroup_processor_mode: 1
  - .args:
      - .offset:         0
        .size:           1
        .value_kind:     by_value
      - .offset:         4
        .size:           4
        .value_kind:     by_value
      - .address_space:  global
        .offset:         8
        .size:           8
        .value_kind:     global_buffer
      - .actual_access:  read_only
        .address_space:  global
        .offset:         16
        .size:           8
        .value_kind:     global_buffer
      - .actual_access:  read_only
        .address_space:  global
        .offset:         24
        .size:           8
        .value_kind:     global_buffer
      - .offset:         32
        .size:           4
        .value_kind:     by_value
      - .offset:         40
        .size:           8
        .value_kind:     by_value
      - .actual_access:  read_only
        .address_space:  global
        .offset:         48
        .size:           8
        .value_kind:     global_buffer
      - .actual_access:  read_only
        .address_space:  global
        .offset:         56
        .size:           8
        .value_kind:     global_buffer
      - .actual_access:  read_only
        .address_space:  global
        .offset:         64
        .size:           8
        .value_kind:     global_buffer
      - .actual_access:  read_only
        .address_space:  global
        .offset:         72
        .size:           8
        .value_kind:     global_buffer
      - .offset:         80
        .size:           8
        .value_kind:     by_value
      - .address_space:  global
        .offset:         88
        .size:           8
        .value_kind:     global_buffer
      - .offset:         96
        .size:           4
        .value_kind:     by_value
      - .offset:         100
        .size:           1
        .value_kind:     by_value
    .group_segment_fixed_size: 1024
    .kernarg_segment_align: 8
    .kernarg_segment_size: 104
    .language:       OpenCL C
    .language_version:
      - 2
      - 0
    .max_flat_workgroup_size: 256
    .name:           _ZN9rocsparseL27csrmvn_lrb_long_rows_kernelIii18rocsparse_bfloat16S1_ffEEvbT_PjPT0_S5_jNS_24const_host_device_scalarIT4_EEPKS2_PKS4_PKT1_PKT2_S8_PT3_21rocsparse_index_base_b
    .private_segment_fixed_size: 0
    .sgpr_count:     26
    .sgpr_spill_count: 0
    .symbol:         _ZN9rocsparseL27csrmvn_lrb_long_rows_kernelIii18rocsparse_bfloat16S1_ffEEvbT_PjPT0_S5_jNS_24const_host_device_scalarIT4_EEPKS2_PKS4_PKT1_PKT2_S8_PT3_21rocsparse_index_base_b.kd
    .uniform_work_group_size: 1
    .uses_dynamic_stack: false
    .vgpr_count:     8
    .vgpr_spill_count: 0
    .wavefront_size: 32
    .workgroup_processor_mode: 1
  - .args:
      - .offset:         0
        .size:           1
        .value_kind:     by_value
      - .offset:         8
        .size:           8
        .value_kind:     by_value
      - .actual_access:  read_only
        .address_space:  global
        .offset:         16
        .size:           8
        .value_kind:     global_buffer
      - .actual_access:  read_only
        .address_space:  global
        .offset:         24
        .size:           8
        .value_kind:     global_buffer
      - .offset:         32
        .size:           4
        .value_kind:     by_value
      - .offset:         40
        .size:           8
        .value_kind:     by_value
      - .actual_access:  read_only
        .address_space:  global
        .offset:         48
        .size:           8
        .value_kind:     global_buffer
      - .actual_access:  read_only
        .address_space:  global
        .offset:         56
        .size:           8
        .value_kind:     global_buffer
      - .actual_access:  read_only
        .address_space:  global
        .offset:         64
        .size:           8
        .value_kind:     global_buffer
      - .actual_access:  read_only
        .address_space:  global
        .offset:         72
        .size:           8
        .value_kind:     global_buffer
      - .offset:         80
        .size:           8
        .value_kind:     by_value
      - .address_space:  global
        .offset:         88
        .size:           8
        .value_kind:     global_buffer
      - .offset:         96
        .size:           4
        .value_kind:     by_value
      - .offset:         100
        .size:           1
        .value_kind:     by_value
    .group_segment_fixed_size: 0
    .kernarg_segment_align: 8
    .kernarg_segment_size: 104
    .language:       OpenCL C
    .language_version:
      - 2
      - 0
    .max_flat_workgroup_size: 256
    .name:           _ZN9rocsparseL28csrmvn_lrb_short_rows_kernelIli18rocsparse_bfloat16S1_ffEEvbT_PT0_S4_jNS_24const_host_device_scalarIT4_EEPKS2_PKS3_PKT1_PKT2_S7_PT3_21rocsparse_index_base_b
    .private_segment_fixed_size: 0
    .sgpr_count:     26
    .sgpr_spill_count: 0
    .symbol:         _ZN9rocsparseL28csrmvn_lrb_short_rows_kernelIli18rocsparse_bfloat16S1_ffEEvbT_PT0_S4_jNS_24const_host_device_scalarIT4_EEPKS2_PKS3_PKT1_PKT2_S7_PT3_21rocsparse_index_base_b.kd
    .uniform_work_group_size: 1
    .uses_dynamic_stack: false
    .vgpr_count:     10
    .vgpr_spill_count: 0
    .wavefront_size: 32
    .workgroup_processor_mode: 1
  - .args:
      - .offset:         0
        .size:           1
        .value_kind:     by_value
      - .offset:         8
        .size:           8
        .value_kind:     by_value
      - .actual_access:  read_only
        .address_space:  global
        .offset:         16
        .size:           8
        .value_kind:     global_buffer
      - .actual_access:  read_only
        .address_space:  global
        .offset:         24
        .size:           8
        .value_kind:     global_buffer
      - .offset:         32
        .size:           4
        .value_kind:     by_value
      - .offset:         40
        .size:           8
        .value_kind:     by_value
      - .actual_access:  read_only
        .address_space:  global
        .offset:         48
        .size:           8
        .value_kind:     global_buffer
      - .actual_access:  read_only
        .address_space:  global
        .offset:         56
        .size:           8
        .value_kind:     global_buffer
      - .actual_access:  read_only
        .address_space:  global
        .offset:         64
        .size:           8
        .value_kind:     global_buffer
      - .actual_access:  read_only
        .address_space:  global
        .offset:         72
        .size:           8
        .value_kind:     global_buffer
      - .offset:         80
        .size:           8
        .value_kind:     by_value
      - .address_space:  global
        .offset:         88
        .size:           8
        .value_kind:     global_buffer
      - .offset:         96
        .size:           4
        .value_kind:     by_value
      - .offset:         100
        .size:           1
        .value_kind:     by_value
    .group_segment_fixed_size: 4096
    .kernarg_segment_align: 8
    .kernarg_segment_size: 104
    .language:       OpenCL C
    .language_version:
      - 2
      - 0
    .max_flat_workgroup_size: 256
    .name:           _ZN9rocsparseL30csrmvn_lrb_short_rows_2_kernelIli18rocsparse_bfloat16S1_ffEEvbT_PT0_S4_jNS_24const_host_device_scalarIT4_EEPKS2_PKS3_PKT1_PKT2_S7_PT3_21rocsparse_index_base_b
    .private_segment_fixed_size: 0
    .sgpr_count:     24
    .sgpr_spill_count: 0
    .symbol:         _ZN9rocsparseL30csrmvn_lrb_short_rows_2_kernelIli18rocsparse_bfloat16S1_ffEEvbT_PT0_S4_jNS_24const_host_device_scalarIT4_EEPKS2_PKS3_PKT1_PKT2_S7_PT3_21rocsparse_index_base_b.kd
    .uniform_work_group_size: 1
    .uses_dynamic_stack: false
    .vgpr_count:     9
    .vgpr_spill_count: 0
    .wavefront_size: 32
    .workgroup_processor_mode: 1
  - .args:
      - .offset:         0
        .size:           1
        .value_kind:     by_value
      - .offset:         8
        .size:           8
        .value_kind:     by_value
      - .offset:         16
        .size:           8
        .value_kind:     by_value
      - .actual_access:  read_only
        .address_space:  global
        .offset:         24
        .size:           8
        .value_kind:     global_buffer
      - .actual_access:  read_only
        .address_space:  global
        .offset:         32
        .size:           8
        .value_kind:     global_buffer
      - .offset:         40
        .size:           4
        .value_kind:     by_value
      - .offset:         48
        .size:           8
        .value_kind:     by_value
      - .actual_access:  read_only
        .address_space:  global
        .offset:         56
        .size:           8
        .value_kind:     global_buffer
      - .actual_access:  read_only
        .address_space:  global
        .offset:         64
        .size:           8
        .value_kind:     global_buffer
      - .actual_access:  read_only
        .address_space:  global
        .offset:         72
        .size:           8
        .value_kind:     global_buffer
      - .actual_access:  read_only
        .address_space:  global
        .offset:         80
        .size:           8
        .value_kind:     global_buffer
      - .offset:         88
        .size:           8
        .value_kind:     by_value
      - .address_space:  global
        .offset:         96
        .size:           8
        .value_kind:     global_buffer
      - .offset:         104
        .size:           4
        .value_kind:     by_value
      - .offset:         108
        .size:           1
        .value_kind:     by_value
    .group_segment_fixed_size: 0
    .kernarg_segment_align: 8
    .kernarg_segment_size: 112
    .language:       OpenCL C
    .language_version:
      - 2
      - 0
    .max_flat_workgroup_size: 256
    .name:           _ZN9rocsparseL41csrmvn_lrb_medium_rows_warp_reduce_kernelILj256ELj32Eli18rocsparse_bfloat16S1_ffEEvbT1_lPT2_S4_jNS_24const_host_device_scalarIT6_EEPKS2_PKS3_PKT3_PKT4_S7_PT5_21rocsparse_index_base_b
    .private_segment_fixed_size: 0
    .sgpr_count:     22
    .sgpr_spill_count: 0
    .symbol:         _ZN9rocsparseL41csrmvn_lrb_medium_rows_warp_reduce_kernelILj256ELj32Eli18rocsparse_bfloat16S1_ffEEvbT1_lPT2_S4_jNS_24const_host_device_scalarIT6_EEPKS2_PKS3_PKT3_PKT4_S7_PT5_21rocsparse_index_base_b.kd
    .uniform_work_group_size: 1
    .uses_dynamic_stack: false
    .vgpr_count:     15
    .vgpr_spill_count: 0
    .wavefront_size: 32
    .workgroup_processor_mode: 1
  - .args:
      - .offset:         0
        .size:           1
        .value_kind:     by_value
      - .offset:         8
        .size:           8
        .value_kind:     by_value
      - .offset:         16
        .size:           8
        .value_kind:     by_value
      - .actual_access:  read_only
        .address_space:  global
        .offset:         24
        .size:           8
        .value_kind:     global_buffer
      - .actual_access:  read_only
        .address_space:  global
        .offset:         32
        .size:           8
        .value_kind:     global_buffer
      - .offset:         40
        .size:           4
        .value_kind:     by_value
      - .offset:         48
        .size:           8
        .value_kind:     by_value
      - .actual_access:  read_only
        .address_space:  global
        .offset:         56
        .size:           8
        .value_kind:     global_buffer
      - .actual_access:  read_only
        .address_space:  global
        .offset:         64
        .size:           8
        .value_kind:     global_buffer
      - .actual_access:  read_only
        .address_space:  global
        .offset:         72
        .size:           8
        .value_kind:     global_buffer
      - .actual_access:  read_only
        .address_space:  global
        .offset:         80
        .size:           8
        .value_kind:     global_buffer
      - .offset:         88
        .size:           8
        .value_kind:     by_value
      - .address_space:  global
        .offset:         96
        .size:           8
        .value_kind:     global_buffer
      - .offset:         104
        .size:           4
        .value_kind:     by_value
      - .offset:         108
        .size:           1
        .value_kind:     by_value
    .group_segment_fixed_size: 0
    .kernarg_segment_align: 8
    .kernarg_segment_size: 112
    .language:       OpenCL C
    .language_version:
      - 2
      - 0
    .max_flat_workgroup_size: 256
    .name:           _ZN9rocsparseL41csrmvn_lrb_medium_rows_warp_reduce_kernelILj256ELj64Eli18rocsparse_bfloat16S1_ffEEvbT1_lPT2_S4_jNS_24const_host_device_scalarIT6_EEPKS2_PKS3_PKT3_PKT4_S7_PT5_21rocsparse_index_base_b
    .private_segment_fixed_size: 0
    .sgpr_count:     22
    .sgpr_spill_count: 0
    .symbol:         _ZN9rocsparseL41csrmvn_lrb_medium_rows_warp_reduce_kernelILj256ELj64Eli18rocsparse_bfloat16S1_ffEEvbT1_lPT2_S4_jNS_24const_host_device_scalarIT6_EEPKS2_PKS3_PKT3_PKT4_S7_PT5_21rocsparse_index_base_b.kd
    .uniform_work_group_size: 1
    .uses_dynamic_stack: false
    .vgpr_count:     15
    .vgpr_spill_count: 0
    .wavefront_size: 32
    .workgroup_processor_mode: 1
  - .args:
      - .offset:         0
        .size:           1
        .value_kind:     by_value
      - .offset:         8
        .size:           8
        .value_kind:     by_value
      - .actual_access:  read_only
        .address_space:  global
        .offset:         16
        .size:           8
        .value_kind:     global_buffer
      - .actual_access:  read_only
        .address_space:  global
        .offset:         24
        .size:           8
        .value_kind:     global_buffer
      - .offset:         32
        .size:           4
        .value_kind:     by_value
      - .offset:         40
        .size:           8
        .value_kind:     by_value
      - .actual_access:  read_only
        .address_space:  global
        .offset:         48
        .size:           8
        .value_kind:     global_buffer
      - .actual_access:  read_only
        .address_space:  global
        .offset:         56
        .size:           8
        .value_kind:     global_buffer
      - .actual_access:  read_only
        .address_space:  global
        .offset:         64
        .size:           8
        .value_kind:     global_buffer
      - .actual_access:  read_only
        .address_space:  global
        .offset:         72
        .size:           8
        .value_kind:     global_buffer
      - .offset:         80
        .size:           8
        .value_kind:     by_value
      - .address_space:  global
        .offset:         88
        .size:           8
        .value_kind:     global_buffer
      - .offset:         96
        .size:           4
        .value_kind:     by_value
      - .offset:         100
        .size:           1
        .value_kind:     by_value
    .group_segment_fixed_size: 1024
    .kernarg_segment_align: 8
    .kernarg_segment_size: 104
    .language:       OpenCL C
    .language_version:
      - 2
      - 0
    .max_flat_workgroup_size: 256
    .name:           _ZN9rocsparseL29csrmvn_lrb_medium_rows_kernelILj256Eli18rocsparse_bfloat16S1_ffEEvbT0_PT1_S4_jNS_24const_host_device_scalarIT5_EEPKS2_PKS3_PKT2_PKT3_S7_PT4_21rocsparse_index_base_b
    .private_segment_fixed_size: 0
    .sgpr_count:     22
    .sgpr_spill_count: 0
    .symbol:         _ZN9rocsparseL29csrmvn_lrb_medium_rows_kernelILj256Eli18rocsparse_bfloat16S1_ffEEvbT0_PT1_S4_jNS_24const_host_device_scalarIT5_EEPKS2_PKS3_PKT2_PKT3_S7_PT4_21rocsparse_index_base_b.kd
    .uniform_work_group_size: 1
    .uses_dynamic_stack: false
    .vgpr_count:     11
    .vgpr_spill_count: 0
    .wavefront_size: 32
    .workgroup_processor_mode: 1
  - .args:
      - .offset:         0
        .size:           1
        .value_kind:     by_value
      - .offset:         8
        .size:           8
        .value_kind:     by_value
      - .address_space:  global
        .offset:         16
        .size:           8
        .value_kind:     global_buffer
      - .actual_access:  read_only
        .address_space:  global
        .offset:         24
        .size:           8
        .value_kind:     global_buffer
      - .actual_access:  read_only
        .address_space:  global
        .offset:         32
        .size:           8
        .value_kind:     global_buffer
      - .offset:         40
        .size:           4
        .value_kind:     by_value
      - .offset:         48
        .size:           8
        .value_kind:     by_value
      - .actual_access:  read_only
        .address_space:  global
        .offset:         56
        .size:           8
        .value_kind:     global_buffer
      - .actual_access:  read_only
        .address_space:  global
        .offset:         64
        .size:           8
        .value_kind:     global_buffer
      - .actual_access:  read_only
        .address_space:  global
        .offset:         72
        .size:           8
        .value_kind:     global_buffer
      - .actual_access:  read_only
        .address_space:  global
        .offset:         80
        .size:           8
        .value_kind:     global_buffer
      - .offset:         88
        .size:           8
        .value_kind:     by_value
      - .address_space:  global
        .offset:         96
        .size:           8
        .value_kind:     global_buffer
      - .offset:         104
        .size:           4
        .value_kind:     by_value
      - .offset:         108
        .size:           1
        .value_kind:     by_value
    .group_segment_fixed_size: 1024
    .kernarg_segment_align: 8
    .kernarg_segment_size: 112
    .language:       OpenCL C
    .language_version:
      - 2
      - 0
    .max_flat_workgroup_size: 256
    .name:           _ZN9rocsparseL27csrmvn_lrb_long_rows_kernelIli18rocsparse_bfloat16S1_ffEEvbT_PjPT0_S5_jNS_24const_host_device_scalarIT4_EEPKS2_PKS4_PKT1_PKT2_S8_PT3_21rocsparse_index_base_b
    .private_segment_fixed_size: 0
    .sgpr_count:     30
    .sgpr_spill_count: 0
    .symbol:         _ZN9rocsparseL27csrmvn_lrb_long_rows_kernelIli18rocsparse_bfloat16S1_ffEEvbT_PjPT0_S5_jNS_24const_host_device_scalarIT4_EEPKS2_PKS4_PKT1_PKT2_S8_PT3_21rocsparse_index_base_b.kd
    .uniform_work_group_size: 1
    .uses_dynamic_stack: false
    .vgpr_count:     11
    .vgpr_spill_count: 0
    .wavefront_size: 32
    .workgroup_processor_mode: 1
  - .args:
      - .offset:         0
        .size:           1
        .value_kind:     by_value
      - .offset:         8
        .size:           8
        .value_kind:     by_value
      - .actual_access:  read_only
        .address_space:  global
        .offset:         16
        .size:           8
        .value_kind:     global_buffer
      - .actual_access:  read_only
        .address_space:  global
        .offset:         24
        .size:           8
        .value_kind:     global_buffer
      - .offset:         32
        .size:           4
        .value_kind:     by_value
      - .offset:         40
        .size:           8
        .value_kind:     by_value
      - .actual_access:  read_only
        .address_space:  global
        .offset:         48
        .size:           8
        .value_kind:     global_buffer
      - .actual_access:  read_only
        .address_space:  global
        .offset:         56
        .size:           8
        .value_kind:     global_buffer
      - .actual_access:  read_only
        .address_space:  global
        .offset:         64
        .size:           8
        .value_kind:     global_buffer
      - .actual_access:  read_only
        .address_space:  global
        .offset:         72
        .size:           8
        .value_kind:     global_buffer
      - .offset:         80
        .size:           8
        .value_kind:     by_value
      - .address_space:  global
        .offset:         88
        .size:           8
        .value_kind:     global_buffer
      - .offset:         96
        .size:           4
        .value_kind:     by_value
      - .offset:         100
        .size:           1
        .value_kind:     by_value
    .group_segment_fixed_size: 0
    .kernarg_segment_align: 8
    .kernarg_segment_size: 104
    .language:       OpenCL C
    .language_version:
      - 2
      - 0
    .max_flat_workgroup_size: 256
    .name:           _ZN9rocsparseL28csrmvn_lrb_short_rows_kernelIll18rocsparse_bfloat16S1_ffEEvbT_PT0_S4_jNS_24const_host_device_scalarIT4_EEPKS2_PKS3_PKT1_PKT2_S7_PT3_21rocsparse_index_base_b
    .private_segment_fixed_size: 0
    .sgpr_count:     28
    .sgpr_spill_count: 0
    .symbol:         _ZN9rocsparseL28csrmvn_lrb_short_rows_kernelIll18rocsparse_bfloat16S1_ffEEvbT_PT0_S4_jNS_24const_host_device_scalarIT4_EEPKS2_PKS3_PKT1_PKT2_S7_PT3_21rocsparse_index_base_b.kd
    .uniform_work_group_size: 1
    .uses_dynamic_stack: false
    .vgpr_count:     10
    .vgpr_spill_count: 0
    .wavefront_size: 32
    .workgroup_processor_mode: 1
  - .args:
      - .offset:         0
        .size:           1
        .value_kind:     by_value
      - .offset:         8
        .size:           8
        .value_kind:     by_value
      - .actual_access:  read_only
        .address_space:  global
        .offset:         16
        .size:           8
        .value_kind:     global_buffer
      - .actual_access:  read_only
        .address_space:  global
        .offset:         24
        .size:           8
        .value_kind:     global_buffer
      - .offset:         32
        .size:           4
        .value_kind:     by_value
      - .offset:         40
        .size:           8
        .value_kind:     by_value
      - .actual_access:  read_only
        .address_space:  global
        .offset:         48
        .size:           8
        .value_kind:     global_buffer
      - .actual_access:  read_only
        .address_space:  global
        .offset:         56
        .size:           8
        .value_kind:     global_buffer
      - .actual_access:  read_only
        .address_space:  global
        .offset:         64
        .size:           8
        .value_kind:     global_buffer
      - .actual_access:  read_only
        .address_space:  global
        .offset:         72
        .size:           8
        .value_kind:     global_buffer
      - .offset:         80
        .size:           8
        .value_kind:     by_value
      - .address_space:  global
        .offset:         88
        .size:           8
        .value_kind:     global_buffer
      - .offset:         96
        .size:           4
        .value_kind:     by_value
      - .offset:         100
        .size:           1
        .value_kind:     by_value
    .group_segment_fixed_size: 4096
    .kernarg_segment_align: 8
    .kernarg_segment_size: 104
    .language:       OpenCL C
    .language_version:
      - 2
      - 0
    .max_flat_workgroup_size: 256
    .name:           _ZN9rocsparseL30csrmvn_lrb_short_rows_2_kernelIll18rocsparse_bfloat16S1_ffEEvbT_PT0_S4_jNS_24const_host_device_scalarIT4_EEPKS2_PKS3_PKT1_PKT2_S7_PT3_21rocsparse_index_base_b
    .private_segment_fixed_size: 0
    .sgpr_count:     26
    .sgpr_spill_count: 0
    .symbol:         _ZN9rocsparseL30csrmvn_lrb_short_rows_2_kernelIll18rocsparse_bfloat16S1_ffEEvbT_PT0_S4_jNS_24const_host_device_scalarIT4_EEPKS2_PKS3_PKT1_PKT2_S7_PT3_21rocsparse_index_base_b.kd
    .uniform_work_group_size: 1
    .uses_dynamic_stack: false
    .vgpr_count:     9
    .vgpr_spill_count: 0
    .wavefront_size: 32
    .workgroup_processor_mode: 1
  - .args:
      - .offset:         0
        .size:           1
        .value_kind:     by_value
      - .offset:         8
        .size:           8
        .value_kind:     by_value
      - .offset:         16
        .size:           8
        .value_kind:     by_value
      - .actual_access:  read_only
        .address_space:  global
        .offset:         24
        .size:           8
        .value_kind:     global_buffer
      - .actual_access:  read_only
        .address_space:  global
        .offset:         32
        .size:           8
        .value_kind:     global_buffer
      - .offset:         40
        .size:           4
        .value_kind:     by_value
      - .offset:         48
        .size:           8
        .value_kind:     by_value
      - .actual_access:  read_only
        .address_space:  global
        .offset:         56
        .size:           8
        .value_kind:     global_buffer
      - .actual_access:  read_only
        .address_space:  global
        .offset:         64
        .size:           8
        .value_kind:     global_buffer
      - .actual_access:  read_only
        .address_space:  global
        .offset:         72
        .size:           8
        .value_kind:     global_buffer
      - .actual_access:  read_only
        .address_space:  global
        .offset:         80
        .size:           8
        .value_kind:     global_buffer
      - .offset:         88
        .size:           8
        .value_kind:     by_value
      - .address_space:  global
        .offset:         96
        .size:           8
        .value_kind:     global_buffer
      - .offset:         104
        .size:           4
        .value_kind:     by_value
      - .offset:         108
        .size:           1
        .value_kind:     by_value
    .group_segment_fixed_size: 0
    .kernarg_segment_align: 8
    .kernarg_segment_size: 112
    .language:       OpenCL C
    .language_version:
      - 2
      - 0
    .max_flat_workgroup_size: 256
    .name:           _ZN9rocsparseL41csrmvn_lrb_medium_rows_warp_reduce_kernelILj256ELj32Ell18rocsparse_bfloat16S1_ffEEvbT1_lPT2_S4_jNS_24const_host_device_scalarIT6_EEPKS2_PKS3_PKT3_PKT4_S7_PT5_21rocsparse_index_base_b
    .private_segment_fixed_size: 0
    .sgpr_count:     22
    .sgpr_spill_count: 0
    .symbol:         _ZN9rocsparseL41csrmvn_lrb_medium_rows_warp_reduce_kernelILj256ELj32Ell18rocsparse_bfloat16S1_ffEEvbT1_lPT2_S4_jNS_24const_host_device_scalarIT6_EEPKS2_PKS3_PKT3_PKT4_S7_PT5_21rocsparse_index_base_b.kd
    .uniform_work_group_size: 1
    .uses_dynamic_stack: false
    .vgpr_count:     15
    .vgpr_spill_count: 0
    .wavefront_size: 32
    .workgroup_processor_mode: 1
  - .args:
      - .offset:         0
        .size:           1
        .value_kind:     by_value
      - .offset:         8
        .size:           8
        .value_kind:     by_value
      - .offset:         16
        .size:           8
        .value_kind:     by_value
      - .actual_access:  read_only
        .address_space:  global
        .offset:         24
        .size:           8
        .value_kind:     global_buffer
      - .actual_access:  read_only
        .address_space:  global
        .offset:         32
        .size:           8
        .value_kind:     global_buffer
      - .offset:         40
        .size:           4
        .value_kind:     by_value
      - .offset:         48
        .size:           8
        .value_kind:     by_value
      - .actual_access:  read_only
        .address_space:  global
        .offset:         56
        .size:           8
        .value_kind:     global_buffer
      - .actual_access:  read_only
        .address_space:  global
        .offset:         64
        .size:           8
        .value_kind:     global_buffer
      - .actual_access:  read_only
        .address_space:  global
        .offset:         72
        .size:           8
        .value_kind:     global_buffer
      - .actual_access:  read_only
        .address_space:  global
        .offset:         80
        .size:           8
        .value_kind:     global_buffer
      - .offset:         88
        .size:           8
        .value_kind:     by_value
      - .address_space:  global
        .offset:         96
        .size:           8
        .value_kind:     global_buffer
      - .offset:         104
        .size:           4
        .value_kind:     by_value
      - .offset:         108
        .size:           1
        .value_kind:     by_value
    .group_segment_fixed_size: 0
    .kernarg_segment_align: 8
    .kernarg_segment_size: 112
    .language:       OpenCL C
    .language_version:
      - 2
      - 0
    .max_flat_workgroup_size: 256
    .name:           _ZN9rocsparseL41csrmvn_lrb_medium_rows_warp_reduce_kernelILj256ELj64Ell18rocsparse_bfloat16S1_ffEEvbT1_lPT2_S4_jNS_24const_host_device_scalarIT6_EEPKS2_PKS3_PKT3_PKT4_S7_PT5_21rocsparse_index_base_b
    .private_segment_fixed_size: 0
    .sgpr_count:     22
    .sgpr_spill_count: 0
    .symbol:         _ZN9rocsparseL41csrmvn_lrb_medium_rows_warp_reduce_kernelILj256ELj64Ell18rocsparse_bfloat16S1_ffEEvbT1_lPT2_S4_jNS_24const_host_device_scalarIT6_EEPKS2_PKS3_PKT3_PKT4_S7_PT5_21rocsparse_index_base_b.kd
    .uniform_work_group_size: 1
    .uses_dynamic_stack: false
    .vgpr_count:     15
    .vgpr_spill_count: 0
    .wavefront_size: 32
    .workgroup_processor_mode: 1
  - .args:
      - .offset:         0
        .size:           1
        .value_kind:     by_value
      - .offset:         8
        .size:           8
        .value_kind:     by_value
      - .actual_access:  read_only
        .address_space:  global
        .offset:         16
        .size:           8
        .value_kind:     global_buffer
      - .actual_access:  read_only
        .address_space:  global
        .offset:         24
        .size:           8
        .value_kind:     global_buffer
      - .offset:         32
        .size:           4
        .value_kind:     by_value
      - .offset:         40
        .size:           8
        .value_kind:     by_value
      - .actual_access:  read_only
        .address_space:  global
        .offset:         48
        .size:           8
        .value_kind:     global_buffer
      - .actual_access:  read_only
        .address_space:  global
        .offset:         56
        .size:           8
        .value_kind:     global_buffer
      - .actual_access:  read_only
        .address_space:  global
        .offset:         64
        .size:           8
        .value_kind:     global_buffer
      - .actual_access:  read_only
        .address_space:  global
        .offset:         72
        .size:           8
        .value_kind:     global_buffer
      - .offset:         80
        .size:           8
        .value_kind:     by_value
      - .address_space:  global
        .offset:         88
        .size:           8
        .value_kind:     global_buffer
      - .offset:         96
        .size:           4
        .value_kind:     by_value
      - .offset:         100
        .size:           1
        .value_kind:     by_value
    .group_segment_fixed_size: 1024
    .kernarg_segment_align: 8
    .kernarg_segment_size: 104
    .language:       OpenCL C
    .language_version:
      - 2
      - 0
    .max_flat_workgroup_size: 256
    .name:           _ZN9rocsparseL29csrmvn_lrb_medium_rows_kernelILj256Ell18rocsparse_bfloat16S1_ffEEvbT0_PT1_S4_jNS_24const_host_device_scalarIT5_EEPKS2_PKS3_PKT2_PKT3_S7_PT4_21rocsparse_index_base_b
    .private_segment_fixed_size: 0
    .sgpr_count:     22
    .sgpr_spill_count: 0
    .symbol:         _ZN9rocsparseL29csrmvn_lrb_medium_rows_kernelILj256Ell18rocsparse_bfloat16S1_ffEEvbT0_PT1_S4_jNS_24const_host_device_scalarIT5_EEPKS2_PKS3_PKT2_PKT3_S7_PT4_21rocsparse_index_base_b.kd
    .uniform_work_group_size: 1
    .uses_dynamic_stack: false
    .vgpr_count:     11
    .vgpr_spill_count: 0
    .wavefront_size: 32
    .workgroup_processor_mode: 1
  - .args:
      - .offset:         0
        .size:           1
        .value_kind:     by_value
      - .offset:         8
        .size:           8
        .value_kind:     by_value
      - .address_space:  global
        .offset:         16
        .size:           8
        .value_kind:     global_buffer
      - .actual_access:  read_only
        .address_space:  global
        .offset:         24
        .size:           8
        .value_kind:     global_buffer
      - .actual_access:  read_only
        .address_space:  global
        .offset:         32
        .size:           8
        .value_kind:     global_buffer
      - .offset:         40
        .size:           4
        .value_kind:     by_value
      - .offset:         48
        .size:           8
        .value_kind:     by_value
      - .actual_access:  read_only
        .address_space:  global
        .offset:         56
        .size:           8
        .value_kind:     global_buffer
      - .actual_access:  read_only
        .address_space:  global
        .offset:         64
        .size:           8
        .value_kind:     global_buffer
      - .actual_access:  read_only
        .address_space:  global
        .offset:         72
        .size:           8
        .value_kind:     global_buffer
      - .actual_access:  read_only
        .address_space:  global
        .offset:         80
        .size:           8
        .value_kind:     global_buffer
      - .offset:         88
        .size:           8
        .value_kind:     by_value
      - .address_space:  global
        .offset:         96
        .size:           8
        .value_kind:     global_buffer
      - .offset:         104
        .size:           4
        .value_kind:     by_value
      - .offset:         108
        .size:           1
        .value_kind:     by_value
    .group_segment_fixed_size: 1024
    .kernarg_segment_align: 8
    .kernarg_segment_size: 112
    .language:       OpenCL C
    .language_version:
      - 2
      - 0
    .max_flat_workgroup_size: 256
    .name:           _ZN9rocsparseL27csrmvn_lrb_long_rows_kernelIll18rocsparse_bfloat16S1_ffEEvbT_PjPT0_S5_jNS_24const_host_device_scalarIT4_EEPKS2_PKS4_PKT1_PKT2_S8_PT3_21rocsparse_index_base_b
    .private_segment_fixed_size: 0
    .sgpr_count:     30
    .sgpr_spill_count: 0
    .symbol:         _ZN9rocsparseL27csrmvn_lrb_long_rows_kernelIll18rocsparse_bfloat16S1_ffEEvbT_PjPT0_S5_jNS_24const_host_device_scalarIT4_EEPKS2_PKS4_PKT1_PKT2_S8_PT3_21rocsparse_index_base_b.kd
    .uniform_work_group_size: 1
    .uses_dynamic_stack: false
    .vgpr_count:     11
    .vgpr_spill_count: 0
    .wavefront_size: 32
    .workgroup_processor_mode: 1
  - .args:
      - .offset:         0
        .size:           1
        .value_kind:     by_value
      - .offset:         4
        .size:           4
        .value_kind:     by_value
      - .actual_access:  read_only
        .address_space:  global
        .offset:         8
        .size:           8
        .value_kind:     global_buffer
      - .actual_access:  read_only
        .address_space:  global
        .offset:         16
        .size:           8
        .value_kind:     global_buffer
      - .offset:         24
        .size:           4
        .value_kind:     by_value
      - .offset:         32
        .size:           8
        .value_kind:     by_value
      - .actual_access:  read_only
        .address_space:  global
        .offset:         40
        .size:           8
        .value_kind:     global_buffer
      - .actual_access:  read_only
        .address_space:  global
        .offset:         48
        .size:           8
        .value_kind:     global_buffer
      - .actual_access:  read_only
        .address_space:  global
        .offset:         56
        .size:           8
        .value_kind:     global_buffer
      - .actual_access:  read_only
        .address_space:  global
        .offset:         64
        .size:           8
        .value_kind:     global_buffer
      - .offset:         72
        .size:           8
        .value_kind:     by_value
      - .address_space:  global
        .offset:         80
        .size:           8
        .value_kind:     global_buffer
      - .offset:         88
        .size:           4
        .value_kind:     by_value
      - .offset:         92
        .size:           1
        .value_kind:     by_value
    .group_segment_fixed_size: 0
    .kernarg_segment_align: 8
    .kernarg_segment_size: 96
    .language:       OpenCL C
    .language_version:
      - 2
      - 0
    .max_flat_workgroup_size: 256
    .name:           _ZN9rocsparseL28csrmvn_lrb_short_rows_kernelIiif21rocsparse_complex_numIfES2_S2_EEvbT_PT0_S5_jNS_24const_host_device_scalarIT4_EEPKS3_PKS4_PKT1_PKT2_S8_PT3_21rocsparse_index_base_b
    .private_segment_fixed_size: 0
    .sgpr_count:     23
    .sgpr_spill_count: 0
    .symbol:         _ZN9rocsparseL28csrmvn_lrb_short_rows_kernelIiif21rocsparse_complex_numIfES2_S2_EEvbT_PT0_S5_jNS_24const_host_device_scalarIT4_EEPKS3_PKS4_PKT1_PKT2_S8_PT3_21rocsparse_index_base_b.kd
    .uniform_work_group_size: 1
    .uses_dynamic_stack: false
    .vgpr_count:     16
    .vgpr_spill_count: 0
    .wavefront_size: 32
    .workgroup_processor_mode: 1
  - .args:
      - .offset:         0
        .size:           1
        .value_kind:     by_value
      - .offset:         4
        .size:           4
        .value_kind:     by_value
      - .actual_access:  read_only
        .address_space:  global
        .offset:         8
        .size:           8
        .value_kind:     global_buffer
      - .actual_access:  read_only
        .address_space:  global
        .offset:         16
        .size:           8
        .value_kind:     global_buffer
      - .offset:         24
        .size:           4
        .value_kind:     by_value
      - .offset:         32
        .size:           8
        .value_kind:     by_value
      - .actual_access:  read_only
        .address_space:  global
        .offset:         40
        .size:           8
        .value_kind:     global_buffer
      - .actual_access:  read_only
        .address_space:  global
        .offset:         48
        .size:           8
        .value_kind:     global_buffer
      - .actual_access:  read_only
        .address_space:  global
        .offset:         56
        .size:           8
        .value_kind:     global_buffer
      - .actual_access:  read_only
        .address_space:  global
        .offset:         64
        .size:           8
        .value_kind:     global_buffer
      - .offset:         72
        .size:           8
        .value_kind:     by_value
      - .address_space:  global
        .offset:         80
        .size:           8
        .value_kind:     global_buffer
      - .offset:         88
        .size:           4
        .value_kind:     by_value
      - .offset:         92
        .size:           1
        .value_kind:     by_value
    .group_segment_fixed_size: 8192
    .kernarg_segment_align: 8
    .kernarg_segment_size: 96
    .language:       OpenCL C
    .language_version:
      - 2
      - 0
    .max_flat_workgroup_size: 256
    .name:           _ZN9rocsparseL30csrmvn_lrb_short_rows_2_kernelIiif21rocsparse_complex_numIfES2_S2_EEvbT_PT0_S5_jNS_24const_host_device_scalarIT4_EEPKS3_PKS4_PKT1_PKT2_S8_PT3_21rocsparse_index_base_b
    .private_segment_fixed_size: 0
    .sgpr_count:     22
    .sgpr_spill_count: 0
    .symbol:         _ZN9rocsparseL30csrmvn_lrb_short_rows_2_kernelIiif21rocsparse_complex_numIfES2_S2_EEvbT_PT0_S5_jNS_24const_host_device_scalarIT4_EEPKS3_PKS4_PKT1_PKT2_S8_PT3_21rocsparse_index_base_b.kd
    .uniform_work_group_size: 1
    .uses_dynamic_stack: false
    .vgpr_count:     15
    .vgpr_spill_count: 0
    .wavefront_size: 32
    .workgroup_processor_mode: 1
  - .args:
      - .offset:         0
        .size:           1
        .value_kind:     by_value
      - .offset:         4
        .size:           4
        .value_kind:     by_value
      - .offset:         8
        .size:           8
        .value_kind:     by_value
      - .actual_access:  read_only
        .address_space:  global
        .offset:         16
        .size:           8
        .value_kind:     global_buffer
      - .actual_access:  read_only
        .address_space:  global
        .offset:         24
        .size:           8
        .value_kind:     global_buffer
      - .offset:         32
        .size:           4
        .value_kind:     by_value
      - .offset:         40
        .size:           8
        .value_kind:     by_value
      - .actual_access:  read_only
        .address_space:  global
        .offset:         48
        .size:           8
        .value_kind:     global_buffer
      - .actual_access:  read_only
        .address_space:  global
        .offset:         56
        .size:           8
        .value_kind:     global_buffer
      - .actual_access:  read_only
        .address_space:  global
        .offset:         64
        .size:           8
        .value_kind:     global_buffer
      - .actual_access:  read_only
        .address_space:  global
        .offset:         72
        .size:           8
        .value_kind:     global_buffer
      - .offset:         80
        .size:           8
        .value_kind:     by_value
      - .address_space:  global
        .offset:         88
        .size:           8
        .value_kind:     global_buffer
      - .offset:         96
        .size:           4
        .value_kind:     by_value
      - .offset:         100
        .size:           1
        .value_kind:     by_value
    .group_segment_fixed_size: 0
    .kernarg_segment_align: 8
    .kernarg_segment_size: 104
    .language:       OpenCL C
    .language_version:
      - 2
      - 0
    .max_flat_workgroup_size: 256
    .name:           _ZN9rocsparseL41csrmvn_lrb_medium_rows_warp_reduce_kernelILj256ELj32Eiif21rocsparse_complex_numIfES2_S2_EEvbT1_lPT2_S5_jNS_24const_host_device_scalarIT6_EEPKS3_PKS4_PKT3_PKT4_S8_PT5_21rocsparse_index_base_b
    .private_segment_fixed_size: 0
    .sgpr_count:     18
    .sgpr_spill_count: 0
    .symbol:         _ZN9rocsparseL41csrmvn_lrb_medium_rows_warp_reduce_kernelILj256ELj32Eiif21rocsparse_complex_numIfES2_S2_EEvbT1_lPT2_S5_jNS_24const_host_device_scalarIT6_EEPKS3_PKS4_PKT3_PKT4_S8_PT5_21rocsparse_index_base_b.kd
    .uniform_work_group_size: 1
    .uses_dynamic_stack: false
    .vgpr_count:     18
    .vgpr_spill_count: 0
    .wavefront_size: 32
    .workgroup_processor_mode: 1
  - .args:
      - .offset:         0
        .size:           1
        .value_kind:     by_value
      - .offset:         4
        .size:           4
        .value_kind:     by_value
      - .offset:         8
        .size:           8
        .value_kind:     by_value
      - .actual_access:  read_only
        .address_space:  global
        .offset:         16
        .size:           8
        .value_kind:     global_buffer
      - .actual_access:  read_only
        .address_space:  global
        .offset:         24
        .size:           8
        .value_kind:     global_buffer
      - .offset:         32
        .size:           4
        .value_kind:     by_value
      - .offset:         40
        .size:           8
        .value_kind:     by_value
      - .actual_access:  read_only
        .address_space:  global
        .offset:         48
        .size:           8
        .value_kind:     global_buffer
      - .actual_access:  read_only
        .address_space:  global
        .offset:         56
        .size:           8
        .value_kind:     global_buffer
      - .actual_access:  read_only
        .address_space:  global
        .offset:         64
        .size:           8
        .value_kind:     global_buffer
      - .actual_access:  read_only
        .address_space:  global
        .offset:         72
        .size:           8
        .value_kind:     global_buffer
      - .offset:         80
        .size:           8
        .value_kind:     by_value
      - .address_space:  global
        .offset:         88
        .size:           8
        .value_kind:     global_buffer
      - .offset:         96
        .size:           4
        .value_kind:     by_value
      - .offset:         100
        .size:           1
        .value_kind:     by_value
    .group_segment_fixed_size: 0
    .kernarg_segment_align: 8
    .kernarg_segment_size: 104
    .language:       OpenCL C
    .language_version:
      - 2
      - 0
    .max_flat_workgroup_size: 256
    .name:           _ZN9rocsparseL41csrmvn_lrb_medium_rows_warp_reduce_kernelILj256ELj64Eiif21rocsparse_complex_numIfES2_S2_EEvbT1_lPT2_S5_jNS_24const_host_device_scalarIT6_EEPKS3_PKS4_PKT3_PKT4_S8_PT5_21rocsparse_index_base_b
    .private_segment_fixed_size: 0
    .sgpr_count:     18
    .sgpr_spill_count: 0
    .symbol:         _ZN9rocsparseL41csrmvn_lrb_medium_rows_warp_reduce_kernelILj256ELj64Eiif21rocsparse_complex_numIfES2_S2_EEvbT1_lPT2_S5_jNS_24const_host_device_scalarIT6_EEPKS3_PKS4_PKT3_PKT4_S8_PT5_21rocsparse_index_base_b.kd
    .uniform_work_group_size: 1
    .uses_dynamic_stack: false
    .vgpr_count:     18
    .vgpr_spill_count: 0
    .wavefront_size: 32
    .workgroup_processor_mode: 1
  - .args:
      - .offset:         0
        .size:           1
        .value_kind:     by_value
      - .offset:         4
        .size:           4
        .value_kind:     by_value
      - .actual_access:  read_only
        .address_space:  global
        .offset:         8
        .size:           8
        .value_kind:     global_buffer
      - .actual_access:  read_only
        .address_space:  global
        .offset:         16
        .size:           8
        .value_kind:     global_buffer
      - .offset:         24
        .size:           4
        .value_kind:     by_value
      - .offset:         32
        .size:           8
        .value_kind:     by_value
      - .actual_access:  read_only
        .address_space:  global
        .offset:         40
        .size:           8
        .value_kind:     global_buffer
      - .actual_access:  read_only
        .address_space:  global
        .offset:         48
        .size:           8
        .value_kind:     global_buffer
      - .actual_access:  read_only
        .address_space:  global
        .offset:         56
        .size:           8
        .value_kind:     global_buffer
      - .actual_access:  read_only
        .address_space:  global
        .offset:         64
        .size:           8
        .value_kind:     global_buffer
      - .offset:         72
        .size:           8
        .value_kind:     by_value
      - .address_space:  global
        .offset:         80
        .size:           8
        .value_kind:     global_buffer
      - .offset:         88
        .size:           4
        .value_kind:     by_value
      - .offset:         92
        .size:           1
        .value_kind:     by_value
    .group_segment_fixed_size: 2048
    .kernarg_segment_align: 8
    .kernarg_segment_size: 96
    .language:       OpenCL C
    .language_version:
      - 2
      - 0
    .max_flat_workgroup_size: 256
    .name:           _ZN9rocsparseL29csrmvn_lrb_medium_rows_kernelILj256Eiif21rocsparse_complex_numIfES2_S2_EEvbT0_PT1_S5_jNS_24const_host_device_scalarIT5_EEPKS3_PKS4_PKT2_PKT3_S8_PT4_21rocsparse_index_base_b
    .private_segment_fixed_size: 0
    .sgpr_count:     18
    .sgpr_spill_count: 0
    .symbol:         _ZN9rocsparseL29csrmvn_lrb_medium_rows_kernelILj256Eiif21rocsparse_complex_numIfES2_S2_EEvbT0_PT1_S5_jNS_24const_host_device_scalarIT5_EEPKS3_PKS4_PKT2_PKT3_S8_PT4_21rocsparse_index_base_b.kd
    .uniform_work_group_size: 1
    .uses_dynamic_stack: false
    .vgpr_count:     15
    .vgpr_spill_count: 0
    .wavefront_size: 32
    .workgroup_processor_mode: 1
  - .args:
      - .offset:         0
        .size:           1
        .value_kind:     by_value
      - .offset:         4
        .size:           4
        .value_kind:     by_value
      - .address_space:  global
        .offset:         8
        .size:           8
        .value_kind:     global_buffer
      - .actual_access:  read_only
        .address_space:  global
        .offset:         16
        .size:           8
        .value_kind:     global_buffer
      - .actual_access:  read_only
        .address_space:  global
        .offset:         24
        .size:           8
        .value_kind:     global_buffer
      - .offset:         32
        .size:           4
        .value_kind:     by_value
      - .offset:         40
        .size:           8
        .value_kind:     by_value
      - .actual_access:  read_only
        .address_space:  global
        .offset:         48
        .size:           8
        .value_kind:     global_buffer
      - .actual_access:  read_only
        .address_space:  global
        .offset:         56
        .size:           8
        .value_kind:     global_buffer
      - .actual_access:  read_only
        .address_space:  global
        .offset:         64
        .size:           8
        .value_kind:     global_buffer
      - .actual_access:  read_only
        .address_space:  global
        .offset:         72
        .size:           8
        .value_kind:     global_buffer
      - .offset:         80
        .size:           8
        .value_kind:     by_value
      - .address_space:  global
        .offset:         88
        .size:           8
        .value_kind:     global_buffer
      - .offset:         96
        .size:           4
        .value_kind:     by_value
      - .offset:         100
        .size:           1
        .value_kind:     by_value
    .group_segment_fixed_size: 2048
    .kernarg_segment_align: 8
    .kernarg_segment_size: 104
    .language:       OpenCL C
    .language_version:
      - 2
      - 0
    .max_flat_workgroup_size: 256
    .name:           _ZN9rocsparseL27csrmvn_lrb_long_rows_kernelIiif21rocsparse_complex_numIfES2_S2_EEvbT_PjPT0_S6_jNS_24const_host_device_scalarIT4_EEPKS3_PKS5_PKT1_PKT2_S9_PT3_21rocsparse_index_base_b
    .private_segment_fixed_size: 0
    .sgpr_count:     26
    .sgpr_spill_count: 0
    .symbol:         _ZN9rocsparseL27csrmvn_lrb_long_rows_kernelIiif21rocsparse_complex_numIfES2_S2_EEvbT_PjPT0_S6_jNS_24const_host_device_scalarIT4_EEPKS3_PKS5_PKT1_PKT2_S9_PT3_21rocsparse_index_base_b.kd
    .uniform_work_group_size: 1
    .uses_dynamic_stack: false
    .vgpr_count:     13
    .vgpr_spill_count: 0
    .wavefront_size: 32
    .workgroup_processor_mode: 1
  - .args:
      - .offset:         0
        .size:           1
        .value_kind:     by_value
      - .offset:         8
        .size:           8
        .value_kind:     by_value
      - .actual_access:  read_only
        .address_space:  global
        .offset:         16
        .size:           8
        .value_kind:     global_buffer
      - .actual_access:  read_only
        .address_space:  global
        .offset:         24
        .size:           8
        .value_kind:     global_buffer
      - .offset:         32
        .size:           4
        .value_kind:     by_value
      - .offset:         40
        .size:           8
        .value_kind:     by_value
      - .actual_access:  read_only
        .address_space:  global
        .offset:         48
        .size:           8
        .value_kind:     global_buffer
      - .actual_access:  read_only
        .address_space:  global
        .offset:         56
        .size:           8
        .value_kind:     global_buffer
      - .actual_access:  read_only
        .address_space:  global
        .offset:         64
        .size:           8
        .value_kind:     global_buffer
      - .actual_access:  read_only
        .address_space:  global
        .offset:         72
        .size:           8
        .value_kind:     global_buffer
      - .offset:         80
        .size:           8
        .value_kind:     by_value
      - .address_space:  global
        .offset:         88
        .size:           8
        .value_kind:     global_buffer
      - .offset:         96
        .size:           4
        .value_kind:     by_value
      - .offset:         100
        .size:           1
        .value_kind:     by_value
    .group_segment_fixed_size: 0
    .kernarg_segment_align: 8
    .kernarg_segment_size: 104
    .language:       OpenCL C
    .language_version:
      - 2
      - 0
    .max_flat_workgroup_size: 256
    .name:           _ZN9rocsparseL28csrmvn_lrb_short_rows_kernelIlif21rocsparse_complex_numIfES2_S2_EEvbT_PT0_S5_jNS_24const_host_device_scalarIT4_EEPKS3_PKS4_PKT1_PKT2_S8_PT3_21rocsparse_index_base_b
    .private_segment_fixed_size: 0
    .sgpr_count:     23
    .sgpr_spill_count: 0
    .symbol:         _ZN9rocsparseL28csrmvn_lrb_short_rows_kernelIlif21rocsparse_complex_numIfES2_S2_EEvbT_PT0_S5_jNS_24const_host_device_scalarIT4_EEPKS3_PKS4_PKT1_PKT2_S8_PT3_21rocsparse_index_base_b.kd
    .uniform_work_group_size: 1
    .uses_dynamic_stack: false
    .vgpr_count:     16
    .vgpr_spill_count: 0
    .wavefront_size: 32
    .workgroup_processor_mode: 1
  - .args:
      - .offset:         0
        .size:           1
        .value_kind:     by_value
      - .offset:         8
        .size:           8
        .value_kind:     by_value
      - .actual_access:  read_only
        .address_space:  global
        .offset:         16
        .size:           8
        .value_kind:     global_buffer
      - .actual_access:  read_only
        .address_space:  global
        .offset:         24
        .size:           8
        .value_kind:     global_buffer
      - .offset:         32
        .size:           4
        .value_kind:     by_value
      - .offset:         40
        .size:           8
        .value_kind:     by_value
      - .actual_access:  read_only
        .address_space:  global
        .offset:         48
        .size:           8
        .value_kind:     global_buffer
      - .actual_access:  read_only
        .address_space:  global
        .offset:         56
        .size:           8
        .value_kind:     global_buffer
      - .actual_access:  read_only
        .address_space:  global
        .offset:         64
        .size:           8
        .value_kind:     global_buffer
      - .actual_access:  read_only
        .address_space:  global
        .offset:         72
        .size:           8
        .value_kind:     global_buffer
      - .offset:         80
        .size:           8
        .value_kind:     by_value
      - .address_space:  global
        .offset:         88
        .size:           8
        .value_kind:     global_buffer
      - .offset:         96
        .size:           4
        .value_kind:     by_value
      - .offset:         100
        .size:           1
        .value_kind:     by_value
    .group_segment_fixed_size: 8192
    .kernarg_segment_align: 8
    .kernarg_segment_size: 104
    .language:       OpenCL C
    .language_version:
      - 2
      - 0
    .max_flat_workgroup_size: 256
    .name:           _ZN9rocsparseL30csrmvn_lrb_short_rows_2_kernelIlif21rocsparse_complex_numIfES2_S2_EEvbT_PT0_S5_jNS_24const_host_device_scalarIT4_EEPKS3_PKS4_PKT1_PKT2_S8_PT3_21rocsparse_index_base_b
    .private_segment_fixed_size: 0
    .sgpr_count:     22
    .sgpr_spill_count: 0
    .symbol:         _ZN9rocsparseL30csrmvn_lrb_short_rows_2_kernelIlif21rocsparse_complex_numIfES2_S2_EEvbT_PT0_S5_jNS_24const_host_device_scalarIT4_EEPKS3_PKS4_PKT1_PKT2_S8_PT3_21rocsparse_index_base_b.kd
    .uniform_work_group_size: 1
    .uses_dynamic_stack: false
    .vgpr_count:     15
    .vgpr_spill_count: 0
    .wavefront_size: 32
    .workgroup_processor_mode: 1
  - .args:
      - .offset:         0
        .size:           1
        .value_kind:     by_value
      - .offset:         8
        .size:           8
        .value_kind:     by_value
      - .offset:         16
        .size:           8
        .value_kind:     by_value
      - .actual_access:  read_only
        .address_space:  global
        .offset:         24
        .size:           8
        .value_kind:     global_buffer
      - .actual_access:  read_only
        .address_space:  global
        .offset:         32
        .size:           8
        .value_kind:     global_buffer
      - .offset:         40
        .size:           4
        .value_kind:     by_value
      - .offset:         48
        .size:           8
        .value_kind:     by_value
      - .actual_access:  read_only
        .address_space:  global
        .offset:         56
        .size:           8
        .value_kind:     global_buffer
      - .actual_access:  read_only
        .address_space:  global
        .offset:         64
        .size:           8
        .value_kind:     global_buffer
      - .actual_access:  read_only
        .address_space:  global
        .offset:         72
        .size:           8
        .value_kind:     global_buffer
      - .actual_access:  read_only
        .address_space:  global
        .offset:         80
        .size:           8
        .value_kind:     global_buffer
      - .offset:         88
        .size:           8
        .value_kind:     by_value
      - .address_space:  global
        .offset:         96
        .size:           8
        .value_kind:     global_buffer
      - .offset:         104
        .size:           4
        .value_kind:     by_value
      - .offset:         108
        .size:           1
        .value_kind:     by_value
    .group_segment_fixed_size: 0
    .kernarg_segment_align: 8
    .kernarg_segment_size: 112
    .language:       OpenCL C
    .language_version:
      - 2
      - 0
    .max_flat_workgroup_size: 256
    .name:           _ZN9rocsparseL41csrmvn_lrb_medium_rows_warp_reduce_kernelILj256ELj32Elif21rocsparse_complex_numIfES2_S2_EEvbT1_lPT2_S5_jNS_24const_host_device_scalarIT6_EEPKS3_PKS4_PKT3_PKT4_S8_PT5_21rocsparse_index_base_b
    .private_segment_fixed_size: 0
    .sgpr_count:     18
    .sgpr_spill_count: 0
    .symbol:         _ZN9rocsparseL41csrmvn_lrb_medium_rows_warp_reduce_kernelILj256ELj32Elif21rocsparse_complex_numIfES2_S2_EEvbT1_lPT2_S5_jNS_24const_host_device_scalarIT6_EEPKS3_PKS4_PKT3_PKT4_S8_PT5_21rocsparse_index_base_b.kd
    .uniform_work_group_size: 1
    .uses_dynamic_stack: false
    .vgpr_count:     23
    .vgpr_spill_count: 0
    .wavefront_size: 32
    .workgroup_processor_mode: 1
  - .args:
      - .offset:         0
        .size:           1
        .value_kind:     by_value
      - .offset:         8
        .size:           8
        .value_kind:     by_value
      - .offset:         16
        .size:           8
        .value_kind:     by_value
      - .actual_access:  read_only
        .address_space:  global
        .offset:         24
        .size:           8
        .value_kind:     global_buffer
      - .actual_access:  read_only
        .address_space:  global
        .offset:         32
        .size:           8
        .value_kind:     global_buffer
      - .offset:         40
        .size:           4
        .value_kind:     by_value
      - .offset:         48
        .size:           8
        .value_kind:     by_value
      - .actual_access:  read_only
        .address_space:  global
        .offset:         56
        .size:           8
        .value_kind:     global_buffer
      - .actual_access:  read_only
        .address_space:  global
        .offset:         64
        .size:           8
        .value_kind:     global_buffer
      - .actual_access:  read_only
        .address_space:  global
        .offset:         72
        .size:           8
        .value_kind:     global_buffer
      - .actual_access:  read_only
        .address_space:  global
        .offset:         80
        .size:           8
        .value_kind:     global_buffer
      - .offset:         88
        .size:           8
        .value_kind:     by_value
      - .address_space:  global
        .offset:         96
        .size:           8
        .value_kind:     global_buffer
      - .offset:         104
        .size:           4
        .value_kind:     by_value
      - .offset:         108
        .size:           1
        .value_kind:     by_value
    .group_segment_fixed_size: 0
    .kernarg_segment_align: 8
    .kernarg_segment_size: 112
    .language:       OpenCL C
    .language_version:
      - 2
      - 0
    .max_flat_workgroup_size: 256
    .name:           _ZN9rocsparseL41csrmvn_lrb_medium_rows_warp_reduce_kernelILj256ELj64Elif21rocsparse_complex_numIfES2_S2_EEvbT1_lPT2_S5_jNS_24const_host_device_scalarIT6_EEPKS3_PKS4_PKT3_PKT4_S8_PT5_21rocsparse_index_base_b
    .private_segment_fixed_size: 0
    .sgpr_count:     18
    .sgpr_spill_count: 0
    .symbol:         _ZN9rocsparseL41csrmvn_lrb_medium_rows_warp_reduce_kernelILj256ELj64Elif21rocsparse_complex_numIfES2_S2_EEvbT1_lPT2_S5_jNS_24const_host_device_scalarIT6_EEPKS3_PKS4_PKT3_PKT4_S8_PT5_21rocsparse_index_base_b.kd
    .uniform_work_group_size: 1
    .uses_dynamic_stack: false
    .vgpr_count:     23
    .vgpr_spill_count: 0
    .wavefront_size: 32
    .workgroup_processor_mode: 1
  - .args:
      - .offset:         0
        .size:           1
        .value_kind:     by_value
      - .offset:         8
        .size:           8
        .value_kind:     by_value
      - .actual_access:  read_only
        .address_space:  global
        .offset:         16
        .size:           8
        .value_kind:     global_buffer
      - .actual_access:  read_only
        .address_space:  global
        .offset:         24
        .size:           8
        .value_kind:     global_buffer
      - .offset:         32
        .size:           4
        .value_kind:     by_value
      - .offset:         40
        .size:           8
        .value_kind:     by_value
      - .actual_access:  read_only
        .address_space:  global
        .offset:         48
        .size:           8
        .value_kind:     global_buffer
      - .actual_access:  read_only
        .address_space:  global
        .offset:         56
        .size:           8
        .value_kind:     global_buffer
      - .actual_access:  read_only
        .address_space:  global
        .offset:         64
        .size:           8
        .value_kind:     global_buffer
      - .actual_access:  read_only
        .address_space:  global
        .offset:         72
        .size:           8
        .value_kind:     global_buffer
      - .offset:         80
        .size:           8
        .value_kind:     by_value
      - .address_space:  global
        .offset:         88
        .size:           8
        .value_kind:     global_buffer
      - .offset:         96
        .size:           4
        .value_kind:     by_value
      - .offset:         100
        .size:           1
        .value_kind:     by_value
    .group_segment_fixed_size: 2048
    .kernarg_segment_align: 8
    .kernarg_segment_size: 104
    .language:       OpenCL C
    .language_version:
      - 2
      - 0
    .max_flat_workgroup_size: 256
    .name:           _ZN9rocsparseL29csrmvn_lrb_medium_rows_kernelILj256Elif21rocsparse_complex_numIfES2_S2_EEvbT0_PT1_S5_jNS_24const_host_device_scalarIT5_EEPKS3_PKS4_PKT2_PKT3_S8_PT4_21rocsparse_index_base_b
    .private_segment_fixed_size: 0
    .sgpr_count:     22
    .sgpr_spill_count: 0
    .symbol:         _ZN9rocsparseL29csrmvn_lrb_medium_rows_kernelILj256Elif21rocsparse_complex_numIfES2_S2_EEvbT0_PT1_S5_jNS_24const_host_device_scalarIT5_EEPKS3_PKS4_PKT2_PKT3_S8_PT4_21rocsparse_index_base_b.kd
    .uniform_work_group_size: 1
    .uses_dynamic_stack: false
    .vgpr_count:     19
    .vgpr_spill_count: 0
    .wavefront_size: 32
    .workgroup_processor_mode: 1
  - .args:
      - .offset:         0
        .size:           1
        .value_kind:     by_value
      - .offset:         8
        .size:           8
        .value_kind:     by_value
      - .address_space:  global
        .offset:         16
        .size:           8
        .value_kind:     global_buffer
      - .actual_access:  read_only
        .address_space:  global
        .offset:         24
        .size:           8
        .value_kind:     global_buffer
      - .actual_access:  read_only
        .address_space:  global
        .offset:         32
        .size:           8
        .value_kind:     global_buffer
      - .offset:         40
        .size:           4
        .value_kind:     by_value
      - .offset:         48
        .size:           8
        .value_kind:     by_value
      - .actual_access:  read_only
        .address_space:  global
        .offset:         56
        .size:           8
        .value_kind:     global_buffer
      - .actual_access:  read_only
        .address_space:  global
        .offset:         64
        .size:           8
        .value_kind:     global_buffer
      - .actual_access:  read_only
        .address_space:  global
        .offset:         72
        .size:           8
        .value_kind:     global_buffer
      - .actual_access:  read_only
        .address_space:  global
        .offset:         80
        .size:           8
        .value_kind:     global_buffer
      - .offset:         88
        .size:           8
        .value_kind:     by_value
      - .address_space:  global
        .offset:         96
        .size:           8
        .value_kind:     global_buffer
      - .offset:         104
        .size:           4
        .value_kind:     by_value
      - .offset:         108
        .size:           1
        .value_kind:     by_value
    .group_segment_fixed_size: 2048
    .kernarg_segment_align: 8
    .kernarg_segment_size: 112
    .language:       OpenCL C
    .language_version:
      - 2
      - 0
    .max_flat_workgroup_size: 256
    .name:           _ZN9rocsparseL27csrmvn_lrb_long_rows_kernelIlif21rocsparse_complex_numIfES2_S2_EEvbT_PjPT0_S6_jNS_24const_host_device_scalarIT4_EEPKS3_PKS5_PKT1_PKT2_S9_PT3_21rocsparse_index_base_b
    .private_segment_fixed_size: 0
    .sgpr_count:     30
    .sgpr_spill_count: 0
    .symbol:         _ZN9rocsparseL27csrmvn_lrb_long_rows_kernelIlif21rocsparse_complex_numIfES2_S2_EEvbT_PjPT0_S6_jNS_24const_host_device_scalarIT4_EEPKS3_PKS5_PKT1_PKT2_S9_PT3_21rocsparse_index_base_b.kd
    .uniform_work_group_size: 1
    .uses_dynamic_stack: false
    .vgpr_count:     17
    .vgpr_spill_count: 0
    .wavefront_size: 32
    .workgroup_processor_mode: 1
  - .args:
      - .offset:         0
        .size:           1
        .value_kind:     by_value
      - .offset:         8
        .size:           8
        .value_kind:     by_value
      - .actual_access:  read_only
        .address_space:  global
        .offset:         16
        .size:           8
        .value_kind:     global_buffer
      - .actual_access:  read_only
        .address_space:  global
        .offset:         24
        .size:           8
        .value_kind:     global_buffer
      - .offset:         32
        .size:           4
        .value_kind:     by_value
      - .offset:         40
        .size:           8
        .value_kind:     by_value
      - .actual_access:  read_only
        .address_space:  global
        .offset:         48
        .size:           8
        .value_kind:     global_buffer
      - .actual_access:  read_only
        .address_space:  global
        .offset:         56
        .size:           8
        .value_kind:     global_buffer
      - .actual_access:  read_only
        .address_space:  global
        .offset:         64
        .size:           8
        .value_kind:     global_buffer
      - .actual_access:  read_only
        .address_space:  global
        .offset:         72
        .size:           8
        .value_kind:     global_buffer
      - .offset:         80
        .size:           8
        .value_kind:     by_value
      - .address_space:  global
        .offset:         88
        .size:           8
        .value_kind:     global_buffer
      - .offset:         96
        .size:           4
        .value_kind:     by_value
      - .offset:         100
        .size:           1
        .value_kind:     by_value
    .group_segment_fixed_size: 0
    .kernarg_segment_align: 8
    .kernarg_segment_size: 104
    .language:       OpenCL C
    .language_version:
      - 2
      - 0
    .max_flat_workgroup_size: 256
    .name:           _ZN9rocsparseL28csrmvn_lrb_short_rows_kernelIllf21rocsparse_complex_numIfES2_S2_EEvbT_PT0_S5_jNS_24const_host_device_scalarIT4_EEPKS3_PKS4_PKT1_PKT2_S8_PT3_21rocsparse_index_base_b
    .private_segment_fixed_size: 0
    .sgpr_count:     26
    .sgpr_spill_count: 0
    .symbol:         _ZN9rocsparseL28csrmvn_lrb_short_rows_kernelIllf21rocsparse_complex_numIfES2_S2_EEvbT_PT0_S5_jNS_24const_host_device_scalarIT4_EEPKS3_PKS4_PKT1_PKT2_S8_PT3_21rocsparse_index_base_b.kd
    .uniform_work_group_size: 1
    .uses_dynamic_stack: false
    .vgpr_count:     16
    .vgpr_spill_count: 0
    .wavefront_size: 32
    .workgroup_processor_mode: 1
  - .args:
      - .offset:         0
        .size:           1
        .value_kind:     by_value
      - .offset:         8
        .size:           8
        .value_kind:     by_value
      - .actual_access:  read_only
        .address_space:  global
        .offset:         16
        .size:           8
        .value_kind:     global_buffer
      - .actual_access:  read_only
        .address_space:  global
        .offset:         24
        .size:           8
        .value_kind:     global_buffer
      - .offset:         32
        .size:           4
        .value_kind:     by_value
      - .offset:         40
        .size:           8
        .value_kind:     by_value
      - .actual_access:  read_only
        .address_space:  global
        .offset:         48
        .size:           8
        .value_kind:     global_buffer
      - .actual_access:  read_only
        .address_space:  global
        .offset:         56
        .size:           8
        .value_kind:     global_buffer
      - .actual_access:  read_only
        .address_space:  global
        .offset:         64
        .size:           8
        .value_kind:     global_buffer
      - .actual_access:  read_only
        .address_space:  global
        .offset:         72
        .size:           8
        .value_kind:     global_buffer
      - .offset:         80
        .size:           8
        .value_kind:     by_value
      - .address_space:  global
        .offset:         88
        .size:           8
        .value_kind:     global_buffer
      - .offset:         96
        .size:           4
        .value_kind:     by_value
      - .offset:         100
        .size:           1
        .value_kind:     by_value
    .group_segment_fixed_size: 8192
    .kernarg_segment_align: 8
    .kernarg_segment_size: 104
    .language:       OpenCL C
    .language_version:
      - 2
      - 0
    .max_flat_workgroup_size: 256
    .name:           _ZN9rocsparseL30csrmvn_lrb_short_rows_2_kernelIllf21rocsparse_complex_numIfES2_S2_EEvbT_PT0_S5_jNS_24const_host_device_scalarIT4_EEPKS3_PKS4_PKT1_PKT2_S8_PT3_21rocsparse_index_base_b
    .private_segment_fixed_size: 0
    .sgpr_count:     24
    .sgpr_spill_count: 0
    .symbol:         _ZN9rocsparseL30csrmvn_lrb_short_rows_2_kernelIllf21rocsparse_complex_numIfES2_S2_EEvbT_PT0_S5_jNS_24const_host_device_scalarIT4_EEPKS3_PKS4_PKT1_PKT2_S8_PT3_21rocsparse_index_base_b.kd
    .uniform_work_group_size: 1
    .uses_dynamic_stack: false
    .vgpr_count:     15
    .vgpr_spill_count: 0
    .wavefront_size: 32
    .workgroup_processor_mode: 1
  - .args:
      - .offset:         0
        .size:           1
        .value_kind:     by_value
      - .offset:         8
        .size:           8
        .value_kind:     by_value
      - .offset:         16
        .size:           8
        .value_kind:     by_value
      - .actual_access:  read_only
        .address_space:  global
        .offset:         24
        .size:           8
        .value_kind:     global_buffer
      - .actual_access:  read_only
        .address_space:  global
        .offset:         32
        .size:           8
        .value_kind:     global_buffer
      - .offset:         40
        .size:           4
        .value_kind:     by_value
      - .offset:         48
        .size:           8
        .value_kind:     by_value
      - .actual_access:  read_only
        .address_space:  global
        .offset:         56
        .size:           8
        .value_kind:     global_buffer
      - .actual_access:  read_only
        .address_space:  global
        .offset:         64
        .size:           8
        .value_kind:     global_buffer
      - .actual_access:  read_only
        .address_space:  global
        .offset:         72
        .size:           8
        .value_kind:     global_buffer
      - .actual_access:  read_only
        .address_space:  global
        .offset:         80
        .size:           8
        .value_kind:     global_buffer
      - .offset:         88
        .size:           8
        .value_kind:     by_value
      - .address_space:  global
        .offset:         96
        .size:           8
        .value_kind:     global_buffer
      - .offset:         104
        .size:           4
        .value_kind:     by_value
      - .offset:         108
        .size:           1
        .value_kind:     by_value
    .group_segment_fixed_size: 0
    .kernarg_segment_align: 8
    .kernarg_segment_size: 112
    .language:       OpenCL C
    .language_version:
      - 2
      - 0
    .max_flat_workgroup_size: 256
    .name:           _ZN9rocsparseL41csrmvn_lrb_medium_rows_warp_reduce_kernelILj256ELj32Ellf21rocsparse_complex_numIfES2_S2_EEvbT1_lPT2_S5_jNS_24const_host_device_scalarIT6_EEPKS3_PKS4_PKT3_PKT4_S8_PT5_21rocsparse_index_base_b
    .private_segment_fixed_size: 0
    .sgpr_count:     18
    .sgpr_spill_count: 0
    .symbol:         _ZN9rocsparseL41csrmvn_lrb_medium_rows_warp_reduce_kernelILj256ELj32Ellf21rocsparse_complex_numIfES2_S2_EEvbT1_lPT2_S5_jNS_24const_host_device_scalarIT6_EEPKS3_PKS4_PKT3_PKT4_S8_PT5_21rocsparse_index_base_b.kd
    .uniform_work_group_size: 1
    .uses_dynamic_stack: false
    .vgpr_count:     23
    .vgpr_spill_count: 0
    .wavefront_size: 32
    .workgroup_processor_mode: 1
  - .args:
      - .offset:         0
        .size:           1
        .value_kind:     by_value
      - .offset:         8
        .size:           8
        .value_kind:     by_value
      - .offset:         16
        .size:           8
        .value_kind:     by_value
      - .actual_access:  read_only
        .address_space:  global
        .offset:         24
        .size:           8
        .value_kind:     global_buffer
      - .actual_access:  read_only
        .address_space:  global
        .offset:         32
        .size:           8
        .value_kind:     global_buffer
      - .offset:         40
        .size:           4
        .value_kind:     by_value
      - .offset:         48
        .size:           8
        .value_kind:     by_value
      - .actual_access:  read_only
        .address_space:  global
        .offset:         56
        .size:           8
        .value_kind:     global_buffer
      - .actual_access:  read_only
        .address_space:  global
        .offset:         64
        .size:           8
        .value_kind:     global_buffer
      - .actual_access:  read_only
        .address_space:  global
        .offset:         72
        .size:           8
        .value_kind:     global_buffer
      - .actual_access:  read_only
        .address_space:  global
        .offset:         80
        .size:           8
        .value_kind:     global_buffer
      - .offset:         88
        .size:           8
        .value_kind:     by_value
      - .address_space:  global
        .offset:         96
        .size:           8
        .value_kind:     global_buffer
      - .offset:         104
        .size:           4
        .value_kind:     by_value
      - .offset:         108
        .size:           1
        .value_kind:     by_value
    .group_segment_fixed_size: 0
    .kernarg_segment_align: 8
    .kernarg_segment_size: 112
    .language:       OpenCL C
    .language_version:
      - 2
      - 0
    .max_flat_workgroup_size: 256
    .name:           _ZN9rocsparseL41csrmvn_lrb_medium_rows_warp_reduce_kernelILj256ELj64Ellf21rocsparse_complex_numIfES2_S2_EEvbT1_lPT2_S5_jNS_24const_host_device_scalarIT6_EEPKS3_PKS4_PKT3_PKT4_S8_PT5_21rocsparse_index_base_b
    .private_segment_fixed_size: 0
    .sgpr_count:     18
    .sgpr_spill_count: 0
    .symbol:         _ZN9rocsparseL41csrmvn_lrb_medium_rows_warp_reduce_kernelILj256ELj64Ellf21rocsparse_complex_numIfES2_S2_EEvbT1_lPT2_S5_jNS_24const_host_device_scalarIT6_EEPKS3_PKS4_PKT3_PKT4_S8_PT5_21rocsparse_index_base_b.kd
    .uniform_work_group_size: 1
    .uses_dynamic_stack: false
    .vgpr_count:     23
    .vgpr_spill_count: 0
    .wavefront_size: 32
    .workgroup_processor_mode: 1
  - .args:
      - .offset:         0
        .size:           1
        .value_kind:     by_value
      - .offset:         8
        .size:           8
        .value_kind:     by_value
      - .actual_access:  read_only
        .address_space:  global
        .offset:         16
        .size:           8
        .value_kind:     global_buffer
      - .actual_access:  read_only
        .address_space:  global
        .offset:         24
        .size:           8
        .value_kind:     global_buffer
      - .offset:         32
        .size:           4
        .value_kind:     by_value
      - .offset:         40
        .size:           8
        .value_kind:     by_value
      - .actual_access:  read_only
        .address_space:  global
        .offset:         48
        .size:           8
        .value_kind:     global_buffer
      - .actual_access:  read_only
        .address_space:  global
        .offset:         56
        .size:           8
        .value_kind:     global_buffer
      - .actual_access:  read_only
        .address_space:  global
        .offset:         64
        .size:           8
        .value_kind:     global_buffer
      - .actual_access:  read_only
        .address_space:  global
        .offset:         72
        .size:           8
        .value_kind:     global_buffer
      - .offset:         80
        .size:           8
        .value_kind:     by_value
      - .address_space:  global
        .offset:         88
        .size:           8
        .value_kind:     global_buffer
      - .offset:         96
        .size:           4
        .value_kind:     by_value
      - .offset:         100
        .size:           1
        .value_kind:     by_value
    .group_segment_fixed_size: 2048
    .kernarg_segment_align: 8
    .kernarg_segment_size: 104
    .language:       OpenCL C
    .language_version:
      - 2
      - 0
    .max_flat_workgroup_size: 256
    .name:           _ZN9rocsparseL29csrmvn_lrb_medium_rows_kernelILj256Ellf21rocsparse_complex_numIfES2_S2_EEvbT0_PT1_S5_jNS_24const_host_device_scalarIT5_EEPKS3_PKS4_PKT2_PKT3_S8_PT4_21rocsparse_index_base_b
    .private_segment_fixed_size: 0
    .sgpr_count:     22
    .sgpr_spill_count: 0
    .symbol:         _ZN9rocsparseL29csrmvn_lrb_medium_rows_kernelILj256Ellf21rocsparse_complex_numIfES2_S2_EEvbT0_PT1_S5_jNS_24const_host_device_scalarIT5_EEPKS3_PKS4_PKT2_PKT3_S8_PT4_21rocsparse_index_base_b.kd
    .uniform_work_group_size: 1
    .uses_dynamic_stack: false
    .vgpr_count:     19
    .vgpr_spill_count: 0
    .wavefront_size: 32
    .workgroup_processor_mode: 1
  - .args:
      - .offset:         0
        .size:           1
        .value_kind:     by_value
      - .offset:         8
        .size:           8
        .value_kind:     by_value
      - .address_space:  global
        .offset:         16
        .size:           8
        .value_kind:     global_buffer
      - .actual_access:  read_only
        .address_space:  global
        .offset:         24
        .size:           8
        .value_kind:     global_buffer
      - .actual_access:  read_only
        .address_space:  global
        .offset:         32
        .size:           8
        .value_kind:     global_buffer
      - .offset:         40
        .size:           4
        .value_kind:     by_value
      - .offset:         48
        .size:           8
        .value_kind:     by_value
      - .actual_access:  read_only
        .address_space:  global
        .offset:         56
        .size:           8
        .value_kind:     global_buffer
      - .actual_access:  read_only
        .address_space:  global
        .offset:         64
        .size:           8
        .value_kind:     global_buffer
      - .actual_access:  read_only
        .address_space:  global
        .offset:         72
        .size:           8
        .value_kind:     global_buffer
      - .actual_access:  read_only
        .address_space:  global
        .offset:         80
        .size:           8
        .value_kind:     global_buffer
      - .offset:         88
        .size:           8
        .value_kind:     by_value
      - .address_space:  global
        .offset:         96
        .size:           8
        .value_kind:     global_buffer
      - .offset:         104
        .size:           4
        .value_kind:     by_value
      - .offset:         108
        .size:           1
        .value_kind:     by_value
    .group_segment_fixed_size: 2048
    .kernarg_segment_align: 8
    .kernarg_segment_size: 112
    .language:       OpenCL C
    .language_version:
      - 2
      - 0
    .max_flat_workgroup_size: 256
    .name:           _ZN9rocsparseL27csrmvn_lrb_long_rows_kernelIllf21rocsparse_complex_numIfES2_S2_EEvbT_PjPT0_S6_jNS_24const_host_device_scalarIT4_EEPKS3_PKS5_PKT1_PKT2_S9_PT3_21rocsparse_index_base_b
    .private_segment_fixed_size: 0
    .sgpr_count:     30
    .sgpr_spill_count: 0
    .symbol:         _ZN9rocsparseL27csrmvn_lrb_long_rows_kernelIllf21rocsparse_complex_numIfES2_S2_EEvbT_PjPT0_S6_jNS_24const_host_device_scalarIT4_EEPKS3_PKS5_PKT1_PKT2_S9_PT3_21rocsparse_index_base_b.kd
    .uniform_work_group_size: 1
    .uses_dynamic_stack: false
    .vgpr_count:     17
    .vgpr_spill_count: 0
    .wavefront_size: 32
    .workgroup_processor_mode: 1
  - .args:
      - .offset:         0
        .size:           1
        .value_kind:     by_value
      - .offset:         4
        .size:           4
        .value_kind:     by_value
      - .actual_access:  read_only
        .address_space:  global
        .offset:         8
        .size:           8
        .value_kind:     global_buffer
      - .actual_access:  read_only
        .address_space:  global
        .offset:         16
        .size:           8
        .value_kind:     global_buffer
      - .offset:         24
        .size:           4
        .value_kind:     by_value
      - .offset:         32
        .size:           8
        .value_kind:     by_value
      - .actual_access:  read_only
        .address_space:  global
        .offset:         40
        .size:           8
        .value_kind:     global_buffer
      - .actual_access:  read_only
        .address_space:  global
        .offset:         48
        .size:           8
        .value_kind:     global_buffer
      - .actual_access:  read_only
        .address_space:  global
        .offset:         56
        .size:           8
        .value_kind:     global_buffer
      - .actual_access:  read_only
        .address_space:  global
        .offset:         64
        .size:           8
        .value_kind:     global_buffer
      - .offset:         72
        .size:           8
        .value_kind:     by_value
      - .address_space:  global
        .offset:         80
        .size:           8
        .value_kind:     global_buffer
      - .offset:         88
        .size:           4
        .value_kind:     by_value
      - .offset:         92
        .size:           1
        .value_kind:     by_value
    .group_segment_fixed_size: 0
    .kernarg_segment_align: 8
    .kernarg_segment_size: 96
    .language:       OpenCL C
    .language_version:
      - 2
      - 0
    .max_flat_workgroup_size: 256
    .name:           _ZN9rocsparseL28csrmvn_lrb_short_rows_kernelIiifdddEEvbT_PT0_S3_jNS_24const_host_device_scalarIT4_EEPKS1_PKS2_PKT1_PKT2_S6_PT3_21rocsparse_index_base_b
    .private_segment_fixed_size: 0
    .sgpr_count:     23
    .sgpr_spill_count: 0
    .symbol:         _ZN9rocsparseL28csrmvn_lrb_short_rows_kernelIiifdddEEvbT_PT0_S3_jNS_24const_host_device_scalarIT4_EEPKS1_PKS2_PKT1_PKT2_S6_PT3_21rocsparse_index_base_b.kd
    .uniform_work_group_size: 1
    .uses_dynamic_stack: false
    .vgpr_count:     14
    .vgpr_spill_count: 0
    .wavefront_size: 32
    .workgroup_processor_mode: 1
  - .args:
      - .offset:         0
        .size:           1
        .value_kind:     by_value
      - .offset:         4
        .size:           4
        .value_kind:     by_value
      - .actual_access:  read_only
        .address_space:  global
        .offset:         8
        .size:           8
        .value_kind:     global_buffer
      - .actual_access:  read_only
        .address_space:  global
        .offset:         16
        .size:           8
        .value_kind:     global_buffer
      - .offset:         24
        .size:           4
        .value_kind:     by_value
      - .offset:         32
        .size:           8
        .value_kind:     by_value
      - .actual_access:  read_only
        .address_space:  global
        .offset:         40
        .size:           8
        .value_kind:     global_buffer
      - .actual_access:  read_only
        .address_space:  global
        .offset:         48
        .size:           8
        .value_kind:     global_buffer
      - .actual_access:  read_only
        .address_space:  global
        .offset:         56
        .size:           8
        .value_kind:     global_buffer
      - .actual_access:  read_only
        .address_space:  global
        .offset:         64
        .size:           8
        .value_kind:     global_buffer
      - .offset:         72
        .size:           8
        .value_kind:     by_value
      - .address_space:  global
        .offset:         80
        .size:           8
        .value_kind:     global_buffer
      - .offset:         88
        .size:           4
        .value_kind:     by_value
      - .offset:         92
        .size:           1
        .value_kind:     by_value
    .group_segment_fixed_size: 8192
    .kernarg_segment_align: 8
    .kernarg_segment_size: 96
    .language:       OpenCL C
    .language_version:
      - 2
      - 0
    .max_flat_workgroup_size: 256
    .name:           _ZN9rocsparseL30csrmvn_lrb_short_rows_2_kernelIiifdddEEvbT_PT0_S3_jNS_24const_host_device_scalarIT4_EEPKS1_PKS2_PKT1_PKT2_S6_PT3_21rocsparse_index_base_b
    .private_segment_fixed_size: 0
    .sgpr_count:     22
    .sgpr_spill_count: 0
    .symbol:         _ZN9rocsparseL30csrmvn_lrb_short_rows_2_kernelIiifdddEEvbT_PT0_S3_jNS_24const_host_device_scalarIT4_EEPKS1_PKS2_PKT1_PKT2_S6_PT3_21rocsparse_index_base_b.kd
    .uniform_work_group_size: 1
    .uses_dynamic_stack: false
    .vgpr_count:     13
    .vgpr_spill_count: 0
    .wavefront_size: 32
    .workgroup_processor_mode: 1
  - .args:
      - .offset:         0
        .size:           1
        .value_kind:     by_value
      - .offset:         4
        .size:           4
        .value_kind:     by_value
      - .offset:         8
        .size:           8
        .value_kind:     by_value
      - .actual_access:  read_only
        .address_space:  global
        .offset:         16
        .size:           8
        .value_kind:     global_buffer
      - .actual_access:  read_only
        .address_space:  global
        .offset:         24
        .size:           8
        .value_kind:     global_buffer
      - .offset:         32
        .size:           4
        .value_kind:     by_value
      - .offset:         40
        .size:           8
        .value_kind:     by_value
      - .actual_access:  read_only
        .address_space:  global
        .offset:         48
        .size:           8
        .value_kind:     global_buffer
      - .actual_access:  read_only
        .address_space:  global
        .offset:         56
        .size:           8
        .value_kind:     global_buffer
      - .actual_access:  read_only
        .address_space:  global
        .offset:         64
        .size:           8
        .value_kind:     global_buffer
      - .actual_access:  read_only
        .address_space:  global
        .offset:         72
        .size:           8
        .value_kind:     global_buffer
      - .offset:         80
        .size:           8
        .value_kind:     by_value
      - .address_space:  global
        .offset:         88
        .size:           8
        .value_kind:     global_buffer
      - .offset:         96
        .size:           4
        .value_kind:     by_value
      - .offset:         100
        .size:           1
        .value_kind:     by_value
    .group_segment_fixed_size: 0
    .kernarg_segment_align: 8
    .kernarg_segment_size: 104
    .language:       OpenCL C
    .language_version:
      - 2
      - 0
    .max_flat_workgroup_size: 256
    .name:           _ZN9rocsparseL41csrmvn_lrb_medium_rows_warp_reduce_kernelILj256ELj32EiifdddEEvbT1_lPT2_S3_jNS_24const_host_device_scalarIT6_EEPKS1_PKS2_PKT3_PKT4_S6_PT5_21rocsparse_index_base_b
    .private_segment_fixed_size: 0
    .sgpr_count:     18
    .sgpr_spill_count: 0
    .symbol:         _ZN9rocsparseL41csrmvn_lrb_medium_rows_warp_reduce_kernelILj256ELj32EiifdddEEvbT1_lPT2_S3_jNS_24const_host_device_scalarIT6_EEPKS1_PKS2_PKT3_PKT4_S6_PT5_21rocsparse_index_base_b.kd
    .uniform_work_group_size: 1
    .uses_dynamic_stack: false
    .vgpr_count:     16
    .vgpr_spill_count: 0
    .wavefront_size: 32
    .workgroup_processor_mode: 1
  - .args:
      - .offset:         0
        .size:           1
        .value_kind:     by_value
      - .offset:         4
        .size:           4
        .value_kind:     by_value
      - .offset:         8
        .size:           8
        .value_kind:     by_value
      - .actual_access:  read_only
        .address_space:  global
        .offset:         16
        .size:           8
        .value_kind:     global_buffer
      - .actual_access:  read_only
        .address_space:  global
        .offset:         24
        .size:           8
        .value_kind:     global_buffer
      - .offset:         32
        .size:           4
        .value_kind:     by_value
      - .offset:         40
        .size:           8
        .value_kind:     by_value
      - .actual_access:  read_only
        .address_space:  global
        .offset:         48
        .size:           8
        .value_kind:     global_buffer
      - .actual_access:  read_only
        .address_space:  global
        .offset:         56
        .size:           8
        .value_kind:     global_buffer
      - .actual_access:  read_only
        .address_space:  global
        .offset:         64
        .size:           8
        .value_kind:     global_buffer
      - .actual_access:  read_only
        .address_space:  global
        .offset:         72
        .size:           8
        .value_kind:     global_buffer
      - .offset:         80
        .size:           8
        .value_kind:     by_value
      - .address_space:  global
        .offset:         88
        .size:           8
        .value_kind:     global_buffer
      - .offset:         96
        .size:           4
        .value_kind:     by_value
      - .offset:         100
        .size:           1
        .value_kind:     by_value
    .group_segment_fixed_size: 0
    .kernarg_segment_align: 8
    .kernarg_segment_size: 104
    .language:       OpenCL C
    .language_version:
      - 2
      - 0
    .max_flat_workgroup_size: 256
    .name:           _ZN9rocsparseL41csrmvn_lrb_medium_rows_warp_reduce_kernelILj256ELj64EiifdddEEvbT1_lPT2_S3_jNS_24const_host_device_scalarIT6_EEPKS1_PKS2_PKT3_PKT4_S6_PT5_21rocsparse_index_base_b
    .private_segment_fixed_size: 0
    .sgpr_count:     18
    .sgpr_spill_count: 0
    .symbol:         _ZN9rocsparseL41csrmvn_lrb_medium_rows_warp_reduce_kernelILj256ELj64EiifdddEEvbT1_lPT2_S3_jNS_24const_host_device_scalarIT6_EEPKS1_PKS2_PKT3_PKT4_S6_PT5_21rocsparse_index_base_b.kd
    .uniform_work_group_size: 1
    .uses_dynamic_stack: false
    .vgpr_count:     16
    .vgpr_spill_count: 0
    .wavefront_size: 32
    .workgroup_processor_mode: 1
  - .args:
      - .offset:         0
        .size:           1
        .value_kind:     by_value
      - .offset:         4
        .size:           4
        .value_kind:     by_value
      - .actual_access:  read_only
        .address_space:  global
        .offset:         8
        .size:           8
        .value_kind:     global_buffer
      - .actual_access:  read_only
        .address_space:  global
        .offset:         16
        .size:           8
        .value_kind:     global_buffer
      - .offset:         24
        .size:           4
        .value_kind:     by_value
      - .offset:         32
        .size:           8
        .value_kind:     by_value
      - .actual_access:  read_only
        .address_space:  global
        .offset:         40
        .size:           8
        .value_kind:     global_buffer
      - .actual_access:  read_only
        .address_space:  global
        .offset:         48
        .size:           8
        .value_kind:     global_buffer
      - .actual_access:  read_only
        .address_space:  global
        .offset:         56
        .size:           8
        .value_kind:     global_buffer
      - .actual_access:  read_only
        .address_space:  global
        .offset:         64
        .size:           8
        .value_kind:     global_buffer
      - .offset:         72
        .size:           8
        .value_kind:     by_value
      - .address_space:  global
        .offset:         80
        .size:           8
        .value_kind:     global_buffer
      - .offset:         88
        .size:           4
        .value_kind:     by_value
      - .offset:         92
        .size:           1
        .value_kind:     by_value
    .group_segment_fixed_size: 2048
    .kernarg_segment_align: 8
    .kernarg_segment_size: 96
    .language:       OpenCL C
    .language_version:
      - 2
      - 0
    .max_flat_workgroup_size: 256
    .name:           _ZN9rocsparseL29csrmvn_lrb_medium_rows_kernelILj256EiifdddEEvbT0_PT1_S3_jNS_24const_host_device_scalarIT5_EEPKS1_PKS2_PKT2_PKT3_S6_PT4_21rocsparse_index_base_b
    .private_segment_fixed_size: 0
    .sgpr_count:     18
    .sgpr_spill_count: 0
    .symbol:         _ZN9rocsparseL29csrmvn_lrb_medium_rows_kernelILj256EiifdddEEvbT0_PT1_S3_jNS_24const_host_device_scalarIT5_EEPKS1_PKS2_PKT2_PKT3_S6_PT4_21rocsparse_index_base_b.kd
    .uniform_work_group_size: 1
    .uses_dynamic_stack: false
    .vgpr_count:     12
    .vgpr_spill_count: 0
    .wavefront_size: 32
    .workgroup_processor_mode: 1
  - .args:
      - .offset:         0
        .size:           1
        .value_kind:     by_value
      - .offset:         4
        .size:           4
        .value_kind:     by_value
      - .address_space:  global
        .offset:         8
        .size:           8
        .value_kind:     global_buffer
      - .actual_access:  read_only
        .address_space:  global
        .offset:         16
        .size:           8
        .value_kind:     global_buffer
      - .actual_access:  read_only
        .address_space:  global
        .offset:         24
        .size:           8
        .value_kind:     global_buffer
      - .offset:         32
        .size:           4
        .value_kind:     by_value
      - .offset:         40
        .size:           8
        .value_kind:     by_value
      - .actual_access:  read_only
        .address_space:  global
        .offset:         48
        .size:           8
        .value_kind:     global_buffer
      - .actual_access:  read_only
        .address_space:  global
        .offset:         56
        .size:           8
        .value_kind:     global_buffer
      - .actual_access:  read_only
        .address_space:  global
        .offset:         64
        .size:           8
        .value_kind:     global_buffer
      - .actual_access:  read_only
        .address_space:  global
        .offset:         72
        .size:           8
        .value_kind:     global_buffer
      - .offset:         80
        .size:           8
        .value_kind:     by_value
      - .address_space:  global
        .offset:         88
        .size:           8
        .value_kind:     global_buffer
      - .offset:         96
        .size:           4
        .value_kind:     by_value
      - .offset:         100
        .size:           1
        .value_kind:     by_value
    .group_segment_fixed_size: 2048
    .kernarg_segment_align: 8
    .kernarg_segment_size: 104
    .language:       OpenCL C
    .language_version:
      - 2
      - 0
    .max_flat_workgroup_size: 256
    .name:           _ZN9rocsparseL27csrmvn_lrb_long_rows_kernelIiifdddEEvbT_PjPT0_S4_jNS_24const_host_device_scalarIT4_EEPKS1_PKS3_PKT1_PKT2_S7_PT3_21rocsparse_index_base_b
    .private_segment_fixed_size: 0
    .sgpr_count:     26
    .sgpr_spill_count: 0
    .symbol:         _ZN9rocsparseL27csrmvn_lrb_long_rows_kernelIiifdddEEvbT_PjPT0_S4_jNS_24const_host_device_scalarIT4_EEPKS1_PKS3_PKT1_PKT2_S7_PT3_21rocsparse_index_base_b.kd
    .uniform_work_group_size: 1
    .uses_dynamic_stack: false
    .vgpr_count:     11
    .vgpr_spill_count: 0
    .wavefront_size: 32
    .workgroup_processor_mode: 1
  - .args:
      - .offset:         0
        .size:           1
        .value_kind:     by_value
      - .offset:         8
        .size:           8
        .value_kind:     by_value
      - .actual_access:  read_only
        .address_space:  global
        .offset:         16
        .size:           8
        .value_kind:     global_buffer
      - .actual_access:  read_only
        .address_space:  global
        .offset:         24
        .size:           8
        .value_kind:     global_buffer
      - .offset:         32
        .size:           4
        .value_kind:     by_value
      - .offset:         40
        .size:           8
        .value_kind:     by_value
      - .actual_access:  read_only
        .address_space:  global
        .offset:         48
        .size:           8
        .value_kind:     global_buffer
      - .actual_access:  read_only
        .address_space:  global
        .offset:         56
        .size:           8
        .value_kind:     global_buffer
      - .actual_access:  read_only
        .address_space:  global
        .offset:         64
        .size:           8
        .value_kind:     global_buffer
      - .actual_access:  read_only
        .address_space:  global
        .offset:         72
        .size:           8
        .value_kind:     global_buffer
      - .offset:         80
        .size:           8
        .value_kind:     by_value
      - .address_space:  global
        .offset:         88
        .size:           8
        .value_kind:     global_buffer
      - .offset:         96
        .size:           4
        .value_kind:     by_value
      - .offset:         100
        .size:           1
        .value_kind:     by_value
    .group_segment_fixed_size: 0
    .kernarg_segment_align: 8
    .kernarg_segment_size: 104
    .language:       OpenCL C
    .language_version:
      - 2
      - 0
    .max_flat_workgroup_size: 256
    .name:           _ZN9rocsparseL28csrmvn_lrb_short_rows_kernelIlifdddEEvbT_PT0_S3_jNS_24const_host_device_scalarIT4_EEPKS1_PKS2_PKT1_PKT2_S6_PT3_21rocsparse_index_base_b
    .private_segment_fixed_size: 0
    .sgpr_count:     23
    .sgpr_spill_count: 0
    .symbol:         _ZN9rocsparseL28csrmvn_lrb_short_rows_kernelIlifdddEEvbT_PT0_S3_jNS_24const_host_device_scalarIT4_EEPKS1_PKS2_PKT1_PKT2_S6_PT3_21rocsparse_index_base_b.kd
    .uniform_work_group_size: 1
    .uses_dynamic_stack: false
    .vgpr_count:     14
    .vgpr_spill_count: 0
    .wavefront_size: 32
    .workgroup_processor_mode: 1
  - .args:
      - .offset:         0
        .size:           1
        .value_kind:     by_value
      - .offset:         8
        .size:           8
        .value_kind:     by_value
      - .actual_access:  read_only
        .address_space:  global
        .offset:         16
        .size:           8
        .value_kind:     global_buffer
      - .actual_access:  read_only
        .address_space:  global
        .offset:         24
        .size:           8
        .value_kind:     global_buffer
      - .offset:         32
        .size:           4
        .value_kind:     by_value
      - .offset:         40
        .size:           8
        .value_kind:     by_value
      - .actual_access:  read_only
        .address_space:  global
        .offset:         48
        .size:           8
        .value_kind:     global_buffer
      - .actual_access:  read_only
        .address_space:  global
        .offset:         56
        .size:           8
        .value_kind:     global_buffer
      - .actual_access:  read_only
        .address_space:  global
        .offset:         64
        .size:           8
        .value_kind:     global_buffer
      - .actual_access:  read_only
        .address_space:  global
        .offset:         72
        .size:           8
        .value_kind:     global_buffer
      - .offset:         80
        .size:           8
        .value_kind:     by_value
      - .address_space:  global
        .offset:         88
        .size:           8
        .value_kind:     global_buffer
      - .offset:         96
        .size:           4
        .value_kind:     by_value
      - .offset:         100
        .size:           1
        .value_kind:     by_value
    .group_segment_fixed_size: 8192
    .kernarg_segment_align: 8
    .kernarg_segment_size: 104
    .language:       OpenCL C
    .language_version:
      - 2
      - 0
    .max_flat_workgroup_size: 256
    .name:           _ZN9rocsparseL30csrmvn_lrb_short_rows_2_kernelIlifdddEEvbT_PT0_S3_jNS_24const_host_device_scalarIT4_EEPKS1_PKS2_PKT1_PKT2_S6_PT3_21rocsparse_index_base_b
    .private_segment_fixed_size: 0
    .sgpr_count:     22
    .sgpr_spill_count: 0
    .symbol:         _ZN9rocsparseL30csrmvn_lrb_short_rows_2_kernelIlifdddEEvbT_PT0_S3_jNS_24const_host_device_scalarIT4_EEPKS1_PKS2_PKT1_PKT2_S6_PT3_21rocsparse_index_base_b.kd
    .uniform_work_group_size: 1
    .uses_dynamic_stack: false
    .vgpr_count:     11
    .vgpr_spill_count: 0
    .wavefront_size: 32
    .workgroup_processor_mode: 1
  - .args:
      - .offset:         0
        .size:           1
        .value_kind:     by_value
      - .offset:         8
        .size:           8
        .value_kind:     by_value
      - .offset:         16
        .size:           8
        .value_kind:     by_value
      - .actual_access:  read_only
        .address_space:  global
        .offset:         24
        .size:           8
        .value_kind:     global_buffer
      - .actual_access:  read_only
        .address_space:  global
        .offset:         32
        .size:           8
        .value_kind:     global_buffer
      - .offset:         40
        .size:           4
        .value_kind:     by_value
      - .offset:         48
        .size:           8
        .value_kind:     by_value
      - .actual_access:  read_only
        .address_space:  global
        .offset:         56
        .size:           8
        .value_kind:     global_buffer
      - .actual_access:  read_only
        .address_space:  global
        .offset:         64
        .size:           8
        .value_kind:     global_buffer
      - .actual_access:  read_only
        .address_space:  global
        .offset:         72
        .size:           8
        .value_kind:     global_buffer
      - .actual_access:  read_only
        .address_space:  global
        .offset:         80
        .size:           8
        .value_kind:     global_buffer
      - .offset:         88
        .size:           8
        .value_kind:     by_value
      - .address_space:  global
        .offset:         96
        .size:           8
        .value_kind:     global_buffer
      - .offset:         104
        .size:           4
        .value_kind:     by_value
      - .offset:         108
        .size:           1
        .value_kind:     by_value
    .group_segment_fixed_size: 0
    .kernarg_segment_align: 8
    .kernarg_segment_size: 112
    .language:       OpenCL C
    .language_version:
      - 2
      - 0
    .max_flat_workgroup_size: 256
    .name:           _ZN9rocsparseL41csrmvn_lrb_medium_rows_warp_reduce_kernelILj256ELj32ElifdddEEvbT1_lPT2_S3_jNS_24const_host_device_scalarIT6_EEPKS1_PKS2_PKT3_PKT4_S6_PT5_21rocsparse_index_base_b
    .private_segment_fixed_size: 0
    .sgpr_count:     18
    .sgpr_spill_count: 0
    .symbol:         _ZN9rocsparseL41csrmvn_lrb_medium_rows_warp_reduce_kernelILj256ELj32ElifdddEEvbT1_lPT2_S3_jNS_24const_host_device_scalarIT6_EEPKS1_PKS2_PKT3_PKT4_S6_PT5_21rocsparse_index_base_b.kd
    .uniform_work_group_size: 1
    .uses_dynamic_stack: false
    .vgpr_count:     21
    .vgpr_spill_count: 0
    .wavefront_size: 32
    .workgroup_processor_mode: 1
  - .args:
      - .offset:         0
        .size:           1
        .value_kind:     by_value
      - .offset:         8
        .size:           8
        .value_kind:     by_value
      - .offset:         16
        .size:           8
        .value_kind:     by_value
      - .actual_access:  read_only
        .address_space:  global
        .offset:         24
        .size:           8
        .value_kind:     global_buffer
      - .actual_access:  read_only
        .address_space:  global
        .offset:         32
        .size:           8
        .value_kind:     global_buffer
      - .offset:         40
        .size:           4
        .value_kind:     by_value
      - .offset:         48
        .size:           8
        .value_kind:     by_value
      - .actual_access:  read_only
        .address_space:  global
        .offset:         56
        .size:           8
        .value_kind:     global_buffer
      - .actual_access:  read_only
        .address_space:  global
        .offset:         64
        .size:           8
        .value_kind:     global_buffer
      - .actual_access:  read_only
        .address_space:  global
        .offset:         72
        .size:           8
        .value_kind:     global_buffer
      - .actual_access:  read_only
        .address_space:  global
        .offset:         80
        .size:           8
        .value_kind:     global_buffer
      - .offset:         88
        .size:           8
        .value_kind:     by_value
      - .address_space:  global
        .offset:         96
        .size:           8
        .value_kind:     global_buffer
      - .offset:         104
        .size:           4
        .value_kind:     by_value
      - .offset:         108
        .size:           1
        .value_kind:     by_value
    .group_segment_fixed_size: 0
    .kernarg_segment_align: 8
    .kernarg_segment_size: 112
    .language:       OpenCL C
    .language_version:
      - 2
      - 0
    .max_flat_workgroup_size: 256
    .name:           _ZN9rocsparseL41csrmvn_lrb_medium_rows_warp_reduce_kernelILj256ELj64ElifdddEEvbT1_lPT2_S3_jNS_24const_host_device_scalarIT6_EEPKS1_PKS2_PKT3_PKT4_S6_PT5_21rocsparse_index_base_b
    .private_segment_fixed_size: 0
    .sgpr_count:     18
    .sgpr_spill_count: 0
    .symbol:         _ZN9rocsparseL41csrmvn_lrb_medium_rows_warp_reduce_kernelILj256ELj64ElifdddEEvbT1_lPT2_S3_jNS_24const_host_device_scalarIT6_EEPKS1_PKS2_PKT3_PKT4_S6_PT5_21rocsparse_index_base_b.kd
    .uniform_work_group_size: 1
    .uses_dynamic_stack: false
    .vgpr_count:     21
    .vgpr_spill_count: 0
    .wavefront_size: 32
    .workgroup_processor_mode: 1
  - .args:
      - .offset:         0
        .size:           1
        .value_kind:     by_value
      - .offset:         8
        .size:           8
        .value_kind:     by_value
      - .actual_access:  read_only
        .address_space:  global
        .offset:         16
        .size:           8
        .value_kind:     global_buffer
      - .actual_access:  read_only
        .address_space:  global
        .offset:         24
        .size:           8
        .value_kind:     global_buffer
      - .offset:         32
        .size:           4
        .value_kind:     by_value
      - .offset:         40
        .size:           8
        .value_kind:     by_value
      - .actual_access:  read_only
        .address_space:  global
        .offset:         48
        .size:           8
        .value_kind:     global_buffer
      - .actual_access:  read_only
        .address_space:  global
        .offset:         56
        .size:           8
        .value_kind:     global_buffer
      - .actual_access:  read_only
        .address_space:  global
        .offset:         64
        .size:           8
        .value_kind:     global_buffer
      - .actual_access:  read_only
        .address_space:  global
        .offset:         72
        .size:           8
        .value_kind:     global_buffer
      - .offset:         80
        .size:           8
        .value_kind:     by_value
      - .address_space:  global
        .offset:         88
        .size:           8
        .value_kind:     global_buffer
      - .offset:         96
        .size:           4
        .value_kind:     by_value
      - .offset:         100
        .size:           1
        .value_kind:     by_value
    .group_segment_fixed_size: 2048
    .kernarg_segment_align: 8
    .kernarg_segment_size: 104
    .language:       OpenCL C
    .language_version:
      - 2
      - 0
    .max_flat_workgroup_size: 256
    .name:           _ZN9rocsparseL29csrmvn_lrb_medium_rows_kernelILj256ElifdddEEvbT0_PT1_S3_jNS_24const_host_device_scalarIT5_EEPKS1_PKS2_PKT2_PKT3_S6_PT4_21rocsparse_index_base_b
    .private_segment_fixed_size: 0
    .sgpr_count:     22
    .sgpr_spill_count: 0
    .symbol:         _ZN9rocsparseL29csrmvn_lrb_medium_rows_kernelILj256ElifdddEEvbT0_PT1_S3_jNS_24const_host_device_scalarIT5_EEPKS1_PKS2_PKT2_PKT3_S6_PT4_21rocsparse_index_base_b.kd
    .uniform_work_group_size: 1
    .uses_dynamic_stack: false
    .vgpr_count:     17
    .vgpr_spill_count: 0
    .wavefront_size: 32
    .workgroup_processor_mode: 1
  - .args:
      - .offset:         0
        .size:           1
        .value_kind:     by_value
      - .offset:         8
        .size:           8
        .value_kind:     by_value
      - .address_space:  global
        .offset:         16
        .size:           8
        .value_kind:     global_buffer
      - .actual_access:  read_only
        .address_space:  global
        .offset:         24
        .size:           8
        .value_kind:     global_buffer
      - .actual_access:  read_only
        .address_space:  global
        .offset:         32
        .size:           8
        .value_kind:     global_buffer
      - .offset:         40
        .size:           4
        .value_kind:     by_value
      - .offset:         48
        .size:           8
        .value_kind:     by_value
      - .actual_access:  read_only
        .address_space:  global
        .offset:         56
        .size:           8
        .value_kind:     global_buffer
      - .actual_access:  read_only
        .address_space:  global
        .offset:         64
        .size:           8
        .value_kind:     global_buffer
      - .actual_access:  read_only
        .address_space:  global
        .offset:         72
        .size:           8
        .value_kind:     global_buffer
      - .actual_access:  read_only
        .address_space:  global
        .offset:         80
        .size:           8
        .value_kind:     global_buffer
      - .offset:         88
        .size:           8
        .value_kind:     by_value
      - .address_space:  global
        .offset:         96
        .size:           8
        .value_kind:     global_buffer
      - .offset:         104
        .size:           4
        .value_kind:     by_value
      - .offset:         108
        .size:           1
        .value_kind:     by_value
    .group_segment_fixed_size: 2048
    .kernarg_segment_align: 8
    .kernarg_segment_size: 112
    .language:       OpenCL C
    .language_version:
      - 2
      - 0
    .max_flat_workgroup_size: 256
    .name:           _ZN9rocsparseL27csrmvn_lrb_long_rows_kernelIlifdddEEvbT_PjPT0_S4_jNS_24const_host_device_scalarIT4_EEPKS1_PKS3_PKT1_PKT2_S7_PT3_21rocsparse_index_base_b
    .private_segment_fixed_size: 0
    .sgpr_count:     30
    .sgpr_spill_count: 0
    .symbol:         _ZN9rocsparseL27csrmvn_lrb_long_rows_kernelIlifdddEEvbT_PjPT0_S4_jNS_24const_host_device_scalarIT4_EEPKS1_PKS3_PKT1_PKT2_S7_PT3_21rocsparse_index_base_b.kd
    .uniform_work_group_size: 1
    .uses_dynamic_stack: false
    .vgpr_count:     15
    .vgpr_spill_count: 0
    .wavefront_size: 32
    .workgroup_processor_mode: 1
  - .args:
      - .offset:         0
        .size:           1
        .value_kind:     by_value
      - .offset:         8
        .size:           8
        .value_kind:     by_value
      - .actual_access:  read_only
        .address_space:  global
        .offset:         16
        .size:           8
        .value_kind:     global_buffer
      - .actual_access:  read_only
        .address_space:  global
        .offset:         24
        .size:           8
        .value_kind:     global_buffer
      - .offset:         32
        .size:           4
        .value_kind:     by_value
      - .offset:         40
        .size:           8
        .value_kind:     by_value
      - .actual_access:  read_only
        .address_space:  global
        .offset:         48
        .size:           8
        .value_kind:     global_buffer
      - .actual_access:  read_only
        .address_space:  global
        .offset:         56
        .size:           8
        .value_kind:     global_buffer
      - .actual_access:  read_only
        .address_space:  global
        .offset:         64
        .size:           8
        .value_kind:     global_buffer
      - .actual_access:  read_only
        .address_space:  global
        .offset:         72
        .size:           8
        .value_kind:     global_buffer
      - .offset:         80
        .size:           8
        .value_kind:     by_value
      - .address_space:  global
        .offset:         88
        .size:           8
        .value_kind:     global_buffer
      - .offset:         96
        .size:           4
        .value_kind:     by_value
      - .offset:         100
        .size:           1
        .value_kind:     by_value
    .group_segment_fixed_size: 0
    .kernarg_segment_align: 8
    .kernarg_segment_size: 104
    .language:       OpenCL C
    .language_version:
      - 2
      - 0
    .max_flat_workgroup_size: 256
    .name:           _ZN9rocsparseL28csrmvn_lrb_short_rows_kernelIllfdddEEvbT_PT0_S3_jNS_24const_host_device_scalarIT4_EEPKS1_PKS2_PKT1_PKT2_S6_PT3_21rocsparse_index_base_b
    .private_segment_fixed_size: 0
    .sgpr_count:     26
    .sgpr_spill_count: 0
    .symbol:         _ZN9rocsparseL28csrmvn_lrb_short_rows_kernelIllfdddEEvbT_PT0_S3_jNS_24const_host_device_scalarIT4_EEPKS1_PKS2_PKT1_PKT2_S6_PT3_21rocsparse_index_base_b.kd
    .uniform_work_group_size: 1
    .uses_dynamic_stack: false
    .vgpr_count:     14
    .vgpr_spill_count: 0
    .wavefront_size: 32
    .workgroup_processor_mode: 1
  - .args:
      - .offset:         0
        .size:           1
        .value_kind:     by_value
      - .offset:         8
        .size:           8
        .value_kind:     by_value
      - .actual_access:  read_only
        .address_space:  global
        .offset:         16
        .size:           8
        .value_kind:     global_buffer
      - .actual_access:  read_only
        .address_space:  global
        .offset:         24
        .size:           8
        .value_kind:     global_buffer
      - .offset:         32
        .size:           4
        .value_kind:     by_value
      - .offset:         40
        .size:           8
        .value_kind:     by_value
      - .actual_access:  read_only
        .address_space:  global
        .offset:         48
        .size:           8
        .value_kind:     global_buffer
      - .actual_access:  read_only
        .address_space:  global
        .offset:         56
        .size:           8
        .value_kind:     global_buffer
      - .actual_access:  read_only
        .address_space:  global
        .offset:         64
        .size:           8
        .value_kind:     global_buffer
      - .actual_access:  read_only
        .address_space:  global
        .offset:         72
        .size:           8
        .value_kind:     global_buffer
      - .offset:         80
        .size:           8
        .value_kind:     by_value
      - .address_space:  global
        .offset:         88
        .size:           8
        .value_kind:     global_buffer
      - .offset:         96
        .size:           4
        .value_kind:     by_value
      - .offset:         100
        .size:           1
        .value_kind:     by_value
    .group_segment_fixed_size: 8192
    .kernarg_segment_align: 8
    .kernarg_segment_size: 104
    .language:       OpenCL C
    .language_version:
      - 2
      - 0
    .max_flat_workgroup_size: 256
    .name:           _ZN9rocsparseL30csrmvn_lrb_short_rows_2_kernelIllfdddEEvbT_PT0_S3_jNS_24const_host_device_scalarIT4_EEPKS1_PKS2_PKT1_PKT2_S6_PT3_21rocsparse_index_base_b
    .private_segment_fixed_size: 0
    .sgpr_count:     26
    .sgpr_spill_count: 0
    .symbol:         _ZN9rocsparseL30csrmvn_lrb_short_rows_2_kernelIllfdddEEvbT_PT0_S3_jNS_24const_host_device_scalarIT4_EEPKS1_PKS2_PKT1_PKT2_S6_PT3_21rocsparse_index_base_b.kd
    .uniform_work_group_size: 1
    .uses_dynamic_stack: false
    .vgpr_count:     12
    .vgpr_spill_count: 0
    .wavefront_size: 32
    .workgroup_processor_mode: 1
  - .args:
      - .offset:         0
        .size:           1
        .value_kind:     by_value
      - .offset:         8
        .size:           8
        .value_kind:     by_value
      - .offset:         16
        .size:           8
        .value_kind:     by_value
      - .actual_access:  read_only
        .address_space:  global
        .offset:         24
        .size:           8
        .value_kind:     global_buffer
      - .actual_access:  read_only
        .address_space:  global
        .offset:         32
        .size:           8
        .value_kind:     global_buffer
      - .offset:         40
        .size:           4
        .value_kind:     by_value
      - .offset:         48
        .size:           8
        .value_kind:     by_value
      - .actual_access:  read_only
        .address_space:  global
        .offset:         56
        .size:           8
        .value_kind:     global_buffer
      - .actual_access:  read_only
        .address_space:  global
        .offset:         64
        .size:           8
        .value_kind:     global_buffer
      - .actual_access:  read_only
        .address_space:  global
        .offset:         72
        .size:           8
        .value_kind:     global_buffer
      - .actual_access:  read_only
        .address_space:  global
        .offset:         80
        .size:           8
        .value_kind:     global_buffer
      - .offset:         88
        .size:           8
        .value_kind:     by_value
      - .address_space:  global
        .offset:         96
        .size:           8
        .value_kind:     global_buffer
      - .offset:         104
        .size:           4
        .value_kind:     by_value
      - .offset:         108
        .size:           1
        .value_kind:     by_value
    .group_segment_fixed_size: 0
    .kernarg_segment_align: 8
    .kernarg_segment_size: 112
    .language:       OpenCL C
    .language_version:
      - 2
      - 0
    .max_flat_workgroup_size: 256
    .name:           _ZN9rocsparseL41csrmvn_lrb_medium_rows_warp_reduce_kernelILj256ELj32EllfdddEEvbT1_lPT2_S3_jNS_24const_host_device_scalarIT6_EEPKS1_PKS2_PKT3_PKT4_S6_PT5_21rocsparse_index_base_b
    .private_segment_fixed_size: 0
    .sgpr_count:     18
    .sgpr_spill_count: 0
    .symbol:         _ZN9rocsparseL41csrmvn_lrb_medium_rows_warp_reduce_kernelILj256ELj32EllfdddEEvbT1_lPT2_S3_jNS_24const_host_device_scalarIT6_EEPKS1_PKS2_PKT3_PKT4_S6_PT5_21rocsparse_index_base_b.kd
    .uniform_work_group_size: 1
    .uses_dynamic_stack: false
    .vgpr_count:     21
    .vgpr_spill_count: 0
    .wavefront_size: 32
    .workgroup_processor_mode: 1
  - .args:
      - .offset:         0
        .size:           1
        .value_kind:     by_value
      - .offset:         8
        .size:           8
        .value_kind:     by_value
      - .offset:         16
        .size:           8
        .value_kind:     by_value
      - .actual_access:  read_only
        .address_space:  global
        .offset:         24
        .size:           8
        .value_kind:     global_buffer
      - .actual_access:  read_only
        .address_space:  global
        .offset:         32
        .size:           8
        .value_kind:     global_buffer
      - .offset:         40
        .size:           4
        .value_kind:     by_value
      - .offset:         48
        .size:           8
        .value_kind:     by_value
      - .actual_access:  read_only
        .address_space:  global
        .offset:         56
        .size:           8
        .value_kind:     global_buffer
      - .actual_access:  read_only
        .address_space:  global
        .offset:         64
        .size:           8
        .value_kind:     global_buffer
      - .actual_access:  read_only
        .address_space:  global
        .offset:         72
        .size:           8
        .value_kind:     global_buffer
      - .actual_access:  read_only
        .address_space:  global
        .offset:         80
        .size:           8
        .value_kind:     global_buffer
      - .offset:         88
        .size:           8
        .value_kind:     by_value
      - .address_space:  global
        .offset:         96
        .size:           8
        .value_kind:     global_buffer
      - .offset:         104
        .size:           4
        .value_kind:     by_value
      - .offset:         108
        .size:           1
        .value_kind:     by_value
    .group_segment_fixed_size: 0
    .kernarg_segment_align: 8
    .kernarg_segment_size: 112
    .language:       OpenCL C
    .language_version:
      - 2
      - 0
    .max_flat_workgroup_size: 256
    .name:           _ZN9rocsparseL41csrmvn_lrb_medium_rows_warp_reduce_kernelILj256ELj64EllfdddEEvbT1_lPT2_S3_jNS_24const_host_device_scalarIT6_EEPKS1_PKS2_PKT3_PKT4_S6_PT5_21rocsparse_index_base_b
    .private_segment_fixed_size: 0
    .sgpr_count:     18
    .sgpr_spill_count: 0
    .symbol:         _ZN9rocsparseL41csrmvn_lrb_medium_rows_warp_reduce_kernelILj256ELj64EllfdddEEvbT1_lPT2_S3_jNS_24const_host_device_scalarIT6_EEPKS1_PKS2_PKT3_PKT4_S6_PT5_21rocsparse_index_base_b.kd
    .uniform_work_group_size: 1
    .uses_dynamic_stack: false
    .vgpr_count:     21
    .vgpr_spill_count: 0
    .wavefront_size: 32
    .workgroup_processor_mode: 1
  - .args:
      - .offset:         0
        .size:           1
        .value_kind:     by_value
      - .offset:         8
        .size:           8
        .value_kind:     by_value
      - .actual_access:  read_only
        .address_space:  global
        .offset:         16
        .size:           8
        .value_kind:     global_buffer
      - .actual_access:  read_only
        .address_space:  global
        .offset:         24
        .size:           8
        .value_kind:     global_buffer
      - .offset:         32
        .size:           4
        .value_kind:     by_value
      - .offset:         40
        .size:           8
        .value_kind:     by_value
      - .actual_access:  read_only
        .address_space:  global
        .offset:         48
        .size:           8
        .value_kind:     global_buffer
      - .actual_access:  read_only
        .address_space:  global
        .offset:         56
        .size:           8
        .value_kind:     global_buffer
      - .actual_access:  read_only
        .address_space:  global
        .offset:         64
        .size:           8
        .value_kind:     global_buffer
      - .actual_access:  read_only
        .address_space:  global
        .offset:         72
        .size:           8
        .value_kind:     global_buffer
      - .offset:         80
        .size:           8
        .value_kind:     by_value
      - .address_space:  global
        .offset:         88
        .size:           8
        .value_kind:     global_buffer
      - .offset:         96
        .size:           4
        .value_kind:     by_value
      - .offset:         100
        .size:           1
        .value_kind:     by_value
    .group_segment_fixed_size: 2048
    .kernarg_segment_align: 8
    .kernarg_segment_size: 104
    .language:       OpenCL C
    .language_version:
      - 2
      - 0
    .max_flat_workgroup_size: 256
    .name:           _ZN9rocsparseL29csrmvn_lrb_medium_rows_kernelILj256EllfdddEEvbT0_PT1_S3_jNS_24const_host_device_scalarIT5_EEPKS1_PKS2_PKT2_PKT3_S6_PT4_21rocsparse_index_base_b
    .private_segment_fixed_size: 0
    .sgpr_count:     22
    .sgpr_spill_count: 0
    .symbol:         _ZN9rocsparseL29csrmvn_lrb_medium_rows_kernelILj256EllfdddEEvbT0_PT1_S3_jNS_24const_host_device_scalarIT5_EEPKS1_PKS2_PKT2_PKT3_S6_PT4_21rocsparse_index_base_b.kd
    .uniform_work_group_size: 1
    .uses_dynamic_stack: false
    .vgpr_count:     17
    .vgpr_spill_count: 0
    .wavefront_size: 32
    .workgroup_processor_mode: 1
  - .args:
      - .offset:         0
        .size:           1
        .value_kind:     by_value
      - .offset:         8
        .size:           8
        .value_kind:     by_value
      - .address_space:  global
        .offset:         16
        .size:           8
        .value_kind:     global_buffer
      - .actual_access:  read_only
        .address_space:  global
        .offset:         24
        .size:           8
        .value_kind:     global_buffer
      - .actual_access:  read_only
        .address_space:  global
        .offset:         32
        .size:           8
        .value_kind:     global_buffer
      - .offset:         40
        .size:           4
        .value_kind:     by_value
      - .offset:         48
        .size:           8
        .value_kind:     by_value
      - .actual_access:  read_only
        .address_space:  global
        .offset:         56
        .size:           8
        .value_kind:     global_buffer
      - .actual_access:  read_only
        .address_space:  global
        .offset:         64
        .size:           8
        .value_kind:     global_buffer
      - .actual_access:  read_only
        .address_space:  global
        .offset:         72
        .size:           8
        .value_kind:     global_buffer
      - .actual_access:  read_only
        .address_space:  global
        .offset:         80
        .size:           8
        .value_kind:     global_buffer
      - .offset:         88
        .size:           8
        .value_kind:     by_value
      - .address_space:  global
        .offset:         96
        .size:           8
        .value_kind:     global_buffer
      - .offset:         104
        .size:           4
        .value_kind:     by_value
      - .offset:         108
        .size:           1
        .value_kind:     by_value
    .group_segment_fixed_size: 2048
    .kernarg_segment_align: 8
    .kernarg_segment_size: 112
    .language:       OpenCL C
    .language_version:
      - 2
      - 0
    .max_flat_workgroup_size: 256
    .name:           _ZN9rocsparseL27csrmvn_lrb_long_rows_kernelIllfdddEEvbT_PjPT0_S4_jNS_24const_host_device_scalarIT4_EEPKS1_PKS3_PKT1_PKT2_S7_PT3_21rocsparse_index_base_b
    .private_segment_fixed_size: 0
    .sgpr_count:     30
    .sgpr_spill_count: 0
    .symbol:         _ZN9rocsparseL27csrmvn_lrb_long_rows_kernelIllfdddEEvbT_PjPT0_S4_jNS_24const_host_device_scalarIT4_EEPKS1_PKS3_PKT1_PKT2_S7_PT3_21rocsparse_index_base_b.kd
    .uniform_work_group_size: 1
    .uses_dynamic_stack: false
    .vgpr_count:     15
    .vgpr_spill_count: 0
    .wavefront_size: 32
    .workgroup_processor_mode: 1
  - .args:
      - .offset:         0
        .size:           1
        .value_kind:     by_value
      - .offset:         4
        .size:           4
        .value_kind:     by_value
      - .actual_access:  read_only
        .address_space:  global
        .offset:         8
        .size:           8
        .value_kind:     global_buffer
      - .actual_access:  read_only
        .address_space:  global
        .offset:         16
        .size:           8
        .value_kind:     global_buffer
      - .offset:         24
        .size:           4
        .value_kind:     by_value
      - .offset:         32
        .size:           16
        .value_kind:     by_value
      - .actual_access:  read_only
        .address_space:  global
        .offset:         48
        .size:           8
        .value_kind:     global_buffer
      - .actual_access:  read_only
        .address_space:  global
        .offset:         56
        .size:           8
        .value_kind:     global_buffer
      - .actual_access:  read_only
        .address_space:  global
        .offset:         64
        .size:           8
        .value_kind:     global_buffer
      - .actual_access:  read_only
        .address_space:  global
        .offset:         72
        .size:           8
        .value_kind:     global_buffer
      - .offset:         80
        .size:           16
        .value_kind:     by_value
      - .address_space:  global
        .offset:         96
        .size:           8
        .value_kind:     global_buffer
      - .offset:         104
        .size:           4
        .value_kind:     by_value
      - .offset:         108
        .size:           1
        .value_kind:     by_value
    .group_segment_fixed_size: 0
    .kernarg_segment_align: 8
    .kernarg_segment_size: 112
    .language:       OpenCL C
    .language_version:
      - 2
      - 0
    .max_flat_workgroup_size: 256
    .name:           _ZN9rocsparseL28csrmvn_lrb_short_rows_kernelIiid21rocsparse_complex_numIdES2_S2_EEvbT_PT0_S5_jNS_24const_host_device_scalarIT4_EEPKS3_PKS4_PKT1_PKT2_S8_PT3_21rocsparse_index_base_b
    .private_segment_fixed_size: 24
    .sgpr_count:     23
    .sgpr_spill_count: 0
    .symbol:         _ZN9rocsparseL28csrmvn_lrb_short_rows_kernelIiid21rocsparse_complex_numIdES2_S2_EEvbT_PT0_S5_jNS_24const_host_device_scalarIT4_EEPKS3_PKS4_PKT1_PKT2_S8_PT3_21rocsparse_index_base_b.kd
    .uniform_work_group_size: 1
    .uses_dynamic_stack: false
    .vgpr_count:     28
    .vgpr_spill_count: 0
    .wavefront_size: 32
    .workgroup_processor_mode: 1
  - .args:
      - .offset:         0
        .size:           1
        .value_kind:     by_value
      - .offset:         4
        .size:           4
        .value_kind:     by_value
      - .actual_access:  read_only
        .address_space:  global
        .offset:         8
        .size:           8
        .value_kind:     global_buffer
      - .actual_access:  read_only
        .address_space:  global
        .offset:         16
        .size:           8
        .value_kind:     global_buffer
      - .offset:         24
        .size:           4
        .value_kind:     by_value
      - .offset:         32
        .size:           16
        .value_kind:     by_value
      - .actual_access:  read_only
        .address_space:  global
        .offset:         48
        .size:           8
        .value_kind:     global_buffer
      - .actual_access:  read_only
        .address_space:  global
        .offset:         56
        .size:           8
        .value_kind:     global_buffer
      - .actual_access:  read_only
        .address_space:  global
        .offset:         64
        .size:           8
        .value_kind:     global_buffer
      - .actual_access:  read_only
        .address_space:  global
        .offset:         72
        .size:           8
        .value_kind:     global_buffer
      - .offset:         80
        .size:           16
        .value_kind:     by_value
      - .address_space:  global
        .offset:         96
        .size:           8
        .value_kind:     global_buffer
      - .offset:         104
        .size:           4
        .value_kind:     by_value
      - .offset:         108
        .size:           1
        .value_kind:     by_value
    .group_segment_fixed_size: 16384
    .kernarg_segment_align: 8
    .kernarg_segment_size: 112
    .language:       OpenCL C
    .language_version:
      - 2
      - 0
    .max_flat_workgroup_size: 256
    .name:           _ZN9rocsparseL30csrmvn_lrb_short_rows_2_kernelIiid21rocsparse_complex_numIdES2_S2_EEvbT_PT0_S5_jNS_24const_host_device_scalarIT4_EEPKS3_PKS4_PKT1_PKT2_S8_PT3_21rocsparse_index_base_b
    .private_segment_fixed_size: 24
    .sgpr_count:     22
    .sgpr_spill_count: 0
    .symbol:         _ZN9rocsparseL30csrmvn_lrb_short_rows_2_kernelIiid21rocsparse_complex_numIdES2_S2_EEvbT_PT0_S5_jNS_24const_host_device_scalarIT4_EEPKS3_PKS4_PKT1_PKT2_S8_PT3_21rocsparse_index_base_b.kd
    .uniform_work_group_size: 1
    .uses_dynamic_stack: false
    .vgpr_count:     25
    .vgpr_spill_count: 0
    .wavefront_size: 32
    .workgroup_processor_mode: 1
  - .args:
      - .offset:         0
        .size:           1
        .value_kind:     by_value
      - .offset:         4
        .size:           4
        .value_kind:     by_value
      - .offset:         8
        .size:           8
        .value_kind:     by_value
      - .actual_access:  read_only
        .address_space:  global
        .offset:         16
        .size:           8
        .value_kind:     global_buffer
      - .actual_access:  read_only
        .address_space:  global
        .offset:         24
        .size:           8
        .value_kind:     global_buffer
      - .offset:         32
        .size:           4
        .value_kind:     by_value
      - .offset:         40
        .size:           16
        .value_kind:     by_value
      - .actual_access:  read_only
        .address_space:  global
        .offset:         56
        .size:           8
        .value_kind:     global_buffer
      - .actual_access:  read_only
        .address_space:  global
        .offset:         64
        .size:           8
        .value_kind:     global_buffer
      - .actual_access:  read_only
        .address_space:  global
        .offset:         72
        .size:           8
        .value_kind:     global_buffer
      - .actual_access:  read_only
        .address_space:  global
        .offset:         80
        .size:           8
        .value_kind:     global_buffer
      - .offset:         88
        .size:           16
        .value_kind:     by_value
      - .address_space:  global
        .offset:         104
        .size:           8
        .value_kind:     global_buffer
      - .offset:         112
        .size:           4
        .value_kind:     by_value
      - .offset:         116
        .size:           1
        .value_kind:     by_value
    .group_segment_fixed_size: 4096
    .kernarg_segment_align: 8
    .kernarg_segment_size: 120
    .language:       OpenCL C
    .language_version:
      - 2
      - 0
    .max_flat_workgroup_size: 256
    .name:           _ZN9rocsparseL41csrmvn_lrb_medium_rows_warp_reduce_kernelILj256ELj32Eiid21rocsparse_complex_numIdES2_S2_EEvbT1_lPT2_S5_jNS_24const_host_device_scalarIT6_EEPKS3_PKS4_PKT3_PKT4_S8_PT5_21rocsparse_index_base_b
    .private_segment_fixed_size: 0
    .sgpr_count:     20
    .sgpr_spill_count: 0
    .symbol:         _ZN9rocsparseL41csrmvn_lrb_medium_rows_warp_reduce_kernelILj256ELj32Eiid21rocsparse_complex_numIdES2_S2_EEvbT1_lPT2_S5_jNS_24const_host_device_scalarIT6_EEPKS3_PKS4_PKT3_PKT4_S8_PT5_21rocsparse_index_base_b.kd
    .uniform_work_group_size: 1
    .uses_dynamic_stack: false
    .vgpr_count:     30
    .vgpr_spill_count: 0
    .wavefront_size: 32
    .workgroup_processor_mode: 1
  - .args:
      - .offset:         0
        .size:           1
        .value_kind:     by_value
      - .offset:         4
        .size:           4
        .value_kind:     by_value
      - .offset:         8
        .size:           8
        .value_kind:     by_value
      - .actual_access:  read_only
        .address_space:  global
        .offset:         16
        .size:           8
        .value_kind:     global_buffer
      - .actual_access:  read_only
        .address_space:  global
        .offset:         24
        .size:           8
        .value_kind:     global_buffer
      - .offset:         32
        .size:           4
        .value_kind:     by_value
      - .offset:         40
        .size:           16
        .value_kind:     by_value
      - .actual_access:  read_only
        .address_space:  global
        .offset:         56
        .size:           8
        .value_kind:     global_buffer
      - .actual_access:  read_only
        .address_space:  global
        .offset:         64
        .size:           8
        .value_kind:     global_buffer
      - .actual_access:  read_only
        .address_space:  global
        .offset:         72
        .size:           8
        .value_kind:     global_buffer
      - .actual_access:  read_only
        .address_space:  global
        .offset:         80
        .size:           8
        .value_kind:     global_buffer
      - .offset:         88
        .size:           16
        .value_kind:     by_value
      - .address_space:  global
        .offset:         104
        .size:           8
        .value_kind:     global_buffer
      - .offset:         112
        .size:           4
        .value_kind:     by_value
      - .offset:         116
        .size:           1
        .value_kind:     by_value
    .group_segment_fixed_size: 4096
    .kernarg_segment_align: 8
    .kernarg_segment_size: 120
    .language:       OpenCL C
    .language_version:
      - 2
      - 0
    .max_flat_workgroup_size: 256
    .name:           _ZN9rocsparseL41csrmvn_lrb_medium_rows_warp_reduce_kernelILj256ELj64Eiid21rocsparse_complex_numIdES2_S2_EEvbT1_lPT2_S5_jNS_24const_host_device_scalarIT6_EEPKS3_PKS4_PKT3_PKT4_S8_PT5_21rocsparse_index_base_b
    .private_segment_fixed_size: 0
    .sgpr_count:     20
    .sgpr_spill_count: 0
    .symbol:         _ZN9rocsparseL41csrmvn_lrb_medium_rows_warp_reduce_kernelILj256ELj64Eiid21rocsparse_complex_numIdES2_S2_EEvbT1_lPT2_S5_jNS_24const_host_device_scalarIT6_EEPKS3_PKS4_PKT3_PKT4_S8_PT5_21rocsparse_index_base_b.kd
    .uniform_work_group_size: 1
    .uses_dynamic_stack: false
    .vgpr_count:     30
    .vgpr_spill_count: 0
    .wavefront_size: 32
    .workgroup_processor_mode: 1
  - .args:
      - .offset:         0
        .size:           1
        .value_kind:     by_value
      - .offset:         4
        .size:           4
        .value_kind:     by_value
      - .actual_access:  read_only
        .address_space:  global
        .offset:         8
        .size:           8
        .value_kind:     global_buffer
      - .actual_access:  read_only
        .address_space:  global
        .offset:         16
        .size:           8
        .value_kind:     global_buffer
      - .offset:         24
        .size:           4
        .value_kind:     by_value
      - .offset:         32
        .size:           16
        .value_kind:     by_value
      - .actual_access:  read_only
        .address_space:  global
        .offset:         48
        .size:           8
        .value_kind:     global_buffer
      - .actual_access:  read_only
        .address_space:  global
        .offset:         56
        .size:           8
        .value_kind:     global_buffer
      - .actual_access:  read_only
        .address_space:  global
        .offset:         64
        .size:           8
        .value_kind:     global_buffer
      - .actual_access:  read_only
        .address_space:  global
        .offset:         72
        .size:           8
        .value_kind:     global_buffer
      - .offset:         80
        .size:           16
        .value_kind:     by_value
      - .address_space:  global
        .offset:         96
        .size:           8
        .value_kind:     global_buffer
      - .offset:         104
        .size:           4
        .value_kind:     by_value
      - .offset:         108
        .size:           1
        .value_kind:     by_value
    .group_segment_fixed_size: 8192
    .kernarg_segment_align: 8
    .kernarg_segment_size: 112
    .language:       OpenCL C
    .language_version:
      - 2
      - 0
    .max_flat_workgroup_size: 256
    .name:           _ZN9rocsparseL29csrmvn_lrb_medium_rows_kernelILj256Eiid21rocsparse_complex_numIdES2_S2_EEvbT0_PT1_S5_jNS_24const_host_device_scalarIT5_EEPKS3_PKS4_PKT2_PKT3_S8_PT4_21rocsparse_index_base_b
    .private_segment_fixed_size: 0
    .sgpr_count:     20
    .sgpr_spill_count: 0
    .symbol:         _ZN9rocsparseL29csrmvn_lrb_medium_rows_kernelILj256Eiid21rocsparse_complex_numIdES2_S2_EEvbT0_PT1_S5_jNS_24const_host_device_scalarIT5_EEPKS3_PKS4_PKT2_PKT3_S8_PT4_21rocsparse_index_base_b.kd
    .uniform_work_group_size: 1
    .uses_dynamic_stack: false
    .vgpr_count:     27
    .vgpr_spill_count: 0
    .wavefront_size: 32
    .workgroup_processor_mode: 1
  - .args:
      - .offset:         0
        .size:           1
        .value_kind:     by_value
      - .offset:         4
        .size:           4
        .value_kind:     by_value
      - .address_space:  global
        .offset:         8
        .size:           8
        .value_kind:     global_buffer
      - .actual_access:  read_only
        .address_space:  global
        .offset:         16
        .size:           8
        .value_kind:     global_buffer
      - .actual_access:  read_only
        .address_space:  global
        .offset:         24
        .size:           8
        .value_kind:     global_buffer
      - .offset:         32
        .size:           4
        .value_kind:     by_value
      - .offset:         40
        .size:           16
        .value_kind:     by_value
      - .actual_access:  read_only
        .address_space:  global
        .offset:         56
        .size:           8
        .value_kind:     global_buffer
      - .actual_access:  read_only
        .address_space:  global
        .offset:         64
        .size:           8
        .value_kind:     global_buffer
      - .actual_access:  read_only
        .address_space:  global
        .offset:         72
        .size:           8
        .value_kind:     global_buffer
      - .actual_access:  read_only
        .address_space:  global
        .offset:         80
        .size:           8
        .value_kind:     global_buffer
      - .offset:         88
        .size:           16
        .value_kind:     by_value
      - .address_space:  global
        .offset:         104
        .size:           8
        .value_kind:     global_buffer
      - .offset:         112
        .size:           4
        .value_kind:     by_value
      - .offset:         116
        .size:           1
        .value_kind:     by_value
    .group_segment_fixed_size: 8192
    .kernarg_segment_align: 8
    .kernarg_segment_size: 120
    .language:       OpenCL C
    .language_version:
      - 2
      - 0
    .max_flat_workgroup_size: 256
    .name:           _ZN9rocsparseL27csrmvn_lrb_long_rows_kernelIiid21rocsparse_complex_numIdES2_S2_EEvbT_PjPT0_S6_jNS_24const_host_device_scalarIT4_EEPKS3_PKS5_PKT1_PKT2_S9_PT3_21rocsparse_index_base_b
    .private_segment_fixed_size: 0
    .sgpr_count:     28
    .sgpr_spill_count: 0
    .symbol:         _ZN9rocsparseL27csrmvn_lrb_long_rows_kernelIiid21rocsparse_complex_numIdES2_S2_EEvbT_PjPT0_S6_jNS_24const_host_device_scalarIT4_EEPKS3_PKS5_PKT1_PKT2_S9_PT3_21rocsparse_index_base_b.kd
    .uniform_work_group_size: 1
    .uses_dynamic_stack: false
    .vgpr_count:     23
    .vgpr_spill_count: 0
    .wavefront_size: 32
    .workgroup_processor_mode: 1
  - .args:
      - .offset:         0
        .size:           1
        .value_kind:     by_value
      - .offset:         8
        .size:           8
        .value_kind:     by_value
      - .actual_access:  read_only
        .address_space:  global
        .offset:         16
        .size:           8
        .value_kind:     global_buffer
      - .actual_access:  read_only
        .address_space:  global
        .offset:         24
        .size:           8
        .value_kind:     global_buffer
      - .offset:         32
        .size:           4
        .value_kind:     by_value
      - .offset:         40
        .size:           16
        .value_kind:     by_value
      - .actual_access:  read_only
        .address_space:  global
        .offset:         56
        .size:           8
        .value_kind:     global_buffer
      - .actual_access:  read_only
        .address_space:  global
        .offset:         64
        .size:           8
        .value_kind:     global_buffer
      - .actual_access:  read_only
        .address_space:  global
        .offset:         72
        .size:           8
        .value_kind:     global_buffer
      - .actual_access:  read_only
        .address_space:  global
        .offset:         80
        .size:           8
        .value_kind:     global_buffer
      - .offset:         88
        .size:           16
        .value_kind:     by_value
      - .address_space:  global
        .offset:         104
        .size:           8
        .value_kind:     global_buffer
      - .offset:         112
        .size:           4
        .value_kind:     by_value
      - .offset:         116
        .size:           1
        .value_kind:     by_value
    .group_segment_fixed_size: 0
    .kernarg_segment_align: 8
    .kernarg_segment_size: 120
    .language:       OpenCL C
    .language_version:
      - 2
      - 0
    .max_flat_workgroup_size: 256
    .name:           _ZN9rocsparseL28csrmvn_lrb_short_rows_kernelIlid21rocsparse_complex_numIdES2_S2_EEvbT_PT0_S5_jNS_24const_host_device_scalarIT4_EEPKS3_PKS4_PKT1_PKT2_S8_PT3_21rocsparse_index_base_b
    .private_segment_fixed_size: 24
    .sgpr_count:     23
    .sgpr_spill_count: 0
    .symbol:         _ZN9rocsparseL28csrmvn_lrb_short_rows_kernelIlid21rocsparse_complex_numIdES2_S2_EEvbT_PT0_S5_jNS_24const_host_device_scalarIT4_EEPKS3_PKS4_PKT1_PKT2_S8_PT3_21rocsparse_index_base_b.kd
    .uniform_work_group_size: 1
    .uses_dynamic_stack: false
    .vgpr_count:     30
    .vgpr_spill_count: 0
    .wavefront_size: 32
    .workgroup_processor_mode: 1
  - .args:
      - .offset:         0
        .size:           1
        .value_kind:     by_value
      - .offset:         8
        .size:           8
        .value_kind:     by_value
      - .actual_access:  read_only
        .address_space:  global
        .offset:         16
        .size:           8
        .value_kind:     global_buffer
      - .actual_access:  read_only
        .address_space:  global
        .offset:         24
        .size:           8
        .value_kind:     global_buffer
      - .offset:         32
        .size:           4
        .value_kind:     by_value
      - .offset:         40
        .size:           16
        .value_kind:     by_value
      - .actual_access:  read_only
        .address_space:  global
        .offset:         56
        .size:           8
        .value_kind:     global_buffer
      - .actual_access:  read_only
        .address_space:  global
        .offset:         64
        .size:           8
        .value_kind:     global_buffer
      - .actual_access:  read_only
        .address_space:  global
        .offset:         72
        .size:           8
        .value_kind:     global_buffer
      - .actual_access:  read_only
        .address_space:  global
        .offset:         80
        .size:           8
        .value_kind:     global_buffer
      - .offset:         88
        .size:           16
        .value_kind:     by_value
      - .address_space:  global
        .offset:         104
        .size:           8
        .value_kind:     global_buffer
      - .offset:         112
        .size:           4
        .value_kind:     by_value
      - .offset:         116
        .size:           1
        .value_kind:     by_value
    .group_segment_fixed_size: 16384
    .kernarg_segment_align: 8
    .kernarg_segment_size: 120
    .language:       OpenCL C
    .language_version:
      - 2
      - 0
    .max_flat_workgroup_size: 256
    .name:           _ZN9rocsparseL30csrmvn_lrb_short_rows_2_kernelIlid21rocsparse_complex_numIdES2_S2_EEvbT_PT0_S5_jNS_24const_host_device_scalarIT4_EEPKS3_PKS4_PKT1_PKT2_S8_PT3_21rocsparse_index_base_b
    .private_segment_fixed_size: 24
    .sgpr_count:     22
    .sgpr_spill_count: 0
    .symbol:         _ZN9rocsparseL30csrmvn_lrb_short_rows_2_kernelIlid21rocsparse_complex_numIdES2_S2_EEvbT_PT0_S5_jNS_24const_host_device_scalarIT4_EEPKS3_PKS4_PKT1_PKT2_S8_PT3_21rocsparse_index_base_b.kd
    .uniform_work_group_size: 1
    .uses_dynamic_stack: false
    .vgpr_count:     25
    .vgpr_spill_count: 0
    .wavefront_size: 32
    .workgroup_processor_mode: 1
  - .args:
      - .offset:         0
        .size:           1
        .value_kind:     by_value
      - .offset:         8
        .size:           8
        .value_kind:     by_value
      - .offset:         16
        .size:           8
        .value_kind:     by_value
      - .actual_access:  read_only
        .address_space:  global
        .offset:         24
        .size:           8
        .value_kind:     global_buffer
      - .actual_access:  read_only
        .address_space:  global
        .offset:         32
        .size:           8
        .value_kind:     global_buffer
      - .offset:         40
        .size:           4
        .value_kind:     by_value
      - .offset:         48
        .size:           16
        .value_kind:     by_value
      - .actual_access:  read_only
        .address_space:  global
        .offset:         64
        .size:           8
        .value_kind:     global_buffer
      - .actual_access:  read_only
        .address_space:  global
        .offset:         72
        .size:           8
        .value_kind:     global_buffer
      - .actual_access:  read_only
        .address_space:  global
        .offset:         80
        .size:           8
        .value_kind:     global_buffer
      - .actual_access:  read_only
        .address_space:  global
        .offset:         88
        .size:           8
        .value_kind:     global_buffer
      - .offset:         96
        .size:           16
        .value_kind:     by_value
      - .address_space:  global
        .offset:         112
        .size:           8
        .value_kind:     global_buffer
      - .offset:         120
        .size:           4
        .value_kind:     by_value
      - .offset:         124
        .size:           1
        .value_kind:     by_value
    .group_segment_fixed_size: 4096
    .kernarg_segment_align: 8
    .kernarg_segment_size: 128
    .language:       OpenCL C
    .language_version:
      - 2
      - 0
    .max_flat_workgroup_size: 256
    .name:           _ZN9rocsparseL41csrmvn_lrb_medium_rows_warp_reduce_kernelILj256ELj32Elid21rocsparse_complex_numIdES2_S2_EEvbT1_lPT2_S5_jNS_24const_host_device_scalarIT6_EEPKS3_PKS4_PKT3_PKT4_S8_PT5_21rocsparse_index_base_b
    .private_segment_fixed_size: 0
    .sgpr_count:     20
    .sgpr_spill_count: 0
    .symbol:         _ZN9rocsparseL41csrmvn_lrb_medium_rows_warp_reduce_kernelILj256ELj32Elid21rocsparse_complex_numIdES2_S2_EEvbT1_lPT2_S5_jNS_24const_host_device_scalarIT6_EEPKS3_PKS4_PKT3_PKT4_S8_PT5_21rocsparse_index_base_b.kd
    .uniform_work_group_size: 1
    .uses_dynamic_stack: false
    .vgpr_count:     35
    .vgpr_spill_count: 0
    .wavefront_size: 32
    .workgroup_processor_mode: 1
  - .args:
      - .offset:         0
        .size:           1
        .value_kind:     by_value
      - .offset:         8
        .size:           8
        .value_kind:     by_value
      - .offset:         16
        .size:           8
        .value_kind:     by_value
      - .actual_access:  read_only
        .address_space:  global
        .offset:         24
        .size:           8
        .value_kind:     global_buffer
      - .actual_access:  read_only
        .address_space:  global
        .offset:         32
        .size:           8
        .value_kind:     global_buffer
      - .offset:         40
        .size:           4
        .value_kind:     by_value
      - .offset:         48
        .size:           16
        .value_kind:     by_value
      - .actual_access:  read_only
        .address_space:  global
        .offset:         64
        .size:           8
        .value_kind:     global_buffer
      - .actual_access:  read_only
        .address_space:  global
        .offset:         72
        .size:           8
        .value_kind:     global_buffer
      - .actual_access:  read_only
        .address_space:  global
        .offset:         80
        .size:           8
        .value_kind:     global_buffer
      - .actual_access:  read_only
        .address_space:  global
        .offset:         88
        .size:           8
        .value_kind:     global_buffer
      - .offset:         96
        .size:           16
        .value_kind:     by_value
      - .address_space:  global
        .offset:         112
        .size:           8
        .value_kind:     global_buffer
      - .offset:         120
        .size:           4
        .value_kind:     by_value
      - .offset:         124
        .size:           1
        .value_kind:     by_value
    .group_segment_fixed_size: 4096
    .kernarg_segment_align: 8
    .kernarg_segment_size: 128
    .language:       OpenCL C
    .language_version:
      - 2
      - 0
    .max_flat_workgroup_size: 256
    .name:           _ZN9rocsparseL41csrmvn_lrb_medium_rows_warp_reduce_kernelILj256ELj64Elid21rocsparse_complex_numIdES2_S2_EEvbT1_lPT2_S5_jNS_24const_host_device_scalarIT6_EEPKS3_PKS4_PKT3_PKT4_S8_PT5_21rocsparse_index_base_b
    .private_segment_fixed_size: 0
    .sgpr_count:     20
    .sgpr_spill_count: 0
    .symbol:         _ZN9rocsparseL41csrmvn_lrb_medium_rows_warp_reduce_kernelILj256ELj64Elid21rocsparse_complex_numIdES2_S2_EEvbT1_lPT2_S5_jNS_24const_host_device_scalarIT6_EEPKS3_PKS4_PKT3_PKT4_S8_PT5_21rocsparse_index_base_b.kd
    .uniform_work_group_size: 1
    .uses_dynamic_stack: false
    .vgpr_count:     35
    .vgpr_spill_count: 0
    .wavefront_size: 32
    .workgroup_processor_mode: 1
  - .args:
      - .offset:         0
        .size:           1
        .value_kind:     by_value
      - .offset:         8
        .size:           8
        .value_kind:     by_value
      - .actual_access:  read_only
        .address_space:  global
        .offset:         16
        .size:           8
        .value_kind:     global_buffer
      - .actual_access:  read_only
        .address_space:  global
        .offset:         24
        .size:           8
        .value_kind:     global_buffer
      - .offset:         32
        .size:           4
        .value_kind:     by_value
      - .offset:         40
        .size:           16
        .value_kind:     by_value
      - .actual_access:  read_only
        .address_space:  global
        .offset:         56
        .size:           8
        .value_kind:     global_buffer
      - .actual_access:  read_only
        .address_space:  global
        .offset:         64
        .size:           8
        .value_kind:     global_buffer
      - .actual_access:  read_only
        .address_space:  global
        .offset:         72
        .size:           8
        .value_kind:     global_buffer
      - .actual_access:  read_only
        .address_space:  global
        .offset:         80
        .size:           8
        .value_kind:     global_buffer
      - .offset:         88
        .size:           16
        .value_kind:     by_value
      - .address_space:  global
        .offset:         104
        .size:           8
        .value_kind:     global_buffer
      - .offset:         112
        .size:           4
        .value_kind:     by_value
      - .offset:         116
        .size:           1
        .value_kind:     by_value
    .group_segment_fixed_size: 8192
    .kernarg_segment_align: 8
    .kernarg_segment_size: 120
    .language:       OpenCL C
    .language_version:
      - 2
      - 0
    .max_flat_workgroup_size: 256
    .name:           _ZN9rocsparseL29csrmvn_lrb_medium_rows_kernelILj256Elid21rocsparse_complex_numIdES2_S2_EEvbT0_PT1_S5_jNS_24const_host_device_scalarIT5_EEPKS3_PKS4_PKT2_PKT3_S8_PT4_21rocsparse_index_base_b
    .private_segment_fixed_size: 0
    .sgpr_count:     22
    .sgpr_spill_count: 0
    .symbol:         _ZN9rocsparseL29csrmvn_lrb_medium_rows_kernelILj256Elid21rocsparse_complex_numIdES2_S2_EEvbT0_PT1_S5_jNS_24const_host_device_scalarIT5_EEPKS3_PKS4_PKT2_PKT3_S8_PT4_21rocsparse_index_base_b.kd
    .uniform_work_group_size: 1
    .uses_dynamic_stack: false
    .vgpr_count:     31
    .vgpr_spill_count: 0
    .wavefront_size: 32
    .workgroup_processor_mode: 1
  - .args:
      - .offset:         0
        .size:           1
        .value_kind:     by_value
      - .offset:         8
        .size:           8
        .value_kind:     by_value
      - .address_space:  global
        .offset:         16
        .size:           8
        .value_kind:     global_buffer
      - .actual_access:  read_only
        .address_space:  global
        .offset:         24
        .size:           8
        .value_kind:     global_buffer
      - .actual_access:  read_only
        .address_space:  global
        .offset:         32
        .size:           8
        .value_kind:     global_buffer
      - .offset:         40
        .size:           4
        .value_kind:     by_value
      - .offset:         48
        .size:           16
        .value_kind:     by_value
      - .actual_access:  read_only
        .address_space:  global
        .offset:         64
        .size:           8
        .value_kind:     global_buffer
      - .actual_access:  read_only
        .address_space:  global
        .offset:         72
        .size:           8
        .value_kind:     global_buffer
      - .actual_access:  read_only
        .address_space:  global
        .offset:         80
        .size:           8
        .value_kind:     global_buffer
      - .actual_access:  read_only
        .address_space:  global
        .offset:         88
        .size:           8
        .value_kind:     global_buffer
      - .offset:         96
        .size:           16
        .value_kind:     by_value
      - .address_space:  global
        .offset:         112
        .size:           8
        .value_kind:     global_buffer
      - .offset:         120
        .size:           4
        .value_kind:     by_value
      - .offset:         124
        .size:           1
        .value_kind:     by_value
    .group_segment_fixed_size: 8192
    .kernarg_segment_align: 8
    .kernarg_segment_size: 128
    .language:       OpenCL C
    .language_version:
      - 2
      - 0
    .max_flat_workgroup_size: 256
    .name:           _ZN9rocsparseL27csrmvn_lrb_long_rows_kernelIlid21rocsparse_complex_numIdES2_S2_EEvbT_PjPT0_S6_jNS_24const_host_device_scalarIT4_EEPKS3_PKS5_PKT1_PKT2_S9_PT3_21rocsparse_index_base_b
    .private_segment_fixed_size: 0
    .sgpr_count:     30
    .sgpr_spill_count: 0
    .symbol:         _ZN9rocsparseL27csrmvn_lrb_long_rows_kernelIlid21rocsparse_complex_numIdES2_S2_EEvbT_PjPT0_S6_jNS_24const_host_device_scalarIT4_EEPKS3_PKS5_PKT1_PKT2_S9_PT3_21rocsparse_index_base_b.kd
    .uniform_work_group_size: 1
    .uses_dynamic_stack: false
    .vgpr_count:     27
    .vgpr_spill_count: 0
    .wavefront_size: 32
    .workgroup_processor_mode: 1
  - .args:
      - .offset:         0
        .size:           1
        .value_kind:     by_value
      - .offset:         8
        .size:           8
        .value_kind:     by_value
      - .actual_access:  read_only
        .address_space:  global
        .offset:         16
        .size:           8
        .value_kind:     global_buffer
      - .actual_access:  read_only
        .address_space:  global
        .offset:         24
        .size:           8
        .value_kind:     global_buffer
      - .offset:         32
        .size:           4
        .value_kind:     by_value
      - .offset:         40
        .size:           16
        .value_kind:     by_value
      - .actual_access:  read_only
        .address_space:  global
        .offset:         56
        .size:           8
        .value_kind:     global_buffer
      - .actual_access:  read_only
        .address_space:  global
        .offset:         64
        .size:           8
        .value_kind:     global_buffer
      - .actual_access:  read_only
        .address_space:  global
        .offset:         72
        .size:           8
        .value_kind:     global_buffer
      - .actual_access:  read_only
        .address_space:  global
        .offset:         80
        .size:           8
        .value_kind:     global_buffer
      - .offset:         88
        .size:           16
        .value_kind:     by_value
      - .address_space:  global
        .offset:         104
        .size:           8
        .value_kind:     global_buffer
      - .offset:         112
        .size:           4
        .value_kind:     by_value
      - .offset:         116
        .size:           1
        .value_kind:     by_value
    .group_segment_fixed_size: 0
    .kernarg_segment_align: 8
    .kernarg_segment_size: 120
    .language:       OpenCL C
    .language_version:
      - 2
      - 0
    .max_flat_workgroup_size: 256
    .name:           _ZN9rocsparseL28csrmvn_lrb_short_rows_kernelIlld21rocsparse_complex_numIdES2_S2_EEvbT_PT0_S5_jNS_24const_host_device_scalarIT4_EEPKS3_PKS4_PKT1_PKT2_S8_PT3_21rocsparse_index_base_b
    .private_segment_fixed_size: 24
    .sgpr_count:     26
    .sgpr_spill_count: 0
    .symbol:         _ZN9rocsparseL28csrmvn_lrb_short_rows_kernelIlld21rocsparse_complex_numIdES2_S2_EEvbT_PT0_S5_jNS_24const_host_device_scalarIT4_EEPKS3_PKS4_PKT1_PKT2_S8_PT3_21rocsparse_index_base_b.kd
    .uniform_work_group_size: 1
    .uses_dynamic_stack: false
    .vgpr_count:     30
    .vgpr_spill_count: 0
    .wavefront_size: 32
    .workgroup_processor_mode: 1
  - .args:
      - .offset:         0
        .size:           1
        .value_kind:     by_value
      - .offset:         8
        .size:           8
        .value_kind:     by_value
      - .actual_access:  read_only
        .address_space:  global
        .offset:         16
        .size:           8
        .value_kind:     global_buffer
      - .actual_access:  read_only
        .address_space:  global
        .offset:         24
        .size:           8
        .value_kind:     global_buffer
      - .offset:         32
        .size:           4
        .value_kind:     by_value
      - .offset:         40
        .size:           16
        .value_kind:     by_value
      - .actual_access:  read_only
        .address_space:  global
        .offset:         56
        .size:           8
        .value_kind:     global_buffer
      - .actual_access:  read_only
        .address_space:  global
        .offset:         64
        .size:           8
        .value_kind:     global_buffer
      - .actual_access:  read_only
        .address_space:  global
        .offset:         72
        .size:           8
        .value_kind:     global_buffer
      - .actual_access:  read_only
        .address_space:  global
        .offset:         80
        .size:           8
        .value_kind:     global_buffer
      - .offset:         88
        .size:           16
        .value_kind:     by_value
      - .address_space:  global
        .offset:         104
        .size:           8
        .value_kind:     global_buffer
      - .offset:         112
        .size:           4
        .value_kind:     by_value
      - .offset:         116
        .size:           1
        .value_kind:     by_value
    .group_segment_fixed_size: 16384
    .kernarg_segment_align: 8
    .kernarg_segment_size: 120
    .language:       OpenCL C
    .language_version:
      - 2
      - 0
    .max_flat_workgroup_size: 256
    .name:           _ZN9rocsparseL30csrmvn_lrb_short_rows_2_kernelIlld21rocsparse_complex_numIdES2_S2_EEvbT_PT0_S5_jNS_24const_host_device_scalarIT4_EEPKS3_PKS4_PKT1_PKT2_S8_PT3_21rocsparse_index_base_b
    .private_segment_fixed_size: 24
    .sgpr_count:     22
    .sgpr_spill_count: 0
    .symbol:         _ZN9rocsparseL30csrmvn_lrb_short_rows_2_kernelIlld21rocsparse_complex_numIdES2_S2_EEvbT_PT0_S5_jNS_24const_host_device_scalarIT4_EEPKS3_PKS4_PKT1_PKT2_S8_PT3_21rocsparse_index_base_b.kd
    .uniform_work_group_size: 1
    .uses_dynamic_stack: false
    .vgpr_count:     25
    .vgpr_spill_count: 0
    .wavefront_size: 32
    .workgroup_processor_mode: 1
  - .args:
      - .offset:         0
        .size:           1
        .value_kind:     by_value
      - .offset:         8
        .size:           8
        .value_kind:     by_value
      - .offset:         16
        .size:           8
        .value_kind:     by_value
      - .actual_access:  read_only
        .address_space:  global
        .offset:         24
        .size:           8
        .value_kind:     global_buffer
      - .actual_access:  read_only
        .address_space:  global
        .offset:         32
        .size:           8
        .value_kind:     global_buffer
      - .offset:         40
        .size:           4
        .value_kind:     by_value
      - .offset:         48
        .size:           16
        .value_kind:     by_value
      - .actual_access:  read_only
        .address_space:  global
        .offset:         64
        .size:           8
        .value_kind:     global_buffer
      - .actual_access:  read_only
        .address_space:  global
        .offset:         72
        .size:           8
        .value_kind:     global_buffer
      - .actual_access:  read_only
        .address_space:  global
        .offset:         80
        .size:           8
        .value_kind:     global_buffer
      - .actual_access:  read_only
        .address_space:  global
        .offset:         88
        .size:           8
        .value_kind:     global_buffer
      - .offset:         96
        .size:           16
        .value_kind:     by_value
      - .address_space:  global
        .offset:         112
        .size:           8
        .value_kind:     global_buffer
      - .offset:         120
        .size:           4
        .value_kind:     by_value
      - .offset:         124
        .size:           1
        .value_kind:     by_value
    .group_segment_fixed_size: 4096
    .kernarg_segment_align: 8
    .kernarg_segment_size: 128
    .language:       OpenCL C
    .language_version:
      - 2
      - 0
    .max_flat_workgroup_size: 256
    .name:           _ZN9rocsparseL41csrmvn_lrb_medium_rows_warp_reduce_kernelILj256ELj32Elld21rocsparse_complex_numIdES2_S2_EEvbT1_lPT2_S5_jNS_24const_host_device_scalarIT6_EEPKS3_PKS4_PKT3_PKT4_S8_PT5_21rocsparse_index_base_b
    .private_segment_fixed_size: 0
    .sgpr_count:     20
    .sgpr_spill_count: 0
    .symbol:         _ZN9rocsparseL41csrmvn_lrb_medium_rows_warp_reduce_kernelILj256ELj32Elld21rocsparse_complex_numIdES2_S2_EEvbT1_lPT2_S5_jNS_24const_host_device_scalarIT6_EEPKS3_PKS4_PKT3_PKT4_S8_PT5_21rocsparse_index_base_b.kd
    .uniform_work_group_size: 1
    .uses_dynamic_stack: false
    .vgpr_count:     35
    .vgpr_spill_count: 0
    .wavefront_size: 32
    .workgroup_processor_mode: 1
  - .args:
      - .offset:         0
        .size:           1
        .value_kind:     by_value
      - .offset:         8
        .size:           8
        .value_kind:     by_value
      - .offset:         16
        .size:           8
        .value_kind:     by_value
      - .actual_access:  read_only
        .address_space:  global
        .offset:         24
        .size:           8
        .value_kind:     global_buffer
      - .actual_access:  read_only
        .address_space:  global
        .offset:         32
        .size:           8
        .value_kind:     global_buffer
      - .offset:         40
        .size:           4
        .value_kind:     by_value
      - .offset:         48
        .size:           16
        .value_kind:     by_value
      - .actual_access:  read_only
        .address_space:  global
        .offset:         64
        .size:           8
        .value_kind:     global_buffer
      - .actual_access:  read_only
        .address_space:  global
        .offset:         72
        .size:           8
        .value_kind:     global_buffer
      - .actual_access:  read_only
        .address_space:  global
        .offset:         80
        .size:           8
        .value_kind:     global_buffer
      - .actual_access:  read_only
        .address_space:  global
        .offset:         88
        .size:           8
        .value_kind:     global_buffer
      - .offset:         96
        .size:           16
        .value_kind:     by_value
      - .address_space:  global
        .offset:         112
        .size:           8
        .value_kind:     global_buffer
      - .offset:         120
        .size:           4
        .value_kind:     by_value
      - .offset:         124
        .size:           1
        .value_kind:     by_value
    .group_segment_fixed_size: 4096
    .kernarg_segment_align: 8
    .kernarg_segment_size: 128
    .language:       OpenCL C
    .language_version:
      - 2
      - 0
    .max_flat_workgroup_size: 256
    .name:           _ZN9rocsparseL41csrmvn_lrb_medium_rows_warp_reduce_kernelILj256ELj64Elld21rocsparse_complex_numIdES2_S2_EEvbT1_lPT2_S5_jNS_24const_host_device_scalarIT6_EEPKS3_PKS4_PKT3_PKT4_S8_PT5_21rocsparse_index_base_b
    .private_segment_fixed_size: 0
    .sgpr_count:     20
    .sgpr_spill_count: 0
    .symbol:         _ZN9rocsparseL41csrmvn_lrb_medium_rows_warp_reduce_kernelILj256ELj64Elld21rocsparse_complex_numIdES2_S2_EEvbT1_lPT2_S5_jNS_24const_host_device_scalarIT6_EEPKS3_PKS4_PKT3_PKT4_S8_PT5_21rocsparse_index_base_b.kd
    .uniform_work_group_size: 1
    .uses_dynamic_stack: false
    .vgpr_count:     35
    .vgpr_spill_count: 0
    .wavefront_size: 32
    .workgroup_processor_mode: 1
  - .args:
      - .offset:         0
        .size:           1
        .value_kind:     by_value
      - .offset:         8
        .size:           8
        .value_kind:     by_value
      - .actual_access:  read_only
        .address_space:  global
        .offset:         16
        .size:           8
        .value_kind:     global_buffer
      - .actual_access:  read_only
        .address_space:  global
        .offset:         24
        .size:           8
        .value_kind:     global_buffer
      - .offset:         32
        .size:           4
        .value_kind:     by_value
      - .offset:         40
        .size:           16
        .value_kind:     by_value
      - .actual_access:  read_only
        .address_space:  global
        .offset:         56
        .size:           8
        .value_kind:     global_buffer
      - .actual_access:  read_only
        .address_space:  global
        .offset:         64
        .size:           8
        .value_kind:     global_buffer
      - .actual_access:  read_only
        .address_space:  global
        .offset:         72
        .size:           8
        .value_kind:     global_buffer
      - .actual_access:  read_only
        .address_space:  global
        .offset:         80
        .size:           8
        .value_kind:     global_buffer
      - .offset:         88
        .size:           16
        .value_kind:     by_value
      - .address_space:  global
        .offset:         104
        .size:           8
        .value_kind:     global_buffer
      - .offset:         112
        .size:           4
        .value_kind:     by_value
      - .offset:         116
        .size:           1
        .value_kind:     by_value
    .group_segment_fixed_size: 8192
    .kernarg_segment_align: 8
    .kernarg_segment_size: 120
    .language:       OpenCL C
    .language_version:
      - 2
      - 0
    .max_flat_workgroup_size: 256
    .name:           _ZN9rocsparseL29csrmvn_lrb_medium_rows_kernelILj256Elld21rocsparse_complex_numIdES2_S2_EEvbT0_PT1_S5_jNS_24const_host_device_scalarIT5_EEPKS3_PKS4_PKT2_PKT3_S8_PT4_21rocsparse_index_base_b
    .private_segment_fixed_size: 0
    .sgpr_count:     22
    .sgpr_spill_count: 0
    .symbol:         _ZN9rocsparseL29csrmvn_lrb_medium_rows_kernelILj256Elld21rocsparse_complex_numIdES2_S2_EEvbT0_PT1_S5_jNS_24const_host_device_scalarIT5_EEPKS3_PKS4_PKT2_PKT3_S8_PT4_21rocsparse_index_base_b.kd
    .uniform_work_group_size: 1
    .uses_dynamic_stack: false
    .vgpr_count:     31
    .vgpr_spill_count: 0
    .wavefront_size: 32
    .workgroup_processor_mode: 1
  - .args:
      - .offset:         0
        .size:           1
        .value_kind:     by_value
      - .offset:         8
        .size:           8
        .value_kind:     by_value
      - .address_space:  global
        .offset:         16
        .size:           8
        .value_kind:     global_buffer
      - .actual_access:  read_only
        .address_space:  global
        .offset:         24
        .size:           8
        .value_kind:     global_buffer
      - .actual_access:  read_only
        .address_space:  global
        .offset:         32
        .size:           8
        .value_kind:     global_buffer
      - .offset:         40
        .size:           4
        .value_kind:     by_value
      - .offset:         48
        .size:           16
        .value_kind:     by_value
      - .actual_access:  read_only
        .address_space:  global
        .offset:         64
        .size:           8
        .value_kind:     global_buffer
      - .actual_access:  read_only
        .address_space:  global
        .offset:         72
        .size:           8
        .value_kind:     global_buffer
      - .actual_access:  read_only
        .address_space:  global
        .offset:         80
        .size:           8
        .value_kind:     global_buffer
      - .actual_access:  read_only
        .address_space:  global
        .offset:         88
        .size:           8
        .value_kind:     global_buffer
      - .offset:         96
        .size:           16
        .value_kind:     by_value
      - .address_space:  global
        .offset:         112
        .size:           8
        .value_kind:     global_buffer
      - .offset:         120
        .size:           4
        .value_kind:     by_value
      - .offset:         124
        .size:           1
        .value_kind:     by_value
    .group_segment_fixed_size: 8192
    .kernarg_segment_align: 8
    .kernarg_segment_size: 128
    .language:       OpenCL C
    .language_version:
      - 2
      - 0
    .max_flat_workgroup_size: 256
    .name:           _ZN9rocsparseL27csrmvn_lrb_long_rows_kernelIlld21rocsparse_complex_numIdES2_S2_EEvbT_PjPT0_S6_jNS_24const_host_device_scalarIT4_EEPKS3_PKS5_PKT1_PKT2_S9_PT3_21rocsparse_index_base_b
    .private_segment_fixed_size: 0
    .sgpr_count:     30
    .sgpr_spill_count: 0
    .symbol:         _ZN9rocsparseL27csrmvn_lrb_long_rows_kernelIlld21rocsparse_complex_numIdES2_S2_EEvbT_PjPT0_S6_jNS_24const_host_device_scalarIT4_EEPKS3_PKS5_PKT1_PKT2_S9_PT3_21rocsparse_index_base_b.kd
    .uniform_work_group_size: 1
    .uses_dynamic_stack: false
    .vgpr_count:     27
    .vgpr_spill_count: 0
    .wavefront_size: 32
    .workgroup_processor_mode: 1
  - .args:
      - .offset:         0
        .size:           1
        .value_kind:     by_value
      - .offset:         4
        .size:           4
        .value_kind:     by_value
      - .actual_access:  read_only
        .address_space:  global
        .offset:         8
        .size:           8
        .value_kind:     global_buffer
      - .actual_access:  read_only
        .address_space:  global
        .offset:         16
        .size:           8
        .value_kind:     global_buffer
      - .offset:         24
        .size:           4
        .value_kind:     by_value
      - .offset:         32
        .size:           16
        .value_kind:     by_value
      - .actual_access:  read_only
        .address_space:  global
        .offset:         48
        .size:           8
        .value_kind:     global_buffer
      - .actual_access:  read_only
        .address_space:  global
        .offset:         56
        .size:           8
        .value_kind:     global_buffer
      - .actual_access:  read_only
        .address_space:  global
        .offset:         64
        .size:           8
        .value_kind:     global_buffer
      - .actual_access:  read_only
        .address_space:  global
        .offset:         72
        .size:           8
        .value_kind:     global_buffer
      - .offset:         80
        .size:           16
        .value_kind:     by_value
      - .address_space:  global
        .offset:         96
        .size:           8
        .value_kind:     global_buffer
      - .offset:         104
        .size:           4
        .value_kind:     by_value
      - .offset:         108
        .size:           1
        .value_kind:     by_value
    .group_segment_fixed_size: 0
    .kernarg_segment_align: 8
    .kernarg_segment_size: 112
    .language:       OpenCL C
    .language_version:
      - 2
      - 0
    .max_flat_workgroup_size: 256
    .name:           _ZN9rocsparseL28csrmvn_lrb_short_rows_kernelIii21rocsparse_complex_numIfES1_IdES3_S3_EEvbT_PT0_S6_jNS_24const_host_device_scalarIT4_EEPKS4_PKS5_PKT1_PKT2_S9_PT3_21rocsparse_index_base_b
    .private_segment_fixed_size: 24
    .sgpr_count:     24
    .sgpr_spill_count: 0
    .symbol:         _ZN9rocsparseL28csrmvn_lrb_short_rows_kernelIii21rocsparse_complex_numIfES1_IdES3_S3_EEvbT_PT0_S6_jNS_24const_host_device_scalarIT4_EEPKS4_PKS5_PKT1_PKT2_S9_PT3_21rocsparse_index_base_b.kd
    .uniform_work_group_size: 1
    .uses_dynamic_stack: false
    .vgpr_count:     24
    .vgpr_spill_count: 0
    .wavefront_size: 32
    .workgroup_processor_mode: 1
  - .args:
      - .offset:         0
        .size:           1
        .value_kind:     by_value
      - .offset:         4
        .size:           4
        .value_kind:     by_value
      - .actual_access:  read_only
        .address_space:  global
        .offset:         8
        .size:           8
        .value_kind:     global_buffer
      - .actual_access:  read_only
        .address_space:  global
        .offset:         16
        .size:           8
        .value_kind:     global_buffer
      - .offset:         24
        .size:           4
        .value_kind:     by_value
      - .offset:         32
        .size:           16
        .value_kind:     by_value
      - .actual_access:  read_only
        .address_space:  global
        .offset:         48
        .size:           8
        .value_kind:     global_buffer
      - .actual_access:  read_only
        .address_space:  global
        .offset:         56
        .size:           8
        .value_kind:     global_buffer
      - .actual_access:  read_only
        .address_space:  global
        .offset:         64
        .size:           8
        .value_kind:     global_buffer
      - .actual_access:  read_only
        .address_space:  global
        .offset:         72
        .size:           8
        .value_kind:     global_buffer
      - .offset:         80
        .size:           16
        .value_kind:     by_value
      - .address_space:  global
        .offset:         96
        .size:           8
        .value_kind:     global_buffer
      - .offset:         104
        .size:           4
        .value_kind:     by_value
      - .offset:         108
        .size:           1
        .value_kind:     by_value
    .group_segment_fixed_size: 16384
    .kernarg_segment_align: 8
    .kernarg_segment_size: 112
    .language:       OpenCL C
    .language_version:
      - 2
      - 0
    .max_flat_workgroup_size: 256
    .name:           _ZN9rocsparseL30csrmvn_lrb_short_rows_2_kernelIii21rocsparse_complex_numIfES1_IdES3_S3_EEvbT_PT0_S6_jNS_24const_host_device_scalarIT4_EEPKS4_PKS5_PKT1_PKT2_S9_PT3_21rocsparse_index_base_b
    .private_segment_fixed_size: 24
    .sgpr_count:     23
    .sgpr_spill_count: 0
    .symbol:         _ZN9rocsparseL30csrmvn_lrb_short_rows_2_kernelIii21rocsparse_complex_numIfES1_IdES3_S3_EEvbT_PT0_S6_jNS_24const_host_device_scalarIT4_EEPKS4_PKS5_PKT1_PKT2_S9_PT3_21rocsparse_index_base_b.kd
    .uniform_work_group_size: 1
    .uses_dynamic_stack: false
    .vgpr_count:     23
    .vgpr_spill_count: 0
    .wavefront_size: 32
    .workgroup_processor_mode: 1
  - .args:
      - .offset:         0
        .size:           1
        .value_kind:     by_value
      - .offset:         4
        .size:           4
        .value_kind:     by_value
      - .offset:         8
        .size:           8
        .value_kind:     by_value
      - .actual_access:  read_only
        .address_space:  global
        .offset:         16
        .size:           8
        .value_kind:     global_buffer
      - .actual_access:  read_only
        .address_space:  global
        .offset:         24
        .size:           8
        .value_kind:     global_buffer
      - .offset:         32
        .size:           4
        .value_kind:     by_value
      - .offset:         40
        .size:           16
        .value_kind:     by_value
      - .actual_access:  read_only
        .address_space:  global
        .offset:         56
        .size:           8
        .value_kind:     global_buffer
      - .actual_access:  read_only
        .address_space:  global
        .offset:         64
        .size:           8
        .value_kind:     global_buffer
      - .actual_access:  read_only
        .address_space:  global
        .offset:         72
        .size:           8
        .value_kind:     global_buffer
      - .actual_access:  read_only
        .address_space:  global
        .offset:         80
        .size:           8
        .value_kind:     global_buffer
      - .offset:         88
        .size:           16
        .value_kind:     by_value
      - .address_space:  global
        .offset:         104
        .size:           8
        .value_kind:     global_buffer
      - .offset:         112
        .size:           4
        .value_kind:     by_value
      - .offset:         116
        .size:           1
        .value_kind:     by_value
    .group_segment_fixed_size: 4096
    .kernarg_segment_align: 8
    .kernarg_segment_size: 120
    .language:       OpenCL C
    .language_version:
      - 2
      - 0
    .max_flat_workgroup_size: 256
    .name:           _ZN9rocsparseL41csrmvn_lrb_medium_rows_warp_reduce_kernelILj256ELj32Eii21rocsparse_complex_numIfES1_IdES3_S3_EEvbT1_lPT2_S6_jNS_24const_host_device_scalarIT6_EEPKS4_PKS5_PKT3_PKT4_S9_PT5_21rocsparse_index_base_b
    .private_segment_fixed_size: 0
    .sgpr_count:     20
    .sgpr_spill_count: 0
    .symbol:         _ZN9rocsparseL41csrmvn_lrb_medium_rows_warp_reduce_kernelILj256ELj32Eii21rocsparse_complex_numIfES1_IdES3_S3_EEvbT1_lPT2_S6_jNS_24const_host_device_scalarIT6_EEPKS4_PKS5_PKT3_PKT4_S9_PT5_21rocsparse_index_base_b.kd
    .uniform_work_group_size: 1
    .uses_dynamic_stack: false
    .vgpr_count:     29
    .vgpr_spill_count: 0
    .wavefront_size: 32
    .workgroup_processor_mode: 1
  - .args:
      - .offset:         0
        .size:           1
        .value_kind:     by_value
      - .offset:         4
        .size:           4
        .value_kind:     by_value
      - .offset:         8
        .size:           8
        .value_kind:     by_value
      - .actual_access:  read_only
        .address_space:  global
        .offset:         16
        .size:           8
        .value_kind:     global_buffer
      - .actual_access:  read_only
        .address_space:  global
        .offset:         24
        .size:           8
        .value_kind:     global_buffer
      - .offset:         32
        .size:           4
        .value_kind:     by_value
      - .offset:         40
        .size:           16
        .value_kind:     by_value
      - .actual_access:  read_only
        .address_space:  global
        .offset:         56
        .size:           8
        .value_kind:     global_buffer
      - .actual_access:  read_only
        .address_space:  global
        .offset:         64
        .size:           8
        .value_kind:     global_buffer
      - .actual_access:  read_only
        .address_space:  global
        .offset:         72
        .size:           8
        .value_kind:     global_buffer
      - .actual_access:  read_only
        .address_space:  global
        .offset:         80
        .size:           8
        .value_kind:     global_buffer
      - .offset:         88
        .size:           16
        .value_kind:     by_value
      - .address_space:  global
        .offset:         104
        .size:           8
        .value_kind:     global_buffer
      - .offset:         112
        .size:           4
        .value_kind:     by_value
      - .offset:         116
        .size:           1
        .value_kind:     by_value
    .group_segment_fixed_size: 4096
    .kernarg_segment_align: 8
    .kernarg_segment_size: 120
    .language:       OpenCL C
    .language_version:
      - 2
      - 0
    .max_flat_workgroup_size: 256
    .name:           _ZN9rocsparseL41csrmvn_lrb_medium_rows_warp_reduce_kernelILj256ELj64Eii21rocsparse_complex_numIfES1_IdES3_S3_EEvbT1_lPT2_S6_jNS_24const_host_device_scalarIT6_EEPKS4_PKS5_PKT3_PKT4_S9_PT5_21rocsparse_index_base_b
    .private_segment_fixed_size: 0
    .sgpr_count:     20
    .sgpr_spill_count: 0
    .symbol:         _ZN9rocsparseL41csrmvn_lrb_medium_rows_warp_reduce_kernelILj256ELj64Eii21rocsparse_complex_numIfES1_IdES3_S3_EEvbT1_lPT2_S6_jNS_24const_host_device_scalarIT6_EEPKS4_PKS5_PKT3_PKT4_S9_PT5_21rocsparse_index_base_b.kd
    .uniform_work_group_size: 1
    .uses_dynamic_stack: false
    .vgpr_count:     29
    .vgpr_spill_count: 0
    .wavefront_size: 32
    .workgroup_processor_mode: 1
  - .args:
      - .offset:         0
        .size:           1
        .value_kind:     by_value
      - .offset:         4
        .size:           4
        .value_kind:     by_value
      - .actual_access:  read_only
        .address_space:  global
        .offset:         8
        .size:           8
        .value_kind:     global_buffer
      - .actual_access:  read_only
        .address_space:  global
        .offset:         16
        .size:           8
        .value_kind:     global_buffer
      - .offset:         24
        .size:           4
        .value_kind:     by_value
      - .offset:         32
        .size:           16
        .value_kind:     by_value
      - .actual_access:  read_only
        .address_space:  global
        .offset:         48
        .size:           8
        .value_kind:     global_buffer
      - .actual_access:  read_only
        .address_space:  global
        .offset:         56
        .size:           8
        .value_kind:     global_buffer
      - .actual_access:  read_only
        .address_space:  global
        .offset:         64
        .size:           8
        .value_kind:     global_buffer
      - .actual_access:  read_only
        .address_space:  global
        .offset:         72
        .size:           8
        .value_kind:     global_buffer
      - .offset:         80
        .size:           16
        .value_kind:     by_value
      - .address_space:  global
        .offset:         96
        .size:           8
        .value_kind:     global_buffer
      - .offset:         104
        .size:           4
        .value_kind:     by_value
      - .offset:         108
        .size:           1
        .value_kind:     by_value
    .group_segment_fixed_size: 8192
    .kernarg_segment_align: 8
    .kernarg_segment_size: 112
    .language:       OpenCL C
    .language_version:
      - 2
      - 0
    .max_flat_workgroup_size: 256
    .name:           _ZN9rocsparseL29csrmvn_lrb_medium_rows_kernelILj256Eii21rocsparse_complex_numIfES1_IdES3_S3_EEvbT0_PT1_S6_jNS_24const_host_device_scalarIT5_EEPKS4_PKS5_PKT2_PKT3_S9_PT4_21rocsparse_index_base_b
    .private_segment_fixed_size: 0
    .sgpr_count:     20
    .sgpr_spill_count: 0
    .symbol:         _ZN9rocsparseL29csrmvn_lrb_medium_rows_kernelILj256Eii21rocsparse_complex_numIfES1_IdES3_S3_EEvbT0_PT1_S6_jNS_24const_host_device_scalarIT5_EEPKS4_PKS5_PKT2_PKT3_S9_PT4_21rocsparse_index_base_b.kd
    .uniform_work_group_size: 1
    .uses_dynamic_stack: false
    .vgpr_count:     26
    .vgpr_spill_count: 0
    .wavefront_size: 32
    .workgroup_processor_mode: 1
  - .args:
      - .offset:         0
        .size:           1
        .value_kind:     by_value
      - .offset:         4
        .size:           4
        .value_kind:     by_value
      - .address_space:  global
        .offset:         8
        .size:           8
        .value_kind:     global_buffer
      - .actual_access:  read_only
        .address_space:  global
        .offset:         16
        .size:           8
        .value_kind:     global_buffer
      - .actual_access:  read_only
        .address_space:  global
        .offset:         24
        .size:           8
        .value_kind:     global_buffer
      - .offset:         32
        .size:           4
        .value_kind:     by_value
      - .offset:         40
        .size:           16
        .value_kind:     by_value
      - .actual_access:  read_only
        .address_space:  global
        .offset:         56
        .size:           8
        .value_kind:     global_buffer
      - .actual_access:  read_only
        .address_space:  global
        .offset:         64
        .size:           8
        .value_kind:     global_buffer
      - .actual_access:  read_only
        .address_space:  global
        .offset:         72
        .size:           8
        .value_kind:     global_buffer
      - .actual_access:  read_only
        .address_space:  global
        .offset:         80
        .size:           8
        .value_kind:     global_buffer
      - .offset:         88
        .size:           16
        .value_kind:     by_value
      - .address_space:  global
        .offset:         104
        .size:           8
        .value_kind:     global_buffer
      - .offset:         112
        .size:           4
        .value_kind:     by_value
      - .offset:         116
        .size:           1
        .value_kind:     by_value
    .group_segment_fixed_size: 8192
    .kernarg_segment_align: 8
    .kernarg_segment_size: 120
    .language:       OpenCL C
    .language_version:
      - 2
      - 0
    .max_flat_workgroup_size: 256
    .name:           _ZN9rocsparseL27csrmvn_lrb_long_rows_kernelIii21rocsparse_complex_numIfES1_IdES3_S3_EEvbT_PjPT0_S7_jNS_24const_host_device_scalarIT4_EEPKS4_PKS6_PKT1_PKT2_SA_PT3_21rocsparse_index_base_b
    .private_segment_fixed_size: 0
    .sgpr_count:     28
    .sgpr_spill_count: 0
    .symbol:         _ZN9rocsparseL27csrmvn_lrb_long_rows_kernelIii21rocsparse_complex_numIfES1_IdES3_S3_EEvbT_PjPT0_S7_jNS_24const_host_device_scalarIT4_EEPKS4_PKS6_PKT1_PKT2_SA_PT3_21rocsparse_index_base_b.kd
    .uniform_work_group_size: 1
    .uses_dynamic_stack: false
    .vgpr_count:     21
    .vgpr_spill_count: 0
    .wavefront_size: 32
    .workgroup_processor_mode: 1
  - .args:
      - .offset:         0
        .size:           1
        .value_kind:     by_value
      - .offset:         8
        .size:           8
        .value_kind:     by_value
      - .actual_access:  read_only
        .address_space:  global
        .offset:         16
        .size:           8
        .value_kind:     global_buffer
      - .actual_access:  read_only
        .address_space:  global
        .offset:         24
        .size:           8
        .value_kind:     global_buffer
      - .offset:         32
        .size:           4
        .value_kind:     by_value
      - .offset:         40
        .size:           16
        .value_kind:     by_value
      - .actual_access:  read_only
        .address_space:  global
        .offset:         56
        .size:           8
        .value_kind:     global_buffer
      - .actual_access:  read_only
        .address_space:  global
        .offset:         64
        .size:           8
        .value_kind:     global_buffer
      - .actual_access:  read_only
        .address_space:  global
        .offset:         72
        .size:           8
        .value_kind:     global_buffer
      - .actual_access:  read_only
        .address_space:  global
        .offset:         80
        .size:           8
        .value_kind:     global_buffer
      - .offset:         88
        .size:           16
        .value_kind:     by_value
      - .address_space:  global
        .offset:         104
        .size:           8
        .value_kind:     global_buffer
      - .offset:         112
        .size:           4
        .value_kind:     by_value
      - .offset:         116
        .size:           1
        .value_kind:     by_value
    .group_segment_fixed_size: 0
    .kernarg_segment_align: 8
    .kernarg_segment_size: 120
    .language:       OpenCL C
    .language_version:
      - 2
      - 0
    .max_flat_workgroup_size: 256
    .name:           _ZN9rocsparseL28csrmvn_lrb_short_rows_kernelIli21rocsparse_complex_numIfES1_IdES3_S3_EEvbT_PT0_S6_jNS_24const_host_device_scalarIT4_EEPKS4_PKS5_PKT1_PKT2_S9_PT3_21rocsparse_index_base_b
    .private_segment_fixed_size: 24
    .sgpr_count:     24
    .sgpr_spill_count: 0
    .symbol:         _ZN9rocsparseL28csrmvn_lrb_short_rows_kernelIli21rocsparse_complex_numIfES1_IdES3_S3_EEvbT_PT0_S6_jNS_24const_host_device_scalarIT4_EEPKS4_PKS5_PKT1_PKT2_S9_PT3_21rocsparse_index_base_b.kd
    .uniform_work_group_size: 1
    .uses_dynamic_stack: false
    .vgpr_count:     26
    .vgpr_spill_count: 0
    .wavefront_size: 32
    .workgroup_processor_mode: 1
  - .args:
      - .offset:         0
        .size:           1
        .value_kind:     by_value
      - .offset:         8
        .size:           8
        .value_kind:     by_value
      - .actual_access:  read_only
        .address_space:  global
        .offset:         16
        .size:           8
        .value_kind:     global_buffer
      - .actual_access:  read_only
        .address_space:  global
        .offset:         24
        .size:           8
        .value_kind:     global_buffer
      - .offset:         32
        .size:           4
        .value_kind:     by_value
      - .offset:         40
        .size:           16
        .value_kind:     by_value
      - .actual_access:  read_only
        .address_space:  global
        .offset:         56
        .size:           8
        .value_kind:     global_buffer
      - .actual_access:  read_only
        .address_space:  global
        .offset:         64
        .size:           8
        .value_kind:     global_buffer
      - .actual_access:  read_only
        .address_space:  global
        .offset:         72
        .size:           8
        .value_kind:     global_buffer
      - .actual_access:  read_only
        .address_space:  global
        .offset:         80
        .size:           8
        .value_kind:     global_buffer
      - .offset:         88
        .size:           16
        .value_kind:     by_value
      - .address_space:  global
        .offset:         104
        .size:           8
        .value_kind:     global_buffer
      - .offset:         112
        .size:           4
        .value_kind:     by_value
      - .offset:         116
        .size:           1
        .value_kind:     by_value
    .group_segment_fixed_size: 16384
    .kernarg_segment_align: 8
    .kernarg_segment_size: 120
    .language:       OpenCL C
    .language_version:
      - 2
      - 0
    .max_flat_workgroup_size: 256
    .name:           _ZN9rocsparseL30csrmvn_lrb_short_rows_2_kernelIli21rocsparse_complex_numIfES1_IdES3_S3_EEvbT_PT0_S6_jNS_24const_host_device_scalarIT4_EEPKS4_PKS5_PKT1_PKT2_S9_PT3_21rocsparse_index_base_b
    .private_segment_fixed_size: 24
    .sgpr_count:     23
    .sgpr_spill_count: 0
    .symbol:         _ZN9rocsparseL30csrmvn_lrb_short_rows_2_kernelIli21rocsparse_complex_numIfES1_IdES3_S3_EEvbT_PT0_S6_jNS_24const_host_device_scalarIT4_EEPKS4_PKS5_PKT1_PKT2_S9_PT3_21rocsparse_index_base_b.kd
    .uniform_work_group_size: 1
    .uses_dynamic_stack: false
    .vgpr_count:     21
    .vgpr_spill_count: 0
    .wavefront_size: 32
    .workgroup_processor_mode: 1
  - .args:
      - .offset:         0
        .size:           1
        .value_kind:     by_value
      - .offset:         8
        .size:           8
        .value_kind:     by_value
      - .offset:         16
        .size:           8
        .value_kind:     by_value
      - .actual_access:  read_only
        .address_space:  global
        .offset:         24
        .size:           8
        .value_kind:     global_buffer
      - .actual_access:  read_only
        .address_space:  global
        .offset:         32
        .size:           8
        .value_kind:     global_buffer
      - .offset:         40
        .size:           4
        .value_kind:     by_value
      - .offset:         48
        .size:           16
        .value_kind:     by_value
      - .actual_access:  read_only
        .address_space:  global
        .offset:         64
        .size:           8
        .value_kind:     global_buffer
      - .actual_access:  read_only
        .address_space:  global
        .offset:         72
        .size:           8
        .value_kind:     global_buffer
      - .actual_access:  read_only
        .address_space:  global
        .offset:         80
        .size:           8
        .value_kind:     global_buffer
      - .actual_access:  read_only
        .address_space:  global
        .offset:         88
        .size:           8
        .value_kind:     global_buffer
      - .offset:         96
        .size:           16
        .value_kind:     by_value
      - .address_space:  global
        .offset:         112
        .size:           8
        .value_kind:     global_buffer
      - .offset:         120
        .size:           4
        .value_kind:     by_value
      - .offset:         124
        .size:           1
        .value_kind:     by_value
    .group_segment_fixed_size: 4096
    .kernarg_segment_align: 8
    .kernarg_segment_size: 128
    .language:       OpenCL C
    .language_version:
      - 2
      - 0
    .max_flat_workgroup_size: 256
    .name:           _ZN9rocsparseL41csrmvn_lrb_medium_rows_warp_reduce_kernelILj256ELj32Eli21rocsparse_complex_numIfES1_IdES3_S3_EEvbT1_lPT2_S6_jNS_24const_host_device_scalarIT6_EEPKS4_PKS5_PKT3_PKT4_S9_PT5_21rocsparse_index_base_b
    .private_segment_fixed_size: 0
    .sgpr_count:     20
    .sgpr_spill_count: 0
    .symbol:         _ZN9rocsparseL41csrmvn_lrb_medium_rows_warp_reduce_kernelILj256ELj32Eli21rocsparse_complex_numIfES1_IdES3_S3_EEvbT1_lPT2_S6_jNS_24const_host_device_scalarIT6_EEPKS4_PKS5_PKT3_PKT4_S9_PT5_21rocsparse_index_base_b.kd
    .uniform_work_group_size: 1
    .uses_dynamic_stack: false
    .vgpr_count:     34
    .vgpr_spill_count: 0
    .wavefront_size: 32
    .workgroup_processor_mode: 1
  - .args:
      - .offset:         0
        .size:           1
        .value_kind:     by_value
      - .offset:         8
        .size:           8
        .value_kind:     by_value
      - .offset:         16
        .size:           8
        .value_kind:     by_value
      - .actual_access:  read_only
        .address_space:  global
        .offset:         24
        .size:           8
        .value_kind:     global_buffer
      - .actual_access:  read_only
        .address_space:  global
        .offset:         32
        .size:           8
        .value_kind:     global_buffer
      - .offset:         40
        .size:           4
        .value_kind:     by_value
      - .offset:         48
        .size:           16
        .value_kind:     by_value
      - .actual_access:  read_only
        .address_space:  global
        .offset:         64
        .size:           8
        .value_kind:     global_buffer
      - .actual_access:  read_only
        .address_space:  global
        .offset:         72
        .size:           8
        .value_kind:     global_buffer
      - .actual_access:  read_only
        .address_space:  global
        .offset:         80
        .size:           8
        .value_kind:     global_buffer
      - .actual_access:  read_only
        .address_space:  global
        .offset:         88
        .size:           8
        .value_kind:     global_buffer
      - .offset:         96
        .size:           16
        .value_kind:     by_value
      - .address_space:  global
        .offset:         112
        .size:           8
        .value_kind:     global_buffer
      - .offset:         120
        .size:           4
        .value_kind:     by_value
      - .offset:         124
        .size:           1
        .value_kind:     by_value
    .group_segment_fixed_size: 4096
    .kernarg_segment_align: 8
    .kernarg_segment_size: 128
    .language:       OpenCL C
    .language_version:
      - 2
      - 0
    .max_flat_workgroup_size: 256
    .name:           _ZN9rocsparseL41csrmvn_lrb_medium_rows_warp_reduce_kernelILj256ELj64Eli21rocsparse_complex_numIfES1_IdES3_S3_EEvbT1_lPT2_S6_jNS_24const_host_device_scalarIT6_EEPKS4_PKS5_PKT3_PKT4_S9_PT5_21rocsparse_index_base_b
    .private_segment_fixed_size: 0
    .sgpr_count:     20
    .sgpr_spill_count: 0
    .symbol:         _ZN9rocsparseL41csrmvn_lrb_medium_rows_warp_reduce_kernelILj256ELj64Eli21rocsparse_complex_numIfES1_IdES3_S3_EEvbT1_lPT2_S6_jNS_24const_host_device_scalarIT6_EEPKS4_PKS5_PKT3_PKT4_S9_PT5_21rocsparse_index_base_b.kd
    .uniform_work_group_size: 1
    .uses_dynamic_stack: false
    .vgpr_count:     34
    .vgpr_spill_count: 0
    .wavefront_size: 32
    .workgroup_processor_mode: 1
  - .args:
      - .offset:         0
        .size:           1
        .value_kind:     by_value
      - .offset:         8
        .size:           8
        .value_kind:     by_value
      - .actual_access:  read_only
        .address_space:  global
        .offset:         16
        .size:           8
        .value_kind:     global_buffer
      - .actual_access:  read_only
        .address_space:  global
        .offset:         24
        .size:           8
        .value_kind:     global_buffer
      - .offset:         32
        .size:           4
        .value_kind:     by_value
      - .offset:         40
        .size:           16
        .value_kind:     by_value
      - .actual_access:  read_only
        .address_space:  global
        .offset:         56
        .size:           8
        .value_kind:     global_buffer
      - .actual_access:  read_only
        .address_space:  global
        .offset:         64
        .size:           8
        .value_kind:     global_buffer
      - .actual_access:  read_only
        .address_space:  global
        .offset:         72
        .size:           8
        .value_kind:     global_buffer
      - .actual_access:  read_only
        .address_space:  global
        .offset:         80
        .size:           8
        .value_kind:     global_buffer
      - .offset:         88
        .size:           16
        .value_kind:     by_value
      - .address_space:  global
        .offset:         104
        .size:           8
        .value_kind:     global_buffer
      - .offset:         112
        .size:           4
        .value_kind:     by_value
      - .offset:         116
        .size:           1
        .value_kind:     by_value
    .group_segment_fixed_size: 8192
    .kernarg_segment_align: 8
    .kernarg_segment_size: 120
    .language:       OpenCL C
    .language_version:
      - 2
      - 0
    .max_flat_workgroup_size: 256
    .name:           _ZN9rocsparseL29csrmvn_lrb_medium_rows_kernelILj256Eli21rocsparse_complex_numIfES1_IdES3_S3_EEvbT0_PT1_S6_jNS_24const_host_device_scalarIT5_EEPKS4_PKS5_PKT2_PKT3_S9_PT4_21rocsparse_index_base_b
    .private_segment_fixed_size: 0
    .sgpr_count:     22
    .sgpr_spill_count: 0
    .symbol:         _ZN9rocsparseL29csrmvn_lrb_medium_rows_kernelILj256Eli21rocsparse_complex_numIfES1_IdES3_S3_EEvbT0_PT1_S6_jNS_24const_host_device_scalarIT5_EEPKS4_PKS5_PKT2_PKT3_S9_PT4_21rocsparse_index_base_b.kd
    .uniform_work_group_size: 1
    .uses_dynamic_stack: false
    .vgpr_count:     30
    .vgpr_spill_count: 0
    .wavefront_size: 32
    .workgroup_processor_mode: 1
  - .args:
      - .offset:         0
        .size:           1
        .value_kind:     by_value
      - .offset:         8
        .size:           8
        .value_kind:     by_value
      - .address_space:  global
        .offset:         16
        .size:           8
        .value_kind:     global_buffer
      - .actual_access:  read_only
        .address_space:  global
        .offset:         24
        .size:           8
        .value_kind:     global_buffer
      - .actual_access:  read_only
        .address_space:  global
        .offset:         32
        .size:           8
        .value_kind:     global_buffer
      - .offset:         40
        .size:           4
        .value_kind:     by_value
      - .offset:         48
        .size:           16
        .value_kind:     by_value
      - .actual_access:  read_only
        .address_space:  global
        .offset:         64
        .size:           8
        .value_kind:     global_buffer
      - .actual_access:  read_only
        .address_space:  global
        .offset:         72
        .size:           8
        .value_kind:     global_buffer
      - .actual_access:  read_only
        .address_space:  global
        .offset:         80
        .size:           8
        .value_kind:     global_buffer
      - .actual_access:  read_only
        .address_space:  global
        .offset:         88
        .size:           8
        .value_kind:     global_buffer
      - .offset:         96
        .size:           16
        .value_kind:     by_value
      - .address_space:  global
        .offset:         112
        .size:           8
        .value_kind:     global_buffer
      - .offset:         120
        .size:           4
        .value_kind:     by_value
      - .offset:         124
        .size:           1
        .value_kind:     by_value
    .group_segment_fixed_size: 8192
    .kernarg_segment_align: 8
    .kernarg_segment_size: 128
    .language:       OpenCL C
    .language_version:
      - 2
      - 0
    .max_flat_workgroup_size: 256
    .name:           _ZN9rocsparseL27csrmvn_lrb_long_rows_kernelIli21rocsparse_complex_numIfES1_IdES3_S3_EEvbT_PjPT0_S7_jNS_24const_host_device_scalarIT4_EEPKS4_PKS6_PKT1_PKT2_SA_PT3_21rocsparse_index_base_b
    .private_segment_fixed_size: 0
    .sgpr_count:     30
    .sgpr_spill_count: 0
    .symbol:         _ZN9rocsparseL27csrmvn_lrb_long_rows_kernelIli21rocsparse_complex_numIfES1_IdES3_S3_EEvbT_PjPT0_S7_jNS_24const_host_device_scalarIT4_EEPKS4_PKS6_PKT1_PKT2_SA_PT3_21rocsparse_index_base_b.kd
    .uniform_work_group_size: 1
    .uses_dynamic_stack: false
    .vgpr_count:     26
    .vgpr_spill_count: 0
    .wavefront_size: 32
    .workgroup_processor_mode: 1
  - .args:
      - .offset:         0
        .size:           1
        .value_kind:     by_value
      - .offset:         8
        .size:           8
        .value_kind:     by_value
      - .actual_access:  read_only
        .address_space:  global
        .offset:         16
        .size:           8
        .value_kind:     global_buffer
      - .actual_access:  read_only
        .address_space:  global
        .offset:         24
        .size:           8
        .value_kind:     global_buffer
      - .offset:         32
        .size:           4
        .value_kind:     by_value
      - .offset:         40
        .size:           16
        .value_kind:     by_value
      - .actual_access:  read_only
        .address_space:  global
        .offset:         56
        .size:           8
        .value_kind:     global_buffer
      - .actual_access:  read_only
        .address_space:  global
        .offset:         64
        .size:           8
        .value_kind:     global_buffer
      - .actual_access:  read_only
        .address_space:  global
        .offset:         72
        .size:           8
        .value_kind:     global_buffer
      - .actual_access:  read_only
        .address_space:  global
        .offset:         80
        .size:           8
        .value_kind:     global_buffer
      - .offset:         88
        .size:           16
        .value_kind:     by_value
      - .address_space:  global
        .offset:         104
        .size:           8
        .value_kind:     global_buffer
      - .offset:         112
        .size:           4
        .value_kind:     by_value
      - .offset:         116
        .size:           1
        .value_kind:     by_value
    .group_segment_fixed_size: 0
    .kernarg_segment_align: 8
    .kernarg_segment_size: 120
    .language:       OpenCL C
    .language_version:
      - 2
      - 0
    .max_flat_workgroup_size: 256
    .name:           _ZN9rocsparseL28csrmvn_lrb_short_rows_kernelIll21rocsparse_complex_numIfES1_IdES3_S3_EEvbT_PT0_S6_jNS_24const_host_device_scalarIT4_EEPKS4_PKS5_PKT1_PKT2_S9_PT3_21rocsparse_index_base_b
    .private_segment_fixed_size: 24
    .sgpr_count:     27
    .sgpr_spill_count: 0
    .symbol:         _ZN9rocsparseL28csrmvn_lrb_short_rows_kernelIll21rocsparse_complex_numIfES1_IdES3_S3_EEvbT_PT0_S6_jNS_24const_host_device_scalarIT4_EEPKS4_PKS5_PKT1_PKT2_S9_PT3_21rocsparse_index_base_b.kd
    .uniform_work_group_size: 1
    .uses_dynamic_stack: false
    .vgpr_count:     26
    .vgpr_spill_count: 0
    .wavefront_size: 32
    .workgroup_processor_mode: 1
  - .args:
      - .offset:         0
        .size:           1
        .value_kind:     by_value
      - .offset:         8
        .size:           8
        .value_kind:     by_value
      - .actual_access:  read_only
        .address_space:  global
        .offset:         16
        .size:           8
        .value_kind:     global_buffer
      - .actual_access:  read_only
        .address_space:  global
        .offset:         24
        .size:           8
        .value_kind:     global_buffer
      - .offset:         32
        .size:           4
        .value_kind:     by_value
      - .offset:         40
        .size:           16
        .value_kind:     by_value
      - .actual_access:  read_only
        .address_space:  global
        .offset:         56
        .size:           8
        .value_kind:     global_buffer
      - .actual_access:  read_only
        .address_space:  global
        .offset:         64
        .size:           8
        .value_kind:     global_buffer
      - .actual_access:  read_only
        .address_space:  global
        .offset:         72
        .size:           8
        .value_kind:     global_buffer
      - .actual_access:  read_only
        .address_space:  global
        .offset:         80
        .size:           8
        .value_kind:     global_buffer
      - .offset:         88
        .size:           16
        .value_kind:     by_value
      - .address_space:  global
        .offset:         104
        .size:           8
        .value_kind:     global_buffer
      - .offset:         112
        .size:           4
        .value_kind:     by_value
      - .offset:         116
        .size:           1
        .value_kind:     by_value
    .group_segment_fixed_size: 16384
    .kernarg_segment_align: 8
    .kernarg_segment_size: 120
    .language:       OpenCL C
    .language_version:
      - 2
      - 0
    .max_flat_workgroup_size: 256
    .name:           _ZN9rocsparseL30csrmvn_lrb_short_rows_2_kernelIll21rocsparse_complex_numIfES1_IdES3_S3_EEvbT_PT0_S6_jNS_24const_host_device_scalarIT4_EEPKS4_PKS5_PKT1_PKT2_S9_PT3_21rocsparse_index_base_b
    .private_segment_fixed_size: 24
    .sgpr_count:     24
    .sgpr_spill_count: 0
    .symbol:         _ZN9rocsparseL30csrmvn_lrb_short_rows_2_kernelIll21rocsparse_complex_numIfES1_IdES3_S3_EEvbT_PT0_S6_jNS_24const_host_device_scalarIT4_EEPKS4_PKS5_PKT1_PKT2_S9_PT3_21rocsparse_index_base_b.kd
    .uniform_work_group_size: 1
    .uses_dynamic_stack: false
    .vgpr_count:     21
    .vgpr_spill_count: 0
    .wavefront_size: 32
    .workgroup_processor_mode: 1
  - .args:
      - .offset:         0
        .size:           1
        .value_kind:     by_value
      - .offset:         8
        .size:           8
        .value_kind:     by_value
      - .offset:         16
        .size:           8
        .value_kind:     by_value
      - .actual_access:  read_only
        .address_space:  global
        .offset:         24
        .size:           8
        .value_kind:     global_buffer
      - .actual_access:  read_only
        .address_space:  global
        .offset:         32
        .size:           8
        .value_kind:     global_buffer
      - .offset:         40
        .size:           4
        .value_kind:     by_value
      - .offset:         48
        .size:           16
        .value_kind:     by_value
      - .actual_access:  read_only
        .address_space:  global
        .offset:         64
        .size:           8
        .value_kind:     global_buffer
      - .actual_access:  read_only
        .address_space:  global
        .offset:         72
        .size:           8
        .value_kind:     global_buffer
      - .actual_access:  read_only
        .address_space:  global
        .offset:         80
        .size:           8
        .value_kind:     global_buffer
      - .actual_access:  read_only
        .address_space:  global
        .offset:         88
        .size:           8
        .value_kind:     global_buffer
      - .offset:         96
        .size:           16
        .value_kind:     by_value
      - .address_space:  global
        .offset:         112
        .size:           8
        .value_kind:     global_buffer
      - .offset:         120
        .size:           4
        .value_kind:     by_value
      - .offset:         124
        .size:           1
        .value_kind:     by_value
    .group_segment_fixed_size: 4096
    .kernarg_segment_align: 8
    .kernarg_segment_size: 128
    .language:       OpenCL C
    .language_version:
      - 2
      - 0
    .max_flat_workgroup_size: 256
    .name:           _ZN9rocsparseL41csrmvn_lrb_medium_rows_warp_reduce_kernelILj256ELj32Ell21rocsparse_complex_numIfES1_IdES3_S3_EEvbT1_lPT2_S6_jNS_24const_host_device_scalarIT6_EEPKS4_PKS5_PKT3_PKT4_S9_PT5_21rocsparse_index_base_b
    .private_segment_fixed_size: 0
    .sgpr_count:     20
    .sgpr_spill_count: 0
    .symbol:         _ZN9rocsparseL41csrmvn_lrb_medium_rows_warp_reduce_kernelILj256ELj32Ell21rocsparse_complex_numIfES1_IdES3_S3_EEvbT1_lPT2_S6_jNS_24const_host_device_scalarIT6_EEPKS4_PKS5_PKT3_PKT4_S9_PT5_21rocsparse_index_base_b.kd
    .uniform_work_group_size: 1
    .uses_dynamic_stack: false
    .vgpr_count:     34
    .vgpr_spill_count: 0
    .wavefront_size: 32
    .workgroup_processor_mode: 1
  - .args:
      - .offset:         0
        .size:           1
        .value_kind:     by_value
      - .offset:         8
        .size:           8
        .value_kind:     by_value
      - .offset:         16
        .size:           8
        .value_kind:     by_value
      - .actual_access:  read_only
        .address_space:  global
        .offset:         24
        .size:           8
        .value_kind:     global_buffer
      - .actual_access:  read_only
        .address_space:  global
        .offset:         32
        .size:           8
        .value_kind:     global_buffer
      - .offset:         40
        .size:           4
        .value_kind:     by_value
      - .offset:         48
        .size:           16
        .value_kind:     by_value
      - .actual_access:  read_only
        .address_space:  global
        .offset:         64
        .size:           8
        .value_kind:     global_buffer
      - .actual_access:  read_only
        .address_space:  global
        .offset:         72
        .size:           8
        .value_kind:     global_buffer
      - .actual_access:  read_only
        .address_space:  global
        .offset:         80
        .size:           8
        .value_kind:     global_buffer
      - .actual_access:  read_only
        .address_space:  global
        .offset:         88
        .size:           8
        .value_kind:     global_buffer
      - .offset:         96
        .size:           16
        .value_kind:     by_value
      - .address_space:  global
        .offset:         112
        .size:           8
        .value_kind:     global_buffer
      - .offset:         120
        .size:           4
        .value_kind:     by_value
      - .offset:         124
        .size:           1
        .value_kind:     by_value
    .group_segment_fixed_size: 4096
    .kernarg_segment_align: 8
    .kernarg_segment_size: 128
    .language:       OpenCL C
    .language_version:
      - 2
      - 0
    .max_flat_workgroup_size: 256
    .name:           _ZN9rocsparseL41csrmvn_lrb_medium_rows_warp_reduce_kernelILj256ELj64Ell21rocsparse_complex_numIfES1_IdES3_S3_EEvbT1_lPT2_S6_jNS_24const_host_device_scalarIT6_EEPKS4_PKS5_PKT3_PKT4_S9_PT5_21rocsparse_index_base_b
    .private_segment_fixed_size: 0
    .sgpr_count:     20
    .sgpr_spill_count: 0
    .symbol:         _ZN9rocsparseL41csrmvn_lrb_medium_rows_warp_reduce_kernelILj256ELj64Ell21rocsparse_complex_numIfES1_IdES3_S3_EEvbT1_lPT2_S6_jNS_24const_host_device_scalarIT6_EEPKS4_PKS5_PKT3_PKT4_S9_PT5_21rocsparse_index_base_b.kd
    .uniform_work_group_size: 1
    .uses_dynamic_stack: false
    .vgpr_count:     34
    .vgpr_spill_count: 0
    .wavefront_size: 32
    .workgroup_processor_mode: 1
  - .args:
      - .offset:         0
        .size:           1
        .value_kind:     by_value
      - .offset:         8
        .size:           8
        .value_kind:     by_value
      - .actual_access:  read_only
        .address_space:  global
        .offset:         16
        .size:           8
        .value_kind:     global_buffer
      - .actual_access:  read_only
        .address_space:  global
        .offset:         24
        .size:           8
        .value_kind:     global_buffer
      - .offset:         32
        .size:           4
        .value_kind:     by_value
      - .offset:         40
        .size:           16
        .value_kind:     by_value
      - .actual_access:  read_only
        .address_space:  global
        .offset:         56
        .size:           8
        .value_kind:     global_buffer
      - .actual_access:  read_only
        .address_space:  global
        .offset:         64
        .size:           8
        .value_kind:     global_buffer
      - .actual_access:  read_only
        .address_space:  global
        .offset:         72
        .size:           8
        .value_kind:     global_buffer
      - .actual_access:  read_only
        .address_space:  global
        .offset:         80
        .size:           8
        .value_kind:     global_buffer
      - .offset:         88
        .size:           16
        .value_kind:     by_value
      - .address_space:  global
        .offset:         104
        .size:           8
        .value_kind:     global_buffer
      - .offset:         112
        .size:           4
        .value_kind:     by_value
      - .offset:         116
        .size:           1
        .value_kind:     by_value
    .group_segment_fixed_size: 8192
    .kernarg_segment_align: 8
    .kernarg_segment_size: 120
    .language:       OpenCL C
    .language_version:
      - 2
      - 0
    .max_flat_workgroup_size: 256
    .name:           _ZN9rocsparseL29csrmvn_lrb_medium_rows_kernelILj256Ell21rocsparse_complex_numIfES1_IdES3_S3_EEvbT0_PT1_S6_jNS_24const_host_device_scalarIT5_EEPKS4_PKS5_PKT2_PKT3_S9_PT4_21rocsparse_index_base_b
    .private_segment_fixed_size: 0
    .sgpr_count:     22
    .sgpr_spill_count: 0
    .symbol:         _ZN9rocsparseL29csrmvn_lrb_medium_rows_kernelILj256Ell21rocsparse_complex_numIfES1_IdES3_S3_EEvbT0_PT1_S6_jNS_24const_host_device_scalarIT5_EEPKS4_PKS5_PKT2_PKT3_S9_PT4_21rocsparse_index_base_b.kd
    .uniform_work_group_size: 1
    .uses_dynamic_stack: false
    .vgpr_count:     30
    .vgpr_spill_count: 0
    .wavefront_size: 32
    .workgroup_processor_mode: 1
  - .args:
      - .offset:         0
        .size:           1
        .value_kind:     by_value
      - .offset:         8
        .size:           8
        .value_kind:     by_value
      - .address_space:  global
        .offset:         16
        .size:           8
        .value_kind:     global_buffer
      - .actual_access:  read_only
        .address_space:  global
        .offset:         24
        .size:           8
        .value_kind:     global_buffer
      - .actual_access:  read_only
        .address_space:  global
        .offset:         32
        .size:           8
        .value_kind:     global_buffer
      - .offset:         40
        .size:           4
        .value_kind:     by_value
      - .offset:         48
        .size:           16
        .value_kind:     by_value
      - .actual_access:  read_only
        .address_space:  global
        .offset:         64
        .size:           8
        .value_kind:     global_buffer
      - .actual_access:  read_only
        .address_space:  global
        .offset:         72
        .size:           8
        .value_kind:     global_buffer
      - .actual_access:  read_only
        .address_space:  global
        .offset:         80
        .size:           8
        .value_kind:     global_buffer
      - .actual_access:  read_only
        .address_space:  global
        .offset:         88
        .size:           8
        .value_kind:     global_buffer
      - .offset:         96
        .size:           16
        .value_kind:     by_value
      - .address_space:  global
        .offset:         112
        .size:           8
        .value_kind:     global_buffer
      - .offset:         120
        .size:           4
        .value_kind:     by_value
      - .offset:         124
        .size:           1
        .value_kind:     by_value
    .group_segment_fixed_size: 8192
    .kernarg_segment_align: 8
    .kernarg_segment_size: 128
    .language:       OpenCL C
    .language_version:
      - 2
      - 0
    .max_flat_workgroup_size: 256
    .name:           _ZN9rocsparseL27csrmvn_lrb_long_rows_kernelIll21rocsparse_complex_numIfES1_IdES3_S3_EEvbT_PjPT0_S7_jNS_24const_host_device_scalarIT4_EEPKS4_PKS6_PKT1_PKT2_SA_PT3_21rocsparse_index_base_b
    .private_segment_fixed_size: 0
    .sgpr_count:     30
    .sgpr_spill_count: 0
    .symbol:         _ZN9rocsparseL27csrmvn_lrb_long_rows_kernelIll21rocsparse_complex_numIfES1_IdES3_S3_EEvbT_PjPT0_S7_jNS_24const_host_device_scalarIT4_EEPKS4_PKS6_PKT1_PKT2_SA_PT3_21rocsparse_index_base_b.kd
    .uniform_work_group_size: 1
    .uses_dynamic_stack: false
    .vgpr_count:     26
    .vgpr_spill_count: 0
    .wavefront_size: 32
    .workgroup_processor_mode: 1
amdhsa.target:   amdgcn-amd-amdhsa--gfx1100
amdhsa.version:
  - 1
  - 2
...

	.end_amdgpu_metadata
